;; amdgpu-corpus repo=ROCm/rocBLAS kind=compiled arch=gfx1201 opt=O3
	.amdgcn_target "amdgcn-amd-amdhsa--gfx1201"
	.amdhsa_code_object_version 6
	.section	.text._ZN12_GLOBAL__N_125rocblas_gemm_scale_kernelILi32ELi32EDF16_PDF16_EEviiT1_T2_llli,"axG",@progbits,_ZN12_GLOBAL__N_125rocblas_gemm_scale_kernelILi32ELi32EDF16_PDF16_EEviiT1_T2_llli,comdat
	.globl	_ZN12_GLOBAL__N_125rocblas_gemm_scale_kernelILi32ELi32EDF16_PDF16_EEviiT1_T2_llli ; -- Begin function _ZN12_GLOBAL__N_125rocblas_gemm_scale_kernelILi32ELi32EDF16_PDF16_EEviiT1_T2_llli
	.p2align	8
	.type	_ZN12_GLOBAL__N_125rocblas_gemm_scale_kernelILi32ELi32EDF16_PDF16_EEviiT1_T2_llli,@function
_ZN12_GLOBAL__N_125rocblas_gemm_scale_kernelILi32ELi32EDF16_PDF16_EEviiT1_T2_llli: ; @_ZN12_GLOBAL__N_125rocblas_gemm_scale_kernelILi32ELi32EDF16_PDF16_EEviiT1_T2_llli
; %bb.0:
	s_load_b32 s3, s[0:1], 0x30
	s_lshr_b32 s12, ttmp7, 16
	s_wait_kmcnt 0x0
	s_cmp_ge_u32 s12, s3
	s_cbranch_scc1 .LBB0_8
; %bb.1:
	s_load_b256 s[4:11], s[0:1], 0x10
	v_bfe_u32 v1, v0, 10, 10
	s_and_b32 s2, ttmp7, 0xffff
	s_mov_b32 s13, 0
	s_delay_alu instid0(VALU_DEP_1) | instskip(SKIP_2) | instid1(VALU_DEP_1)
	v_lshl_add_u32 v5, s2, 5, v1
	s_load_b96 s[0:2], s[0:1], 0x0
	s_wait_kmcnt 0x0
	v_mad_co_u64_u32 v[2:3], null, s8, v5, 0
	s_delay_alu instid0(VALU_DEP_1) | instskip(NEXT) | instid1(VALU_DEP_1)
	v_dual_mov_b32 v0, v3 :: v_dual_and_b32 v1, 0x3ff, v0
	v_lshl_add_u32 v4, ttmp9, 5, v1
	s_delay_alu instid0(VALU_DEP_2) | instskip(NEXT) | instid1(VALU_DEP_2)
	v_mad_co_u64_u32 v[0:1], null, s9, v5, v[0:1]
	v_cmp_gt_u32_e32 vcc_lo, s0, v4
	v_cmp_gt_u32_e64 s0, s1, v5
	v_mov_b32_e32 v5, 0
	s_lshl_b64 s[8:9], s[6:7], 1
	s_and_b32 s6, vcc_lo, s0
	v_mov_b32_e32 v3, v0
	s_cmp_neq_f16 s2, 0
	v_lshlrev_b64_e32 v[0:1], 1, v[4:5]
	s_wait_alu 0xfffe
	s_add_nc_u64 s[0:1], s[4:5], s[8:9]
	v_lshlrev_b64_e32 v[2:3], 1, v[2:3]
	s_cselect_b32 s7, -1, 0
	s_branch .LBB0_5
.LBB0_2:                                ;   in Loop: Header=BB0_5 Depth=1
	s_wait_alu 0xfffe
	v_add_co_u32 v4, vcc_lo, s4, v2
	s_wait_alu 0xfffd
	v_add_co_ci_u32_e64 v5, null, s5, v3, vcc_lo
	s_delay_alu instid0(VALU_DEP_2) | instskip(SKIP_1) | instid1(VALU_DEP_2)
	v_add_co_u32 v4, vcc_lo, v4, v0
	s_wait_alu 0xfffd
	v_add_co_ci_u32_e64 v5, null, v5, v1, vcc_lo
	global_load_u16 v4, v[4:5], off
	s_wait_loadcnt 0x0
	v_mul_f16_e32 v4, s2, v4
.LBB0_3:                                ;   in Loop: Header=BB0_5 Depth=1
	s_wait_alu 0xfffe
	v_add_co_u32 v5, vcc_lo, s4, v2
	s_wait_alu 0xfffd
	v_add_co_ci_u32_e64 v6, null, s5, v3, vcc_lo
	s_delay_alu instid0(VALU_DEP_2) | instskip(SKIP_1) | instid1(VALU_DEP_2)
	v_add_co_u32 v5, vcc_lo, v5, v0
	s_wait_alu 0xfffd
	v_add_co_ci_u32_e64 v6, null, v6, v1, vcc_lo
	global_store_b16 v[5:6], v4, off
.LBB0_4:                                ;   in Loop: Header=BB0_5 Depth=1
	s_wait_alu 0xfffe
	s_or_b32 exec_lo, exec_lo, s8
	s_add_co_i32 s12, s12, 0x10000
	s_delay_alu instid0(SALU_CYCLE_1)
	s_cmp_lt_u32 s12, s3
	s_cbranch_scc0 .LBB0_8
.LBB0_5:                                ; =>This Inner Loop Header: Depth=1
	s_and_saveexec_b32 s8, s6
	s_cbranch_execz .LBB0_4
; %bb.6:                                ;   in Loop: Header=BB0_5 Depth=1
	s_mul_u64 s[4:5], s[10:11], s[12:13]
	s_and_not1_b32 vcc_lo, exec_lo, s7
	s_wait_alu 0xfffe
	s_lshl_b64 s[4:5], s[4:5], 1
	s_wait_alu 0xfffe
	s_add_nc_u64 s[4:5], s[0:1], s[4:5]
	s_cbranch_vccz .LBB0_2
; %bb.7:                                ;   in Loop: Header=BB0_5 Depth=1
	v_mov_b32_e32 v4, 0
	s_branch .LBB0_3
.LBB0_8:
	s_endpgm
	.section	.rodata,"a",@progbits
	.p2align	6, 0x0
	.amdhsa_kernel _ZN12_GLOBAL__N_125rocblas_gemm_scale_kernelILi32ELi32EDF16_PDF16_EEviiT1_T2_llli
		.amdhsa_group_segment_fixed_size 0
		.amdhsa_private_segment_fixed_size 0
		.amdhsa_kernarg_size 52
		.amdhsa_user_sgpr_count 2
		.amdhsa_user_sgpr_dispatch_ptr 0
		.amdhsa_user_sgpr_queue_ptr 0
		.amdhsa_user_sgpr_kernarg_segment_ptr 1
		.amdhsa_user_sgpr_dispatch_id 0
		.amdhsa_user_sgpr_private_segment_size 0
		.amdhsa_wavefront_size32 1
		.amdhsa_uses_dynamic_stack 0
		.amdhsa_enable_private_segment 0
		.amdhsa_system_sgpr_workgroup_id_x 1
		.amdhsa_system_sgpr_workgroup_id_y 1
		.amdhsa_system_sgpr_workgroup_id_z 1
		.amdhsa_system_sgpr_workgroup_info 0
		.amdhsa_system_vgpr_workitem_id 1
		.amdhsa_next_free_vgpr 7
		.amdhsa_next_free_sgpr 14
		.amdhsa_reserve_vcc 1
		.amdhsa_float_round_mode_32 0
		.amdhsa_float_round_mode_16_64 0
		.amdhsa_float_denorm_mode_32 3
		.amdhsa_float_denorm_mode_16_64 3
		.amdhsa_fp16_overflow 0
		.amdhsa_workgroup_processor_mode 1
		.amdhsa_memory_ordered 1
		.amdhsa_forward_progress 1
		.amdhsa_inst_pref_size 3
		.amdhsa_round_robin_scheduling 0
		.amdhsa_exception_fp_ieee_invalid_op 0
		.amdhsa_exception_fp_denorm_src 0
		.amdhsa_exception_fp_ieee_div_zero 0
		.amdhsa_exception_fp_ieee_overflow 0
		.amdhsa_exception_fp_ieee_underflow 0
		.amdhsa_exception_fp_ieee_inexact 0
		.amdhsa_exception_int_div_zero 0
	.end_amdhsa_kernel
	.section	.text._ZN12_GLOBAL__N_125rocblas_gemm_scale_kernelILi32ELi32EDF16_PDF16_EEviiT1_T2_llli,"axG",@progbits,_ZN12_GLOBAL__N_125rocblas_gemm_scale_kernelILi32ELi32EDF16_PDF16_EEviiT1_T2_llli,comdat
.Lfunc_end0:
	.size	_ZN12_GLOBAL__N_125rocblas_gemm_scale_kernelILi32ELi32EDF16_PDF16_EEviiT1_T2_llli, .Lfunc_end0-_ZN12_GLOBAL__N_125rocblas_gemm_scale_kernelILi32ELi32EDF16_PDF16_EEviiT1_T2_llli
                                        ; -- End function
	.set _ZN12_GLOBAL__N_125rocblas_gemm_scale_kernelILi32ELi32EDF16_PDF16_EEviiT1_T2_llli.num_vgpr, 7
	.set _ZN12_GLOBAL__N_125rocblas_gemm_scale_kernelILi32ELi32EDF16_PDF16_EEviiT1_T2_llli.num_agpr, 0
	.set _ZN12_GLOBAL__N_125rocblas_gemm_scale_kernelILi32ELi32EDF16_PDF16_EEviiT1_T2_llli.numbered_sgpr, 14
	.set _ZN12_GLOBAL__N_125rocblas_gemm_scale_kernelILi32ELi32EDF16_PDF16_EEviiT1_T2_llli.num_named_barrier, 0
	.set _ZN12_GLOBAL__N_125rocblas_gemm_scale_kernelILi32ELi32EDF16_PDF16_EEviiT1_T2_llli.private_seg_size, 0
	.set _ZN12_GLOBAL__N_125rocblas_gemm_scale_kernelILi32ELi32EDF16_PDF16_EEviiT1_T2_llli.uses_vcc, 1
	.set _ZN12_GLOBAL__N_125rocblas_gemm_scale_kernelILi32ELi32EDF16_PDF16_EEviiT1_T2_llli.uses_flat_scratch, 0
	.set _ZN12_GLOBAL__N_125rocblas_gemm_scale_kernelILi32ELi32EDF16_PDF16_EEviiT1_T2_llli.has_dyn_sized_stack, 0
	.set _ZN12_GLOBAL__N_125rocblas_gemm_scale_kernelILi32ELi32EDF16_PDF16_EEviiT1_T2_llli.has_recursion, 0
	.set _ZN12_GLOBAL__N_125rocblas_gemm_scale_kernelILi32ELi32EDF16_PDF16_EEviiT1_T2_llli.has_indirect_call, 0
	.section	.AMDGPU.csdata,"",@progbits
; Kernel info:
; codeLenInByte = 380
; TotalNumSgprs: 16
; NumVgprs: 7
; ScratchSize: 0
; MemoryBound: 0
; FloatMode: 240
; IeeeMode: 1
; LDSByteSize: 0 bytes/workgroup (compile time only)
; SGPRBlocks: 0
; VGPRBlocks: 0
; NumSGPRsForWavesPerEU: 16
; NumVGPRsForWavesPerEU: 7
; Occupancy: 16
; WaveLimiterHint : 0
; COMPUTE_PGM_RSRC2:SCRATCH_EN: 0
; COMPUTE_PGM_RSRC2:USER_SGPR: 2
; COMPUTE_PGM_RSRC2:TRAP_HANDLER: 0
; COMPUTE_PGM_RSRC2:TGID_X_EN: 1
; COMPUTE_PGM_RSRC2:TGID_Y_EN: 1
; COMPUTE_PGM_RSRC2:TGID_Z_EN: 1
; COMPUTE_PGM_RSRC2:TIDIG_COMP_CNT: 1
	.section	.text._ZN12_GLOBAL__N_120gemm_ex_scale_kernelILi32ELi32EDF16_PKDF16_PDF16_EEviiT1_T2_lllT3_llli,"axG",@progbits,_ZN12_GLOBAL__N_120gemm_ex_scale_kernelILi32ELi32EDF16_PKDF16_PDF16_EEviiT1_T2_lllT3_llli,comdat
	.globl	_ZN12_GLOBAL__N_120gemm_ex_scale_kernelILi32ELi32EDF16_PKDF16_PDF16_EEviiT1_T2_lllT3_llli ; -- Begin function _ZN12_GLOBAL__N_120gemm_ex_scale_kernelILi32ELi32EDF16_PKDF16_PDF16_EEviiT1_T2_lllT3_llli
	.p2align	8
	.type	_ZN12_GLOBAL__N_120gemm_ex_scale_kernelILi32ELi32EDF16_PKDF16_PDF16_EEviiT1_T2_lllT3_llli,@function
_ZN12_GLOBAL__N_120gemm_ex_scale_kernelILi32ELi32EDF16_PKDF16_PDF16_EEviiT1_T2_lllT3_llli: ; @_ZN12_GLOBAL__N_120gemm_ex_scale_kernelILi32ELi32EDF16_PKDF16_PDF16_EEviiT1_T2_lllT3_llli
; %bb.0:
	s_load_b32 s3, s[0:1], 0x50
	s_lshr_b32 s20, ttmp7, 16
	s_wait_kmcnt 0x0
	s_cmp_ge_u32 s20, s3
	s_cbranch_scc1 .LBB1_8
; %bb.1:
	s_load_b512 s[4:19], s[0:1], 0x10
	v_bfe_u32 v1, v0, 10, 10
	s_and_b32 s2, ttmp7, 0xffff
	v_mov_b32_e32 v6, 0
	s_mov_b32 s21, 0
	s_delay_alu instid0(VALU_DEP_2) | instskip(SKIP_2) | instid1(VALU_DEP_1)
	v_lshl_add_u32 v11, s2, 5, v1
	s_load_b96 s[0:2], s[0:1], 0x0
	s_wait_kmcnt 0x0
	v_mad_co_u64_u32 v[1:2], null, s8, v11, 0
	v_mad_co_u64_u32 v[3:4], null, s16, v11, 0
	v_and_b32_e32 v5, 0x3ff, v0
	s_lshl_b64 s[6:7], s[6:7], 1
	s_delay_alu instid0(SALU_CYCLE_1) | instskip(NEXT) | instid1(VALU_DEP_3)
	s_add_nc_u64 s[4:5], s[4:5], s[6:7]
	v_mov_b32_e32 v0, v2
	s_delay_alu instid0(VALU_DEP_2) | instskip(NEXT) | instid1(VALU_DEP_4)
	v_lshl_add_u32 v5, ttmp9, 5, v5
	v_mov_b32_e32 v2, v4
	s_delay_alu instid0(VALU_DEP_3) | instskip(NEXT) | instid1(VALU_DEP_2)
	v_mad_co_u64_u32 v[7:8], null, s9, v11, v[0:1]
	v_mad_co_u64_u32 v[8:9], null, s17, v11, v[2:3]
	s_delay_alu instid0(VALU_DEP_4)
	v_cmp_gt_u32_e32 vcc_lo, s0, v5
	v_cmp_gt_u32_e64 s0, s1, v11
	s_lshl_b64 s[8:9], s[14:15], 1
	v_lshlrev_b64_e32 v[9:10], 1, v[5:6]
	v_mov_b32_e32 v2, v7
	s_wait_alu 0xfffe
	s_add_nc_u64 s[8:9], s[12:13], s[8:9]
	v_mov_b32_e32 v4, v8
	s_and_b32 s0, vcc_lo, s0
	s_cmp_neq_f16 s2, 0
	v_lshlrev_b64_e32 v[0:1], 1, v[1:2]
	s_delay_alu instid0(VALU_DEP_2) | instskip(SKIP_1) | instid1(VALU_DEP_2)
	v_lshlrev_b64_e32 v[2:3], 1, v[3:4]
	s_cselect_b32 s1, -1, 0
	v_add_co_u32 v0, vcc_lo, s4, v0
	s_delay_alu instid0(VALU_DEP_1) | instskip(SKIP_1) | instid1(VALU_DEP_3)
	v_add_co_ci_u32_e64 v1, null, s5, v1, vcc_lo
	s_wait_alu 0xfffe
	v_add_co_u32 v2, vcc_lo, s8, v2
	s_wait_alu 0xfffd
	v_add_co_ci_u32_e64 v3, null, s9, v3, vcc_lo
	v_add_co_u32 v0, vcc_lo, v0, v9
	s_wait_alu 0xfffd
	v_add_co_ci_u32_e64 v1, null, v1, v10, vcc_lo
	;; [unrolled: 3-line block ×3, first 2 shown]
	s_branch .LBB1_5
.LBB1_2:                                ;   in Loop: Header=BB1_5 Depth=1
	s_mul_u64 s[6:7], s[10:11], s[20:21]
	s_wait_alu 0xfffe
	s_lshl_b64 s[6:7], s[6:7], 1
	s_wait_alu 0xfffe
	v_add_co_u32 v4, vcc_lo, v0, s6
	s_wait_alu 0xfffd
	v_add_co_ci_u32_e64 v5, null, s7, v1, vcc_lo
	global_load_u16 v4, v[4:5], off
	s_wait_loadcnt 0x0
	v_mul_f16_e32 v4, s2, v4
.LBB1_3:                                ;   in Loop: Header=BB1_5 Depth=1
	s_mul_u64 s[6:7], s[18:19], s[20:21]
	s_wait_alu 0xfffe
	s_lshl_b64 s[6:7], s[6:7], 1
	s_wait_alu 0xfffe
	v_add_co_u32 v5, vcc_lo, v2, s6
	s_wait_alu 0xfffd
	v_add_co_ci_u32_e64 v6, null, s7, v3, vcc_lo
	global_store_b16 v[5:6], v4, off
.LBB1_4:                                ;   in Loop: Header=BB1_5 Depth=1
	s_wait_alu 0xfffe
	s_or_b32 exec_lo, exec_lo, s4
	s_add_co_i32 s20, s20, 0x10000
	s_delay_alu instid0(SALU_CYCLE_1)
	s_cmp_lt_u32 s20, s3
	s_cbranch_scc0 .LBB1_8
.LBB1_5:                                ; =>This Inner Loop Header: Depth=1
	s_and_saveexec_b32 s4, s0
	s_cbranch_execz .LBB1_4
; %bb.6:                                ;   in Loop: Header=BB1_5 Depth=1
	s_and_not1_b32 vcc_lo, exec_lo, s1
	s_wait_alu 0xfffe
	s_cbranch_vccz .LBB1_2
; %bb.7:                                ;   in Loop: Header=BB1_5 Depth=1
	v_mov_b32_e32 v4, 0
	s_branch .LBB1_3
.LBB1_8:
	s_endpgm
	.section	.rodata,"a",@progbits
	.p2align	6, 0x0
	.amdhsa_kernel _ZN12_GLOBAL__N_120gemm_ex_scale_kernelILi32ELi32EDF16_PKDF16_PDF16_EEviiT1_T2_lllT3_llli
		.amdhsa_group_segment_fixed_size 0
		.amdhsa_private_segment_fixed_size 0
		.amdhsa_kernarg_size 84
		.amdhsa_user_sgpr_count 2
		.amdhsa_user_sgpr_dispatch_ptr 0
		.amdhsa_user_sgpr_queue_ptr 0
		.amdhsa_user_sgpr_kernarg_segment_ptr 1
		.amdhsa_user_sgpr_dispatch_id 0
		.amdhsa_user_sgpr_private_segment_size 0
		.amdhsa_wavefront_size32 1
		.amdhsa_uses_dynamic_stack 0
		.amdhsa_enable_private_segment 0
		.amdhsa_system_sgpr_workgroup_id_x 1
		.amdhsa_system_sgpr_workgroup_id_y 1
		.amdhsa_system_sgpr_workgroup_id_z 1
		.amdhsa_system_sgpr_workgroup_info 0
		.amdhsa_system_vgpr_workitem_id 1
		.amdhsa_next_free_vgpr 12
		.amdhsa_next_free_sgpr 22
		.amdhsa_reserve_vcc 1
		.amdhsa_float_round_mode_32 0
		.amdhsa_float_round_mode_16_64 0
		.amdhsa_float_denorm_mode_32 3
		.amdhsa_float_denorm_mode_16_64 3
		.amdhsa_fp16_overflow 0
		.amdhsa_workgroup_processor_mode 1
		.amdhsa_memory_ordered 1
		.amdhsa_forward_progress 1
		.amdhsa_inst_pref_size 4
		.amdhsa_round_robin_scheduling 0
		.amdhsa_exception_fp_ieee_invalid_op 0
		.amdhsa_exception_fp_denorm_src 0
		.amdhsa_exception_fp_ieee_div_zero 0
		.amdhsa_exception_fp_ieee_overflow 0
		.amdhsa_exception_fp_ieee_underflow 0
		.amdhsa_exception_fp_ieee_inexact 0
		.amdhsa_exception_int_div_zero 0
	.end_amdhsa_kernel
	.section	.text._ZN12_GLOBAL__N_120gemm_ex_scale_kernelILi32ELi32EDF16_PKDF16_PDF16_EEviiT1_T2_lllT3_llli,"axG",@progbits,_ZN12_GLOBAL__N_120gemm_ex_scale_kernelILi32ELi32EDF16_PKDF16_PDF16_EEviiT1_T2_lllT3_llli,comdat
.Lfunc_end1:
	.size	_ZN12_GLOBAL__N_120gemm_ex_scale_kernelILi32ELi32EDF16_PKDF16_PDF16_EEviiT1_T2_lllT3_llli, .Lfunc_end1-_ZN12_GLOBAL__N_120gemm_ex_scale_kernelILi32ELi32EDF16_PKDF16_PDF16_EEviiT1_T2_lllT3_llli
                                        ; -- End function
	.set _ZN12_GLOBAL__N_120gemm_ex_scale_kernelILi32ELi32EDF16_PKDF16_PDF16_EEviiT1_T2_lllT3_llli.num_vgpr, 12
	.set _ZN12_GLOBAL__N_120gemm_ex_scale_kernelILi32ELi32EDF16_PKDF16_PDF16_EEviiT1_T2_lllT3_llli.num_agpr, 0
	.set _ZN12_GLOBAL__N_120gemm_ex_scale_kernelILi32ELi32EDF16_PKDF16_PDF16_EEviiT1_T2_lllT3_llli.numbered_sgpr, 22
	.set _ZN12_GLOBAL__N_120gemm_ex_scale_kernelILi32ELi32EDF16_PKDF16_PDF16_EEviiT1_T2_lllT3_llli.num_named_barrier, 0
	.set _ZN12_GLOBAL__N_120gemm_ex_scale_kernelILi32ELi32EDF16_PKDF16_PDF16_EEviiT1_T2_lllT3_llli.private_seg_size, 0
	.set _ZN12_GLOBAL__N_120gemm_ex_scale_kernelILi32ELi32EDF16_PKDF16_PDF16_EEviiT1_T2_lllT3_llli.uses_vcc, 1
	.set _ZN12_GLOBAL__N_120gemm_ex_scale_kernelILi32ELi32EDF16_PKDF16_PDF16_EEviiT1_T2_lllT3_llli.uses_flat_scratch, 0
	.set _ZN12_GLOBAL__N_120gemm_ex_scale_kernelILi32ELi32EDF16_PKDF16_PDF16_EEviiT1_T2_lllT3_llli.has_dyn_sized_stack, 0
	.set _ZN12_GLOBAL__N_120gemm_ex_scale_kernelILi32ELi32EDF16_PKDF16_PDF16_EEviiT1_T2_lllT3_llli.has_recursion, 0
	.set _ZN12_GLOBAL__N_120gemm_ex_scale_kernelILi32ELi32EDF16_PKDF16_PDF16_EEviiT1_T2_lllT3_llli.has_indirect_call, 0
	.section	.AMDGPU.csdata,"",@progbits
; Kernel info:
; codeLenInByte = 472
; TotalNumSgprs: 24
; NumVgprs: 12
; ScratchSize: 0
; MemoryBound: 0
; FloatMode: 240
; IeeeMode: 1
; LDSByteSize: 0 bytes/workgroup (compile time only)
; SGPRBlocks: 0
; VGPRBlocks: 1
; NumSGPRsForWavesPerEU: 24
; NumVGPRsForWavesPerEU: 12
; Occupancy: 16
; WaveLimiterHint : 0
; COMPUTE_PGM_RSRC2:SCRATCH_EN: 0
; COMPUTE_PGM_RSRC2:USER_SGPR: 2
; COMPUTE_PGM_RSRC2:TRAP_HANDLER: 0
; COMPUTE_PGM_RSRC2:TGID_X_EN: 1
; COMPUTE_PGM_RSRC2:TGID_Y_EN: 1
; COMPUTE_PGM_RSRC2:TGID_Z_EN: 1
; COMPUTE_PGM_RSRC2:TIDIG_COMP_CNT: 1
	.section	.text._ZN12_GLOBAL__N_127rocblas_gemm_batched_kernelIDF16_Li16ELi16ELi64ELi64ELi4ELi64ELi4ELi4ELi64ELc78ELc78EKDF16_S1_DF16_EEvlllT_PT11_llS4_llS2_PT12_llPT13_lli,"axG",@progbits,_ZN12_GLOBAL__N_127rocblas_gemm_batched_kernelIDF16_Li16ELi16ELi64ELi64ELi4ELi64ELi4ELi4ELi64ELc78ELc78EKDF16_S1_DF16_EEvlllT_PT11_llS4_llS2_PT12_llPT13_lli,comdat
	.globl	_ZN12_GLOBAL__N_127rocblas_gemm_batched_kernelIDF16_Li16ELi16ELi64ELi64ELi4ELi64ELi4ELi4ELi64ELc78ELc78EKDF16_S1_DF16_EEvlllT_PT11_llS4_llS2_PT12_llPT13_lli ; -- Begin function _ZN12_GLOBAL__N_127rocblas_gemm_batched_kernelIDF16_Li16ELi16ELi64ELi64ELi4ELi64ELi4ELi4ELi64ELc78ELc78EKDF16_S1_DF16_EEvlllT_PT11_llS4_llS2_PT12_llPT13_lli
	.p2align	8
	.type	_ZN12_GLOBAL__N_127rocblas_gemm_batched_kernelIDF16_Li16ELi16ELi64ELi64ELi4ELi64ELi4ELi4ELi64ELc78ELc78EKDF16_S1_DF16_EEvlllT_PT11_llS4_llS2_PT12_llPT13_lli,@function
_ZN12_GLOBAL__N_127rocblas_gemm_batched_kernelIDF16_Li16ELi16ELi64ELi64ELi4ELi64ELi4ELi4ELi64ELc78ELc78EKDF16_S1_DF16_EEvlllT_PT11_llS4_llS2_PT12_llPT13_lli: ; @_ZN12_GLOBAL__N_127rocblas_gemm_batched_kernelIDF16_Li16ELi16ELi64ELi64ELi4ELi64ELi4ELi4ELi64ELc78ELc78EKDF16_S1_DF16_EEvlllT_PT11_llS4_llS2_PT12_llPT13_lli
; %bb.0:
	s_load_b32 s31, s[0:1], 0x88
	s_lshr_b32 s2, ttmp7, 16
	s_wait_kmcnt 0x0
	s_cmp_ge_i32 s2, s31
	s_cbranch_scc1 .LBB2_11
; %bb.1:
	v_and_b32_e32 v16, 0x3ff, v0
	v_bfe_u32 v8, v0, 10, 10
	s_clause 0x5
	s_load_b256 s[4:11], s[0:1], 0x58
	s_load_b96 s[28:30], s[0:1], 0x10
	s_load_b256 s[12:19], s[0:1], 0x20
	s_load_b128 s[20:23], s[0:1], 0x78
	s_load_b128 s[24:27], s[0:1], 0x40
	s_load_b32 s1, s[0:1], 0x50
	v_lshlrev_b32_e32 v0, 1, v0
	s_lshl_b32 s0, ttmp7, 6
	v_lshl_add_u32 v1, v8, 4, v16
	s_and_b32 s0, s0, 0x3fffc0
	s_mov_b32 s34, ttmp9
	v_and_b32_e32 v21, 6, v0
	v_add_nc_u32_e32 v9, s0, v8
	v_and_b32_e32 v20, 63, v1
	v_lshrrev_b32_e32 v2, 2, v1
	v_lshrrev_b32_e32 v17, 6, v1
	s_ashr_i32 s35, ttmp9, 31
	v_lshl_add_u32 v15, v8, 3, 0x200
	v_lshlrev_b32_e32 v3, 1, v20
	v_lshl_or_b32 v4, v2, 3, v21
	v_add_nc_u32_e32 v10, s0, v2
	s_lshl_b64 s[34:35], s[34:35], 6
	s_wait_kmcnt 0x0
	v_mad_co_u64_u32 v[0:1], null, v9, s6, 0
	v_lshl_or_b32 v12, v17, 7, v3
	v_add_nc_u32_e32 v13, 0x200, v4
	v_mad_co_u64_u32 v[4:5], null, v9, s20, 0
	v_mad_co_u64_u32 v[2:3], null, s24, v10, 0
	s_cmp_eq_f16 s1, 0
	s_mov_b32 s3, 0
	s_cselect_b32 s24, -1, 0
	v_mad_co_u64_u32 v[6:7], null, v9, s7, v[1:2]
	v_mov_b32_e32 v1, v5
	v_mad_co_u64_u32 v[10:11], null, s25, v10, v[3:4]
	v_lshlrev_b32_e32 v14, 1, v16
	v_add_co_u32 v18, s0, s34, v16
	s_delay_alu instid0(VALU_DEP_4)
	v_mad_co_u64_u32 v[7:8], null, v9, s21, v[1:2]
	v_mad_co_u64_u32 v[8:9], null, s14, v17, s[34:35]
	v_mov_b32_e32 v1, v6
	v_mov_b32_e32 v3, v10
	s_wait_alu 0xf1ff
	v_add_co_ci_u32_e64 v19, null, s35, 0, s0
	v_mov_b32_e32 v5, v7
	v_lshlrev_b64_e32 v[0:1], 1, v[0:1]
	v_mov_b32_e32 v6, v9
	v_cmp_gt_i64_e64 s0, s[28:29], 0
	s_lshl_b64 s[20:21], s[20:21], 4
	v_lshlrev_b64_e32 v[4:5], 1, v[4:5]
	s_lshl_b64 s[34:35], s[6:7], 4
	v_mad_co_u64_u32 v[6:7], null, s15, v17, v[6:7]
	v_add_co_u32 v16, vcc_lo, s4, v0
	s_delay_alu instid0(VALU_DEP_1)
	v_add_co_ci_u32_e64 v17, null, s5, v1, vcc_lo
	v_lshlrev_b64_e32 v[0:1], 1, v[2:3]
	v_add_co_u32 v2, vcc_lo, v8, v20
	s_wait_alu 0xfffd
	v_add_co_ci_u32_e64 v3, null, 0, v6, vcc_lo
	v_cndmask_b32_e64 v8, 0, 1, s0
	s_delay_alu instid0(VALU_DEP_4) | instskip(NEXT) | instid1(VALU_DEP_3)
	v_add_co_u32 v0, vcc_lo, v0, v21
	v_lshlrev_b64_e32 v[2:3], 1, v[2:3]
	s_wait_alu 0xfffd
	v_add_co_ci_u32_e64 v1, null, 0, v1, vcc_lo
	s_delay_alu instid0(VALU_DEP_3) | instskip(SKIP_2) | instid1(VALU_DEP_3)
	v_add_co_u32 v0, vcc_lo, s18, v0
	v_lshlrev_b64_e32 v[6:7], 1, v[18:19]
	s_wait_alu 0xfffd
	v_add_co_ci_u32_e64 v1, null, s19, v1, vcc_lo
	v_add_co_u32 v2, vcc_lo, s12, v2
	s_wait_alu 0xfffd
	v_add_co_ci_u32_e64 v3, null, s13, v3, vcc_lo
	v_cmp_ne_u32_e64 s0, 1, v8
	s_lshl_b64 s[4:5], s[26:27], 1
	s_lshl_b64 s[6:7], s[16:17], 1
	;; [unrolled: 1-line block ×3, first 2 shown]
	s_wait_alu 0xfffe
	s_lshl_b64 s[14:15], s[34:35], 1
	s_lshl_b64 s[16:17], s[20:21], 1
	s_branch .LBB2_3
.LBB2_2:                                ;   in Loop: Header=BB2_3 Depth=1
	s_add_co_i32 s2, s2, 0x10000
	s_wait_alu 0xfffe
	s_cmp_lt_i32 s2, s31
	s_cbranch_scc0 .LBB2_11
.LBB2_3:                                ; =>This Loop Header: Depth=1
                                        ;     Child Loop BB2_5 Depth 2
	s_and_b32 vcc_lo, exec_lo, s0
	s_wait_alu 0xfffe
	s_cbranch_vccnz .LBB2_6
; %bb.4:                                ;   in Loop: Header=BB2_3 Depth=1
	v_mad_co_u64_u32 v[8:9], null, s4, s2, v[0:1]
	v_mad_co_u64_u32 v[10:11], null, s6, s2, v[2:3]
	v_dual_mov_b32 v18, 0 :: v_dual_mov_b32 v19, 0
	v_dual_mov_b32 v20, 0 :: v_dual_mov_b32 v21, 0
	;; [unrolled: 1-line block ×3, first 2 shown]
	s_delay_alu instid0(VALU_DEP_4) | instskip(SKIP_3) | instid1(VALU_DEP_3)
	v_mad_co_u64_u32 v[25:26], null, s5, s2, v[9:10]
	v_mad_co_u64_u32 v[26:27], null, s7, s2, v[11:12]
	v_mov_b32_e32 v24, 0
	s_mov_b64 s[18:19], 0
	v_mov_b32_e32 v9, v25
	v_mov_b32_e32 v25, 0
	s_delay_alu instid0(VALU_DEP_4)
	v_mov_b32_e32 v11, v26
.LBB2_5:                                ;   Parent Loop BB2_3 Depth=1
                                        ; =>  This Inner Loop Header: Depth=2
	global_load_u16 v26, v[10:11], off
	global_load_u16 v27, v[8:9], off
	s_wait_alu 0xfffe
	s_add_nc_u64 s[18:19], s[18:19], 4
	v_add_co_u32 v8, vcc_lo, v8, 8
	s_wait_alu 0xfffe
	v_cmp_lt_i64_e64 s20, s[18:19], s[28:29]
	s_wait_alu 0xfffd
	v_add_co_ci_u32_e64 v9, null, 0, v9, vcc_lo
	v_add_co_u32 v10, vcc_lo, v10, s12
	s_wait_alu 0xfffd
	v_add_co_ci_u32_e64 v11, null, s13, v11, vcc_lo
	s_and_b32 vcc_lo, exec_lo, s20
	s_wait_loadcnt 0x1
	ds_store_b16 v12, v26
	s_wait_loadcnt 0x0
	ds_store_b16 v13, v27
	s_wait_dscnt 0x0
	s_barrier_signal -1
	s_barrier_wait -1
	global_inv scope:SCOPE_SE
	ds_load_u16 v34, v14 offset:32
	ds_load_u16 v35, v14 offset:96
	;; [unrolled: 1-line block ×8, first 2 shown]
	ds_load_2addr_b64 v[26:29], v15 offset1:16
	ds_load_2addr_b64 v[30:33], v15 offset0:32 offset1:48
	s_wait_dscnt 0x9
	ds_load_u16_d16_hi v34, v14
	s_wait_dscnt 0x9
	ds_load_u16_d16_hi v35, v14 offset:64
	s_wait_dscnt 0x9
	ds_load_u16_d16_hi v36, v14 offset:128
	;; [unrolled: 2-line block ×7, first 2 shown]
	s_wait_loadcnt_dscnt 0x0
	s_barrier_signal -1
	s_barrier_wait -1
	global_inv scope:SCOPE_SE
	v_pk_fma_f16 v25, v34, v26, v25 op_sel_hi:[1,0,1]
	v_pk_fma_f16 v24, v35, v26, v24 op_sel_hi:[1,0,1]
	;; [unrolled: 1-line block ×8, first 2 shown]
	v_pk_fma_f16 v25, v36, v26, v25 op_sel:[0,1,0]
	v_pk_fma_f16 v24, v37, v26, v24 op_sel:[0,1,0]
	;; [unrolled: 1-line block ×8, first 2 shown]
	v_pk_fma_f16 v25, v38, v27, v25 op_sel_hi:[1,0,1]
	v_pk_fma_f16 v24, v39, v27, v24 op_sel_hi:[1,0,1]
	;; [unrolled: 1-line block ×8, first 2 shown]
	v_pk_fma_f16 v25, v40, v27, v25 op_sel:[0,1,0]
	v_pk_fma_f16 v24, v41, v27, v24 op_sel:[0,1,0]
	;; [unrolled: 1-line block ×8, first 2 shown]
	s_wait_alu 0xfffe
	s_cbranch_vccnz .LBB2_5
	s_branch .LBB2_7
.LBB2_6:                                ;   in Loop: Header=BB2_3 Depth=1
	v_dual_mov_b32 v25, 0 :: v_dual_mov_b32 v24, 0
	v_dual_mov_b32 v23, 0 :: v_dual_mov_b32 v22, 0
	;; [unrolled: 1-line block ×4, first 2 shown]
.LBB2_7:                                ;   in Loop: Header=BB2_3 Depth=1
	s_mul_u64 s[18:19], s[22:23], s[2:3]
	v_lshrrev_b32_e32 v29, 16, v25
	v_lshrrev_b32_e32 v28, 16, v24
	;; [unrolled: 1-line block ×8, first 2 shown]
	s_wait_alu 0xfffe
	s_lshl_b64 s[18:19], s[18:19], 1
	s_and_not1_b32 vcc_lo, exec_lo, s24
	s_wait_alu 0xfffe
	s_add_nc_u64 s[18:19], s[10:11], s[18:19]
	s_cbranch_vccnz .LBB2_9
; %bb.8:                                ;   in Loop: Header=BB2_3 Depth=1
	s_wait_alu 0xfffe
	v_add_co_u32 v32, vcc_lo, s18, v4
	s_wait_alu 0xfffd
	v_add_co_ci_u32_e64 v33, null, s19, v5, vcc_lo
	v_mul_f16_e32 v34, s30, v29
	s_delay_alu instid0(VALU_DEP_3) | instskip(SKIP_1) | instid1(VALU_DEP_3)
	v_add_co_u32 v30, vcc_lo, v32, v6
	s_wait_alu 0xfffd
	v_add_co_ci_u32_e64 v31, null, v33, v7, vcc_lo
	v_add_co_u32 v32, vcc_lo, v32, s16
	v_mul_f16_e32 v35, s30, v25
	v_mul_f16_e32 v36, s30, v28
	s_wait_alu 0xfffd
	v_add_co_ci_u32_e64 v33, null, s17, v33, vcc_lo
	v_mul_f16_e32 v37, s30, v24
	s_clause 0x3
	global_store_b16 v[30:31], v34, off
	global_store_b16 v[30:31], v35, off offset:32
	global_store_b16 v[30:31], v36, off offset:64
	;; [unrolled: 1-line block ×3, first 2 shown]
	v_add_co_u32 v30, vcc_lo, v32, v6
	s_wait_alu 0xfffd
	v_add_co_ci_u32_e64 v31, null, v33, v7, vcc_lo
	v_add_co_u32 v38, vcc_lo, v32, s16
	s_wait_alu 0xfffd
	v_add_co_ci_u32_e64 v39, null, s17, v33, vcc_lo
	v_mul_f16_e32 v34, s30, v27
	v_mul_f16_e32 v35, s30, v23
	;; [unrolled: 1-line block ×3, first 2 shown]
	v_add_co_u32 v32, vcc_lo, v38, v6
	v_mul_f16_e32 v37, s30, v22
	v_mul_f16_e32 v40, s30, v11
	s_wait_alu 0xfffd
	v_add_co_ci_u32_e64 v33, null, v39, v7, vcc_lo
	v_mul_f16_e32 v41, s30, v21
	v_mul_f16_e32 v42, s30, v10
	;; [unrolled: 1-line block ×3, first 2 shown]
	s_clause 0x7
	global_store_b16 v[30:31], v34, off
	global_store_b16 v[30:31], v35, off offset:32
	global_store_b16 v[30:31], v36, off offset:64
	;; [unrolled: 1-line block ×3, first 2 shown]
	global_store_b16 v[32:33], v40, off
	global_store_b16 v[32:33], v41, off offset:32
	global_store_b16 v[32:33], v42, off offset:64
	;; [unrolled: 1-line block ×3, first 2 shown]
	v_add_co_u32 v30, vcc_lo, v38, s16
	s_wait_alu 0xfffd
	v_add_co_ci_u32_e64 v31, null, s17, v39, vcc_lo
	v_mul_f16_e32 v32, s30, v9
	s_delay_alu instid0(VALU_DEP_3) | instskip(SKIP_1) | instid1(VALU_DEP_3)
	v_add_co_u32 v30, vcc_lo, v30, v6
	s_wait_alu 0xfffd
	v_add_co_ci_u32_e64 v31, null, v31, v7, vcc_lo
	v_mul_f16_e32 v33, s30, v19
	v_mul_f16_e32 v34, s30, v8
	;; [unrolled: 1-line block ×3, first 2 shown]
	s_clause 0x3
	global_store_b16 v[30:31], v32, off
	global_store_b16 v[30:31], v33, off offset:32
	global_store_b16 v[30:31], v34, off offset:64
	;; [unrolled: 1-line block ×3, first 2 shown]
	s_cbranch_execnz .LBB2_2
	s_branch .LBB2_10
.LBB2_9:                                ;   in Loop: Header=BB2_3 Depth=1
.LBB2_10:                               ;   in Loop: Header=BB2_3 Depth=1
	s_mul_u64 s[20:21], s[8:9], s[2:3]
	s_wait_alu 0xfffe
	s_lshl_b64 s[20:21], s[20:21], 1
	s_wait_alu 0xfffe
	v_add_co_u32 v34, vcc_lo, v16, s20
	s_wait_alu 0xfffd
	v_add_co_ci_u32_e64 v35, null, s21, v17, vcc_lo
	s_delay_alu instid0(VALU_DEP_2) | instskip(SKIP_1) | instid1(VALU_DEP_2)
	v_add_co_u32 v30, vcc_lo, v34, v6
	s_wait_alu 0xfffd
	v_add_co_ci_u32_e64 v31, null, v35, v7, vcc_lo
	v_add_co_u32 v36, vcc_lo, s18, v4
	s_wait_alu 0xfffd
	v_add_co_ci_u32_e64 v37, null, s19, v5, vcc_lo
	global_load_u16 v32, v[30:31], off
	s_wait_loadcnt 0x0
	v_mul_f16_e32 v38, s1, v32
	v_add_co_u32 v32, vcc_lo, v36, v6
	s_wait_alu 0xfffd
	v_add_co_ci_u32_e64 v33, null, v37, v7, vcc_lo
	s_delay_alu instid0(VALU_DEP_3) | instskip(SKIP_4) | instid1(VALU_DEP_1)
	v_fmac_f16_e32 v38, s30, v29
	global_store_b16 v[32:33], v38, off
	global_load_u16 v29, v[30:31], off offset:32
	s_wait_loadcnt 0x0
	v_mul_f16_e32 v29, s1, v29
	v_fmac_f16_e32 v29, s30, v25
	global_store_b16 v[32:33], v29, off offset:32
	global_load_u16 v25, v[30:31], off offset:64
	s_wait_loadcnt 0x0
	v_mul_f16_e32 v25, s1, v25
	s_delay_alu instid0(VALU_DEP_1)
	v_fmac_f16_e32 v25, s30, v28
	global_store_b16 v[32:33], v25, off offset:64
	global_load_u16 v25, v[30:31], off offset:96
	v_add_co_u32 v30, vcc_lo, v34, s14
	s_wait_alu 0xfffd
	v_add_co_ci_u32_e64 v31, null, s15, v35, vcc_lo
	s_wait_loadcnt 0x0
	v_mul_f16_e32 v28, s1, v25
	s_delay_alu instid0(VALU_DEP_1)
	v_fmac_f16_e32 v28, s30, v24
	v_add_co_u32 v24, vcc_lo, v30, v6
	s_wait_alu 0xfffd
	v_add_co_ci_u32_e64 v25, null, v31, v7, vcc_lo
	global_store_b16 v[32:33], v28, off offset:96
	v_add_co_u32 v32, vcc_lo, v36, s16
	global_load_u16 v28, v[24:25], off
	s_wait_alu 0xfffd
	v_add_co_ci_u32_e64 v33, null, s17, v37, vcc_lo
	s_wait_loadcnt 0x0
	v_mul_f16_e32 v34, s1, v28
	v_add_co_u32 v28, vcc_lo, v32, v6
	s_wait_alu 0xfffd
	v_add_co_ci_u32_e64 v29, null, v33, v7, vcc_lo
	s_delay_alu instid0(VALU_DEP_3) | instskip(SKIP_4) | instid1(VALU_DEP_1)
	v_fmac_f16_e32 v34, s30, v27
	global_store_b16 v[28:29], v34, off
	global_load_u16 v27, v[24:25], off offset:32
	s_wait_loadcnt 0x0
	v_mul_f16_e32 v27, s1, v27
	v_fmac_f16_e32 v27, s30, v23
	global_store_b16 v[28:29], v27, off offset:32
	global_load_u16 v23, v[24:25], off offset:64
	s_wait_loadcnt 0x0
	v_mul_f16_e32 v23, s1, v23
	s_delay_alu instid0(VALU_DEP_1)
	v_fmac_f16_e32 v23, s30, v26
	v_add_co_u32 v26, vcc_lo, v30, s14
	s_wait_alu 0xfffd
	v_add_co_ci_u32_e64 v27, null, s15, v31, vcc_lo
	global_store_b16 v[28:29], v23, off offset:64
	global_load_u16 v23, v[24:25], off offset:96
	s_wait_loadcnt 0x0
	v_mul_f16_e32 v24, s1, v23
	s_delay_alu instid0(VALU_DEP_1)
	v_fmac_f16_e32 v24, s30, v22
	v_add_co_u32 v22, vcc_lo, v26, v6
	s_wait_alu 0xfffd
	v_add_co_ci_u32_e64 v23, null, v27, v7, vcc_lo
	global_store_b16 v[28:29], v24, off offset:96
	v_add_co_u32 v28, vcc_lo, v32, s16
	global_load_u16 v24, v[22:23], off
	s_wait_alu 0xfffd
	v_add_co_ci_u32_e64 v29, null, s17, v33, vcc_lo
	s_wait_loadcnt 0x0
	v_mul_f16_e32 v30, s1, v24
	v_add_co_u32 v24, vcc_lo, v28, v6
	s_wait_alu 0xfffd
	v_add_co_ci_u32_e64 v25, null, v29, v7, vcc_lo
	s_delay_alu instid0(VALU_DEP_3) | instskip(SKIP_4) | instid1(VALU_DEP_1)
	v_fmac_f16_e32 v30, s30, v11
	global_store_b16 v[24:25], v30, off
	global_load_u16 v11, v[22:23], off offset:32
	s_wait_loadcnt 0x0
	v_mul_f16_e32 v11, s1, v11
	v_fmac_f16_e32 v11, s30, v21
	global_store_b16 v[24:25], v11, off offset:32
	global_load_u16 v11, v[22:23], off offset:64
	s_wait_loadcnt 0x0
	v_mul_f16_e32 v11, s1, v11
	s_delay_alu instid0(VALU_DEP_1)
	v_fmac_f16_e32 v11, s30, v10
	global_store_b16 v[24:25], v11, off offset:64
	global_load_u16 v10, v[22:23], off offset:96
	s_wait_loadcnt 0x0
	v_mul_f16_e32 v21, s1, v10
	v_add_co_u32 v10, vcc_lo, v26, s14
	s_wait_alu 0xfffd
	v_add_co_ci_u32_e64 v11, null, s15, v27, vcc_lo
	s_delay_alu instid0(VALU_DEP_3) | instskip(NEXT) | instid1(VALU_DEP_3)
	v_fmac_f16_e32 v21, s30, v20
	v_add_co_u32 v10, vcc_lo, v10, v6
	s_wait_alu 0xfffd
	s_delay_alu instid0(VALU_DEP_3)
	v_add_co_ci_u32_e64 v11, null, v11, v7, vcc_lo
	global_store_b16 v[24:25], v21, off offset:96
	global_load_u16 v20, v[10:11], off
	s_wait_loadcnt 0x0
	v_mul_f16_e32 v22, s1, v20
	v_add_co_u32 v20, vcc_lo, v28, s16
	s_wait_alu 0xfffd
	v_add_co_ci_u32_e64 v21, null, s17, v29, vcc_lo
	s_delay_alu instid0(VALU_DEP_3) | instskip(NEXT) | instid1(VALU_DEP_3)
	v_fmac_f16_e32 v22, s30, v9
	v_add_co_u32 v20, vcc_lo, v20, v6
	s_wait_alu 0xfffd
	s_delay_alu instid0(VALU_DEP_3) | instskip(SKIP_4) | instid1(VALU_DEP_1)
	v_add_co_ci_u32_e64 v21, null, v21, v7, vcc_lo
	global_store_b16 v[20:21], v22, off
	global_load_u16 v9, v[10:11], off offset:32
	s_wait_loadcnt 0x0
	v_mul_f16_e32 v9, s1, v9
	v_fmac_f16_e32 v9, s30, v19
	global_store_b16 v[20:21], v9, off offset:32
	global_load_u16 v9, v[10:11], off offset:64
	s_wait_loadcnt 0x0
	v_mul_f16_e32 v9, s1, v9
	s_delay_alu instid0(VALU_DEP_1) | instskip(SKIP_4) | instid1(VALU_DEP_1)
	v_fmac_f16_e32 v9, s30, v8
	global_store_b16 v[20:21], v9, off offset:64
	global_load_u16 v8, v[10:11], off offset:96
	s_wait_loadcnt 0x0
	v_mul_f16_e32 v8, s1, v8
	v_fmac_f16_e32 v8, s30, v18
	global_store_b16 v[20:21], v8, off offset:96
	s_branch .LBB2_2
.LBB2_11:
	s_endpgm
	.section	.rodata,"a",@progbits
	.p2align	6, 0x0
	.amdhsa_kernel _ZN12_GLOBAL__N_127rocblas_gemm_batched_kernelIDF16_Li16ELi16ELi64ELi64ELi4ELi64ELi4ELi4ELi64ELc78ELc78EKDF16_S1_DF16_EEvlllT_PT11_llS4_llS2_PT12_llPT13_lli
		.amdhsa_group_segment_fixed_size 1024
		.amdhsa_private_segment_fixed_size 0
		.amdhsa_kernarg_size 140
		.amdhsa_user_sgpr_count 2
		.amdhsa_user_sgpr_dispatch_ptr 0
		.amdhsa_user_sgpr_queue_ptr 0
		.amdhsa_user_sgpr_kernarg_segment_ptr 1
		.amdhsa_user_sgpr_dispatch_id 0
		.amdhsa_user_sgpr_private_segment_size 0
		.amdhsa_wavefront_size32 1
		.amdhsa_uses_dynamic_stack 0
		.amdhsa_enable_private_segment 0
		.amdhsa_system_sgpr_workgroup_id_x 1
		.amdhsa_system_sgpr_workgroup_id_y 1
		.amdhsa_system_sgpr_workgroup_id_z 1
		.amdhsa_system_sgpr_workgroup_info 0
		.amdhsa_system_vgpr_workitem_id 1
		.amdhsa_next_free_vgpr 44
		.amdhsa_next_free_sgpr 36
		.amdhsa_reserve_vcc 1
		.amdhsa_float_round_mode_32 0
		.amdhsa_float_round_mode_16_64 0
		.amdhsa_float_denorm_mode_32 3
		.amdhsa_float_denorm_mode_16_64 3
		.amdhsa_fp16_overflow 0
		.amdhsa_workgroup_processor_mode 1
		.amdhsa_memory_ordered 1
		.amdhsa_forward_progress 1
		.amdhsa_inst_pref_size 22
		.amdhsa_round_robin_scheduling 0
		.amdhsa_exception_fp_ieee_invalid_op 0
		.amdhsa_exception_fp_denorm_src 0
		.amdhsa_exception_fp_ieee_div_zero 0
		.amdhsa_exception_fp_ieee_overflow 0
		.amdhsa_exception_fp_ieee_underflow 0
		.amdhsa_exception_fp_ieee_inexact 0
		.amdhsa_exception_int_div_zero 0
	.end_amdhsa_kernel
	.section	.text._ZN12_GLOBAL__N_127rocblas_gemm_batched_kernelIDF16_Li16ELi16ELi64ELi64ELi4ELi64ELi4ELi4ELi64ELc78ELc78EKDF16_S1_DF16_EEvlllT_PT11_llS4_llS2_PT12_llPT13_lli,"axG",@progbits,_ZN12_GLOBAL__N_127rocblas_gemm_batched_kernelIDF16_Li16ELi16ELi64ELi64ELi4ELi64ELi4ELi4ELi64ELc78ELc78EKDF16_S1_DF16_EEvlllT_PT11_llS4_llS2_PT12_llPT13_lli,comdat
.Lfunc_end2:
	.size	_ZN12_GLOBAL__N_127rocblas_gemm_batched_kernelIDF16_Li16ELi16ELi64ELi64ELi4ELi64ELi4ELi4ELi64ELc78ELc78EKDF16_S1_DF16_EEvlllT_PT11_llS4_llS2_PT12_llPT13_lli, .Lfunc_end2-_ZN12_GLOBAL__N_127rocblas_gemm_batched_kernelIDF16_Li16ELi16ELi64ELi64ELi4ELi64ELi4ELi4ELi64ELc78ELc78EKDF16_S1_DF16_EEvlllT_PT11_llS4_llS2_PT12_llPT13_lli
                                        ; -- End function
	.set _ZN12_GLOBAL__N_127rocblas_gemm_batched_kernelIDF16_Li16ELi16ELi64ELi64ELi4ELi64ELi4ELi4ELi64ELc78ELc78EKDF16_S1_DF16_EEvlllT_PT11_llS4_llS2_PT12_llPT13_lli.num_vgpr, 44
	.set _ZN12_GLOBAL__N_127rocblas_gemm_batched_kernelIDF16_Li16ELi16ELi64ELi64ELi4ELi64ELi4ELi4ELi64ELc78ELc78EKDF16_S1_DF16_EEvlllT_PT11_llS4_llS2_PT12_llPT13_lli.num_agpr, 0
	.set _ZN12_GLOBAL__N_127rocblas_gemm_batched_kernelIDF16_Li16ELi16ELi64ELi64ELi4ELi64ELi4ELi4ELi64ELc78ELc78EKDF16_S1_DF16_EEvlllT_PT11_llS4_llS2_PT12_llPT13_lli.numbered_sgpr, 36
	.set _ZN12_GLOBAL__N_127rocblas_gemm_batched_kernelIDF16_Li16ELi16ELi64ELi64ELi4ELi64ELi4ELi4ELi64ELc78ELc78EKDF16_S1_DF16_EEvlllT_PT11_llS4_llS2_PT12_llPT13_lli.num_named_barrier, 0
	.set _ZN12_GLOBAL__N_127rocblas_gemm_batched_kernelIDF16_Li16ELi16ELi64ELi64ELi4ELi64ELi4ELi4ELi64ELc78ELc78EKDF16_S1_DF16_EEvlllT_PT11_llS4_llS2_PT12_llPT13_lli.private_seg_size, 0
	.set _ZN12_GLOBAL__N_127rocblas_gemm_batched_kernelIDF16_Li16ELi16ELi64ELi64ELi4ELi64ELi4ELi4ELi64ELc78ELc78EKDF16_S1_DF16_EEvlllT_PT11_llS4_llS2_PT12_llPT13_lli.uses_vcc, 1
	.set _ZN12_GLOBAL__N_127rocblas_gemm_batched_kernelIDF16_Li16ELi16ELi64ELi64ELi4ELi64ELi4ELi4ELi64ELc78ELc78EKDF16_S1_DF16_EEvlllT_PT11_llS4_llS2_PT12_llPT13_lli.uses_flat_scratch, 0
	.set _ZN12_GLOBAL__N_127rocblas_gemm_batched_kernelIDF16_Li16ELi16ELi64ELi64ELi4ELi64ELi4ELi4ELi64ELc78ELc78EKDF16_S1_DF16_EEvlllT_PT11_llS4_llS2_PT12_llPT13_lli.has_dyn_sized_stack, 0
	.set _ZN12_GLOBAL__N_127rocblas_gemm_batched_kernelIDF16_Li16ELi16ELi64ELi64ELi4ELi64ELi4ELi4ELi64ELc78ELc78EKDF16_S1_DF16_EEvlllT_PT11_llS4_llS2_PT12_llPT13_lli.has_recursion, 0
	.set _ZN12_GLOBAL__N_127rocblas_gemm_batched_kernelIDF16_Li16ELi16ELi64ELi64ELi4ELi64ELi4ELi4ELi64ELc78ELc78EKDF16_S1_DF16_EEvlllT_PT11_llS4_llS2_PT12_llPT13_lli.has_indirect_call, 0
	.section	.AMDGPU.csdata,"",@progbits
; Kernel info:
; codeLenInByte = 2744
; TotalNumSgprs: 38
; NumVgprs: 44
; ScratchSize: 0
; MemoryBound: 0
; FloatMode: 240
; IeeeMode: 1
; LDSByteSize: 1024 bytes/workgroup (compile time only)
; SGPRBlocks: 0
; VGPRBlocks: 5
; NumSGPRsForWavesPerEU: 38
; NumVGPRsForWavesPerEU: 44
; Occupancy: 16
; WaveLimiterHint : 0
; COMPUTE_PGM_RSRC2:SCRATCH_EN: 0
; COMPUTE_PGM_RSRC2:USER_SGPR: 2
; COMPUTE_PGM_RSRC2:TRAP_HANDLER: 0
; COMPUTE_PGM_RSRC2:TGID_X_EN: 1
; COMPUTE_PGM_RSRC2:TGID_Y_EN: 1
; COMPUTE_PGM_RSRC2:TGID_Z_EN: 1
; COMPUTE_PGM_RSRC2:TIDIG_COMP_CNT: 1
	.section	.text._ZN12_GLOBAL__N_127rocblas_gemm_batched_kernelIDF16_Li16ELi16ELi64ELi64ELi4ELi64ELi4ELi4ELi64ELc84ELc78EKDF16_S1_DF16_EEvlllT_PT11_llS4_llS2_PT12_llPT13_lli,"axG",@progbits,_ZN12_GLOBAL__N_127rocblas_gemm_batched_kernelIDF16_Li16ELi16ELi64ELi64ELi4ELi64ELi4ELi4ELi64ELc84ELc78EKDF16_S1_DF16_EEvlllT_PT11_llS4_llS2_PT12_llPT13_lli,comdat
	.globl	_ZN12_GLOBAL__N_127rocblas_gemm_batched_kernelIDF16_Li16ELi16ELi64ELi64ELi4ELi64ELi4ELi4ELi64ELc84ELc78EKDF16_S1_DF16_EEvlllT_PT11_llS4_llS2_PT12_llPT13_lli ; -- Begin function _ZN12_GLOBAL__N_127rocblas_gemm_batched_kernelIDF16_Li16ELi16ELi64ELi64ELi4ELi64ELi4ELi4ELi64ELc84ELc78EKDF16_S1_DF16_EEvlllT_PT11_llS4_llS2_PT12_llPT13_lli
	.p2align	8
	.type	_ZN12_GLOBAL__N_127rocblas_gemm_batched_kernelIDF16_Li16ELi16ELi64ELi64ELi4ELi64ELi4ELi4ELi64ELc84ELc78EKDF16_S1_DF16_EEvlllT_PT11_llS4_llS2_PT12_llPT13_lli,@function
_ZN12_GLOBAL__N_127rocblas_gemm_batched_kernelIDF16_Li16ELi16ELi64ELi64ELi4ELi64ELi4ELi4ELi64ELc84ELc78EKDF16_S1_DF16_EEvlllT_PT11_llS4_llS2_PT12_llPT13_lli: ; @_ZN12_GLOBAL__N_127rocblas_gemm_batched_kernelIDF16_Li16ELi16ELi64ELi64ELi4ELi64ELi4ELi4ELi64ELc84ELc78EKDF16_S1_DF16_EEvlllT_PT11_llS4_llS2_PT12_llPT13_lli
; %bb.0:
	s_load_b32 s27, s[0:1], 0x88
	s_lshr_b32 s28, ttmp7, 16
	s_wait_kmcnt 0x0
	s_cmp_ge_i32 s28, s27
	s_cbranch_scc1 .LBB3_11
; %bb.1:
	v_and_b32_e32 v10, 0x3ff, v0
	v_bfe_u32 v8, v0, 10, 10
	s_clause 0x5
	s_load_b256 s[4:11], s[0:1], 0x58
	s_load_b96 s[24:26], s[0:1], 0x10
	s_load_b256 s[12:19], s[0:1], 0x20
	s_load_b128 s[20:23], s[0:1], 0x40
	s_load_b32 s30, s[0:1], 0x50
	s_load_b128 s[0:3], s[0:1], 0x78
	v_lshlrev_b32_e32 v0, 1, v0
	s_lshl_b32 s29, ttmp7, 6
	v_lshl_add_u32 v1, v8, 4, v10
	s_and_b32 s29, s29, 0x3fffc0
	s_mov_b32 s34, ttmp9
	v_and_b32_e32 v18, 6, v0
	v_add_nc_u32_e32 v9, s29, v8
	v_and_b32_e32 v11, 63, v1
	v_lshrrev_b32_e32 v2, 2, v1
	v_lshrrev_b32_e32 v19, 6, v1
	s_ashr_i32 s35, ttmp9, 31
	v_lshl_add_u32 v15, v8, 3, 0x200
	v_lshlrev_b32_e32 v3, 1, v11
	v_lshl_or_b32 v4, v2, 3, v18
	v_add_nc_u32_e32 v16, s29, v2
	s_lshl_b64 s[34:35], s[34:35], 6
	s_wait_kmcnt 0x0
	v_mad_co_u64_u32 v[0:1], null, v9, s6, 0
	v_lshl_or_b32 v12, v19, 7, v3
	v_add_nc_u32_e32 v13, 0x200, v4
	v_mad_co_u64_u32 v[4:5], null, v9, s0, 0
	v_mad_co_u64_u32 v[2:3], null, s20, v16, 0
	s_cmp_eq_f16 s30, 0
	s_mov_b32 s29, 0
	s_cselect_b32 s20, -1, 0
	s_lshl_b64 s[36:37], s[0:1], 4
	v_mad_co_u64_u32 v[6:7], null, v9, s7, v[1:2]
	v_mov_b32_e32 v1, v5
	s_mul_i32 s0, s14, s35
	v_lshlrev_b32_e32 v14, 1, v10
	s_lshl_b64 s[38:39], s[6:7], 4
	s_lshl_b64 s[6:7], s[16:17], 1
	v_mad_co_u64_u32 v[7:8], null, v9, s1, v[1:2]
	v_mad_co_u64_u32 v[8:9], null, s21, v16, v[3:4]
	v_mov_b32_e32 v1, v6
	v_or_b32_e32 v6, s34, v11
	v_add_co_u32 v9, s21, s34, v10
	v_mov_b32_e32 v5, v7
	s_delay_alu instid0(VALU_DEP_4)
	v_lshlrev_b64_e32 v[0:1], 1, v[0:1]
	v_mov_b32_e32 v3, v8
	v_mul_lo_u32 v8, s15, v6
	v_mad_co_u64_u32 v[6:7], null, s14, v6, 0
	s_wait_alu 0xf1ff
	v_add_co_ci_u32_e64 v10, null, s35, 0, s21
	v_lshlrev_b64_e32 v[2:3], 1, v[2:3]
	v_add_co_u32 v16, vcc_lo, s4, v0
	s_delay_alu instid0(VALU_DEP_1) | instskip(SKIP_2) | instid1(VALU_DEP_4)
	v_add_co_ci_u32_e64 v17, null, s5, v1, vcc_lo
	s_wait_alu 0xfffe
	v_add3_u32 v7, v7, s0, v8
	v_add_co_u32 v0, vcc_lo, v2, v18
	s_wait_alu 0xfffd
	v_add_co_ci_u32_e64 v1, null, 0, v3, vcc_lo
	s_delay_alu instid0(VALU_DEP_3)
	v_lshlrev_b64_e32 v[2:3], 1, v[6:7]
	v_lshlrev_b32_e32 v6, 1, v19
	v_cmp_gt_i64_e64 s0, s[24:25], 0
	v_add_co_u32 v0, vcc_lo, s18, v0
	s_wait_alu 0xfffd
	v_add_co_ci_u32_e64 v1, null, s19, v1, vcc_lo
	v_add_co_u32 v2, vcc_lo, v2, v6
	s_wait_alu 0xfffd
	v_add_co_ci_u32_e64 v3, null, 0, v3, vcc_lo
	s_wait_alu 0xf1ff
	v_cndmask_b32_e64 v8, 0, 1, s0
	v_add_co_u32 v2, vcc_lo, s12, v2
	v_lshlrev_b64_e32 v[4:5], 1, v[4:5]
	v_lshlrev_b64_e32 v[6:7], 1, v[9:10]
	s_wait_alu 0xfffd
	v_add_co_ci_u32_e64 v3, null, s13, v3, vcc_lo
	v_cmp_ne_u32_e64 s0, 1, v8
	s_lshl_b64 s[4:5], s[22:23], 1
	s_lshl_b64 s[12:13], s[38:39], 1
	;; [unrolled: 1-line block ×3, first 2 shown]
	s_branch .LBB3_3
.LBB3_2:                                ;   in Loop: Header=BB3_3 Depth=1
	s_add_co_i32 s28, s28, 0x10000
	s_wait_alu 0xfffe
	s_cmp_lt_i32 s28, s27
	s_cbranch_scc0 .LBB3_11
.LBB3_3:                                ; =>This Loop Header: Depth=1
                                        ;     Child Loop BB3_5 Depth 2
	s_and_b32 vcc_lo, exec_lo, s0
	s_wait_alu 0xfffe
	s_cbranch_vccnz .LBB3_6
; %bb.4:                                ;   in Loop: Header=BB3_3 Depth=1
	v_mad_co_u64_u32 v[8:9], null, s4, s28, v[0:1]
	v_mad_co_u64_u32 v[10:11], null, s6, s28, v[2:3]
	v_dual_mov_b32 v18, 0 :: v_dual_mov_b32 v19, 0
	v_dual_mov_b32 v20, 0 :: v_dual_mov_b32 v21, 0
	;; [unrolled: 1-line block ×3, first 2 shown]
	s_delay_alu instid0(VALU_DEP_4) | instskip(SKIP_3) | instid1(VALU_DEP_3)
	v_mad_co_u64_u32 v[25:26], null, s5, s28, v[9:10]
	v_mad_co_u64_u32 v[26:27], null, s7, s28, v[11:12]
	v_mov_b32_e32 v24, 0
	s_mov_b64 s[16:17], 0
	v_mov_b32_e32 v9, v25
	v_mov_b32_e32 v25, 0
	s_delay_alu instid0(VALU_DEP_4)
	v_mov_b32_e32 v11, v26
.LBB3_5:                                ;   Parent Loop BB3_3 Depth=1
                                        ; =>  This Inner Loop Header: Depth=2
	global_load_u16 v26, v[10:11], off
	global_load_u16 v27, v[8:9], off
	s_wait_alu 0xfffe
	s_add_nc_u64 s[16:17], s[16:17], 4
	v_add_co_u32 v8, vcc_lo, v8, 8
	s_wait_alu 0xfffe
	v_cmp_lt_i64_e64 s1, s[16:17], s[24:25]
	s_wait_alu 0xfffd
	v_add_co_ci_u32_e64 v9, null, 0, v9, vcc_lo
	v_add_co_u32 v10, vcc_lo, v10, 8
	s_wait_alu 0xfffd
	v_add_co_ci_u32_e64 v11, null, 0, v11, vcc_lo
	s_and_b32 vcc_lo, exec_lo, s1
	s_wait_loadcnt 0x1
	ds_store_b16 v12, v26
	s_wait_loadcnt 0x0
	ds_store_b16 v13, v27
	s_wait_dscnt 0x0
	s_barrier_signal -1
	s_barrier_wait -1
	global_inv scope:SCOPE_SE
	ds_load_u16 v34, v14 offset:32
	ds_load_u16 v35, v14 offset:96
	ds_load_u16 v36, v14 offset:160
	ds_load_u16 v37, v14 offset:224
	ds_load_u16 v38, v14 offset:288
	ds_load_u16 v39, v14 offset:352
	ds_load_u16 v40, v14 offset:416
	ds_load_u16 v41, v14 offset:480
	ds_load_2addr_b64 v[26:29], v15 offset1:16
	ds_load_2addr_b64 v[30:33], v15 offset0:32 offset1:48
	s_wait_dscnt 0x9
	ds_load_u16_d16_hi v34, v14
	s_wait_dscnt 0x9
	ds_load_u16_d16_hi v35, v14 offset:64
	s_wait_dscnt 0x9
	ds_load_u16_d16_hi v36, v14 offset:128
	;; [unrolled: 2-line block ×7, first 2 shown]
	s_wait_loadcnt_dscnt 0x0
	s_barrier_signal -1
	s_barrier_wait -1
	global_inv scope:SCOPE_SE
	v_pk_fma_f16 v25, v34, v26, v25 op_sel_hi:[1,0,1]
	v_pk_fma_f16 v24, v35, v26, v24 op_sel_hi:[1,0,1]
	;; [unrolled: 1-line block ×8, first 2 shown]
	v_pk_fma_f16 v25, v36, v26, v25 op_sel:[0,1,0]
	v_pk_fma_f16 v24, v37, v26, v24 op_sel:[0,1,0]
	;; [unrolled: 1-line block ×8, first 2 shown]
	v_pk_fma_f16 v25, v38, v27, v25 op_sel_hi:[1,0,1]
	v_pk_fma_f16 v24, v39, v27, v24 op_sel_hi:[1,0,1]
	;; [unrolled: 1-line block ×8, first 2 shown]
	v_pk_fma_f16 v25, v40, v27, v25 op_sel:[0,1,0]
	v_pk_fma_f16 v24, v41, v27, v24 op_sel:[0,1,0]
	;; [unrolled: 1-line block ×8, first 2 shown]
	s_wait_alu 0xfffe
	s_cbranch_vccnz .LBB3_5
	s_branch .LBB3_7
.LBB3_6:                                ;   in Loop: Header=BB3_3 Depth=1
	v_dual_mov_b32 v25, 0 :: v_dual_mov_b32 v24, 0
	v_dual_mov_b32 v23, 0 :: v_dual_mov_b32 v22, 0
	v_dual_mov_b32 v21, 0 :: v_dual_mov_b32 v20, 0
	v_dual_mov_b32 v19, 0 :: v_dual_mov_b32 v18, 0
.LBB3_7:                                ;   in Loop: Header=BB3_3 Depth=1
	s_mul_u64 s[16:17], s[2:3], s[28:29]
	v_lshrrev_b32_e32 v29, 16, v25
	v_lshrrev_b32_e32 v28, 16, v24
	;; [unrolled: 1-line block ×8, first 2 shown]
	s_wait_alu 0xfffe
	s_lshl_b64 s[16:17], s[16:17], 1
	s_and_not1_b32 vcc_lo, exec_lo, s20
	s_wait_alu 0xfffe
	s_add_nc_u64 s[16:17], s[10:11], s[16:17]
	s_cbranch_vccnz .LBB3_9
; %bb.8:                                ;   in Loop: Header=BB3_3 Depth=1
	s_wait_alu 0xfffe
	v_add_co_u32 v32, vcc_lo, s16, v4
	s_wait_alu 0xfffd
	v_add_co_ci_u32_e64 v33, null, s17, v5, vcc_lo
	v_mul_f16_e32 v34, s26, v29
	s_delay_alu instid0(VALU_DEP_3) | instskip(SKIP_1) | instid1(VALU_DEP_3)
	v_add_co_u32 v30, vcc_lo, v32, v6
	s_wait_alu 0xfffd
	v_add_co_ci_u32_e64 v31, null, v33, v7, vcc_lo
	v_add_co_u32 v32, vcc_lo, v32, s14
	v_mul_f16_e32 v35, s26, v25
	v_mul_f16_e32 v36, s26, v28
	s_wait_alu 0xfffd
	v_add_co_ci_u32_e64 v33, null, s15, v33, vcc_lo
	v_mul_f16_e32 v37, s26, v24
	s_clause 0x3
	global_store_b16 v[30:31], v34, off
	global_store_b16 v[30:31], v35, off offset:32
	global_store_b16 v[30:31], v36, off offset:64
	;; [unrolled: 1-line block ×3, first 2 shown]
	v_add_co_u32 v30, vcc_lo, v32, v6
	s_wait_alu 0xfffd
	v_add_co_ci_u32_e64 v31, null, v33, v7, vcc_lo
	v_add_co_u32 v38, vcc_lo, v32, s14
	s_wait_alu 0xfffd
	v_add_co_ci_u32_e64 v39, null, s15, v33, vcc_lo
	v_mul_f16_e32 v34, s26, v27
	v_mul_f16_e32 v35, s26, v23
	v_mul_f16_e32 v36, s26, v26
	v_add_co_u32 v32, vcc_lo, v38, v6
	v_mul_f16_e32 v37, s26, v22
	v_mul_f16_e32 v40, s26, v11
	s_wait_alu 0xfffd
	v_add_co_ci_u32_e64 v33, null, v39, v7, vcc_lo
	v_mul_f16_e32 v41, s26, v21
	v_mul_f16_e32 v42, s26, v10
	;; [unrolled: 1-line block ×3, first 2 shown]
	s_clause 0x7
	global_store_b16 v[30:31], v34, off
	global_store_b16 v[30:31], v35, off offset:32
	global_store_b16 v[30:31], v36, off offset:64
	;; [unrolled: 1-line block ×3, first 2 shown]
	global_store_b16 v[32:33], v40, off
	global_store_b16 v[32:33], v41, off offset:32
	global_store_b16 v[32:33], v42, off offset:64
	;; [unrolled: 1-line block ×3, first 2 shown]
	v_add_co_u32 v30, vcc_lo, v38, s14
	s_wait_alu 0xfffd
	v_add_co_ci_u32_e64 v31, null, s15, v39, vcc_lo
	v_mul_f16_e32 v32, s26, v9
	s_delay_alu instid0(VALU_DEP_3) | instskip(SKIP_1) | instid1(VALU_DEP_3)
	v_add_co_u32 v30, vcc_lo, v30, v6
	s_wait_alu 0xfffd
	v_add_co_ci_u32_e64 v31, null, v31, v7, vcc_lo
	v_mul_f16_e32 v33, s26, v19
	v_mul_f16_e32 v34, s26, v8
	;; [unrolled: 1-line block ×3, first 2 shown]
	s_clause 0x3
	global_store_b16 v[30:31], v32, off
	global_store_b16 v[30:31], v33, off offset:32
	global_store_b16 v[30:31], v34, off offset:64
	;; [unrolled: 1-line block ×3, first 2 shown]
	s_cbranch_execnz .LBB3_2
	s_branch .LBB3_10
.LBB3_9:                                ;   in Loop: Header=BB3_3 Depth=1
.LBB3_10:                               ;   in Loop: Header=BB3_3 Depth=1
	s_mul_u64 s[18:19], s[8:9], s[28:29]
	s_wait_alu 0xfffe
	s_lshl_b64 s[18:19], s[18:19], 1
	s_wait_alu 0xfffe
	v_add_co_u32 v34, vcc_lo, v16, s18
	s_wait_alu 0xfffd
	v_add_co_ci_u32_e64 v35, null, s19, v17, vcc_lo
	s_delay_alu instid0(VALU_DEP_2) | instskip(SKIP_1) | instid1(VALU_DEP_2)
	v_add_co_u32 v30, vcc_lo, v34, v6
	s_wait_alu 0xfffd
	v_add_co_ci_u32_e64 v31, null, v35, v7, vcc_lo
	v_add_co_u32 v36, vcc_lo, s16, v4
	s_wait_alu 0xfffd
	v_add_co_ci_u32_e64 v37, null, s17, v5, vcc_lo
	global_load_u16 v32, v[30:31], off
	s_wait_loadcnt 0x0
	v_mul_f16_e32 v38, s30, v32
	v_add_co_u32 v32, vcc_lo, v36, v6
	s_wait_alu 0xfffd
	v_add_co_ci_u32_e64 v33, null, v37, v7, vcc_lo
	s_delay_alu instid0(VALU_DEP_3) | instskip(SKIP_4) | instid1(VALU_DEP_1)
	v_fmac_f16_e32 v38, s26, v29
	global_store_b16 v[32:33], v38, off
	global_load_u16 v29, v[30:31], off offset:32
	s_wait_loadcnt 0x0
	v_mul_f16_e32 v29, s30, v29
	v_fmac_f16_e32 v29, s26, v25
	global_store_b16 v[32:33], v29, off offset:32
	global_load_u16 v25, v[30:31], off offset:64
	s_wait_loadcnt 0x0
	v_mul_f16_e32 v25, s30, v25
	s_delay_alu instid0(VALU_DEP_1)
	v_fmac_f16_e32 v25, s26, v28
	global_store_b16 v[32:33], v25, off offset:64
	global_load_u16 v25, v[30:31], off offset:96
	v_add_co_u32 v30, vcc_lo, v34, s12
	s_wait_alu 0xfffd
	v_add_co_ci_u32_e64 v31, null, s13, v35, vcc_lo
	s_wait_loadcnt 0x0
	v_mul_f16_e32 v28, s30, v25
	s_delay_alu instid0(VALU_DEP_1)
	v_fmac_f16_e32 v28, s26, v24
	v_add_co_u32 v24, vcc_lo, v30, v6
	s_wait_alu 0xfffd
	v_add_co_ci_u32_e64 v25, null, v31, v7, vcc_lo
	global_store_b16 v[32:33], v28, off offset:96
	v_add_co_u32 v32, vcc_lo, v36, s14
	global_load_u16 v28, v[24:25], off
	s_wait_alu 0xfffd
	v_add_co_ci_u32_e64 v33, null, s15, v37, vcc_lo
	s_wait_loadcnt 0x0
	v_mul_f16_e32 v34, s30, v28
	v_add_co_u32 v28, vcc_lo, v32, v6
	s_wait_alu 0xfffd
	v_add_co_ci_u32_e64 v29, null, v33, v7, vcc_lo
	s_delay_alu instid0(VALU_DEP_3) | instskip(SKIP_4) | instid1(VALU_DEP_1)
	v_fmac_f16_e32 v34, s26, v27
	global_store_b16 v[28:29], v34, off
	global_load_u16 v27, v[24:25], off offset:32
	s_wait_loadcnt 0x0
	v_mul_f16_e32 v27, s30, v27
	v_fmac_f16_e32 v27, s26, v23
	global_store_b16 v[28:29], v27, off offset:32
	global_load_u16 v23, v[24:25], off offset:64
	s_wait_loadcnt 0x0
	v_mul_f16_e32 v23, s30, v23
	s_delay_alu instid0(VALU_DEP_1)
	v_fmac_f16_e32 v23, s26, v26
	v_add_co_u32 v26, vcc_lo, v30, s12
	s_wait_alu 0xfffd
	v_add_co_ci_u32_e64 v27, null, s13, v31, vcc_lo
	global_store_b16 v[28:29], v23, off offset:64
	global_load_u16 v23, v[24:25], off offset:96
	s_wait_loadcnt 0x0
	v_mul_f16_e32 v24, s30, v23
	s_delay_alu instid0(VALU_DEP_1)
	v_fmac_f16_e32 v24, s26, v22
	v_add_co_u32 v22, vcc_lo, v26, v6
	s_wait_alu 0xfffd
	v_add_co_ci_u32_e64 v23, null, v27, v7, vcc_lo
	global_store_b16 v[28:29], v24, off offset:96
	v_add_co_u32 v28, vcc_lo, v32, s14
	global_load_u16 v24, v[22:23], off
	s_wait_alu 0xfffd
	v_add_co_ci_u32_e64 v29, null, s15, v33, vcc_lo
	s_wait_loadcnt 0x0
	v_mul_f16_e32 v30, s30, v24
	v_add_co_u32 v24, vcc_lo, v28, v6
	s_wait_alu 0xfffd
	v_add_co_ci_u32_e64 v25, null, v29, v7, vcc_lo
	s_delay_alu instid0(VALU_DEP_3) | instskip(SKIP_4) | instid1(VALU_DEP_1)
	v_fmac_f16_e32 v30, s26, v11
	global_store_b16 v[24:25], v30, off
	global_load_u16 v11, v[22:23], off offset:32
	s_wait_loadcnt 0x0
	v_mul_f16_e32 v11, s30, v11
	v_fmac_f16_e32 v11, s26, v21
	global_store_b16 v[24:25], v11, off offset:32
	global_load_u16 v11, v[22:23], off offset:64
	s_wait_loadcnt 0x0
	v_mul_f16_e32 v11, s30, v11
	s_delay_alu instid0(VALU_DEP_1)
	v_fmac_f16_e32 v11, s26, v10
	global_store_b16 v[24:25], v11, off offset:64
	global_load_u16 v10, v[22:23], off offset:96
	s_wait_loadcnt 0x0
	v_mul_f16_e32 v21, s30, v10
	v_add_co_u32 v10, vcc_lo, v26, s12
	s_wait_alu 0xfffd
	v_add_co_ci_u32_e64 v11, null, s13, v27, vcc_lo
	s_delay_alu instid0(VALU_DEP_3) | instskip(NEXT) | instid1(VALU_DEP_3)
	v_fmac_f16_e32 v21, s26, v20
	v_add_co_u32 v10, vcc_lo, v10, v6
	s_wait_alu 0xfffd
	s_delay_alu instid0(VALU_DEP_3)
	v_add_co_ci_u32_e64 v11, null, v11, v7, vcc_lo
	global_store_b16 v[24:25], v21, off offset:96
	global_load_u16 v20, v[10:11], off
	s_wait_loadcnt 0x0
	v_mul_f16_e32 v22, s30, v20
	v_add_co_u32 v20, vcc_lo, v28, s14
	s_wait_alu 0xfffd
	v_add_co_ci_u32_e64 v21, null, s15, v29, vcc_lo
	s_delay_alu instid0(VALU_DEP_3) | instskip(NEXT) | instid1(VALU_DEP_3)
	v_fmac_f16_e32 v22, s26, v9
	v_add_co_u32 v20, vcc_lo, v20, v6
	s_wait_alu 0xfffd
	s_delay_alu instid0(VALU_DEP_3) | instskip(SKIP_4) | instid1(VALU_DEP_1)
	v_add_co_ci_u32_e64 v21, null, v21, v7, vcc_lo
	global_store_b16 v[20:21], v22, off
	global_load_u16 v9, v[10:11], off offset:32
	s_wait_loadcnt 0x0
	v_mul_f16_e32 v9, s30, v9
	v_fmac_f16_e32 v9, s26, v19
	global_store_b16 v[20:21], v9, off offset:32
	global_load_u16 v9, v[10:11], off offset:64
	s_wait_loadcnt 0x0
	v_mul_f16_e32 v9, s30, v9
	s_delay_alu instid0(VALU_DEP_1) | instskip(SKIP_4) | instid1(VALU_DEP_1)
	v_fmac_f16_e32 v9, s26, v8
	global_store_b16 v[20:21], v9, off offset:64
	global_load_u16 v8, v[10:11], off offset:96
	s_wait_loadcnt 0x0
	v_mul_f16_e32 v8, s30, v8
	v_fmac_f16_e32 v8, s26, v18
	global_store_b16 v[20:21], v8, off offset:96
	s_branch .LBB3_2
.LBB3_11:
	s_endpgm
	.section	.rodata,"a",@progbits
	.p2align	6, 0x0
	.amdhsa_kernel _ZN12_GLOBAL__N_127rocblas_gemm_batched_kernelIDF16_Li16ELi16ELi64ELi64ELi4ELi64ELi4ELi4ELi64ELc84ELc78EKDF16_S1_DF16_EEvlllT_PT11_llS4_llS2_PT12_llPT13_lli
		.amdhsa_group_segment_fixed_size 1024
		.amdhsa_private_segment_fixed_size 0
		.amdhsa_kernarg_size 140
		.amdhsa_user_sgpr_count 2
		.amdhsa_user_sgpr_dispatch_ptr 0
		.amdhsa_user_sgpr_queue_ptr 0
		.amdhsa_user_sgpr_kernarg_segment_ptr 1
		.amdhsa_user_sgpr_dispatch_id 0
		.amdhsa_user_sgpr_private_segment_size 0
		.amdhsa_wavefront_size32 1
		.amdhsa_uses_dynamic_stack 0
		.amdhsa_enable_private_segment 0
		.amdhsa_system_sgpr_workgroup_id_x 1
		.amdhsa_system_sgpr_workgroup_id_y 1
		.amdhsa_system_sgpr_workgroup_id_z 1
		.amdhsa_system_sgpr_workgroup_info 0
		.amdhsa_system_vgpr_workitem_id 1
		.amdhsa_next_free_vgpr 44
		.amdhsa_next_free_sgpr 40
		.amdhsa_reserve_vcc 1
		.amdhsa_float_round_mode_32 0
		.amdhsa_float_round_mode_16_64 0
		.amdhsa_float_denorm_mode_32 3
		.amdhsa_float_denorm_mode_16_64 3
		.amdhsa_fp16_overflow 0
		.amdhsa_workgroup_processor_mode 1
		.amdhsa_memory_ordered 1
		.amdhsa_forward_progress 1
		.amdhsa_inst_pref_size 22
		.amdhsa_round_robin_scheduling 0
		.amdhsa_exception_fp_ieee_invalid_op 0
		.amdhsa_exception_fp_denorm_src 0
		.amdhsa_exception_fp_ieee_div_zero 0
		.amdhsa_exception_fp_ieee_overflow 0
		.amdhsa_exception_fp_ieee_underflow 0
		.amdhsa_exception_fp_ieee_inexact 0
		.amdhsa_exception_int_div_zero 0
	.end_amdhsa_kernel
	.section	.text._ZN12_GLOBAL__N_127rocblas_gemm_batched_kernelIDF16_Li16ELi16ELi64ELi64ELi4ELi64ELi4ELi4ELi64ELc84ELc78EKDF16_S1_DF16_EEvlllT_PT11_llS4_llS2_PT12_llPT13_lli,"axG",@progbits,_ZN12_GLOBAL__N_127rocblas_gemm_batched_kernelIDF16_Li16ELi16ELi64ELi64ELi4ELi64ELi4ELi4ELi64ELc84ELc78EKDF16_S1_DF16_EEvlllT_PT11_llS4_llS2_PT12_llPT13_lli,comdat
.Lfunc_end3:
	.size	_ZN12_GLOBAL__N_127rocblas_gemm_batched_kernelIDF16_Li16ELi16ELi64ELi64ELi4ELi64ELi4ELi4ELi64ELc84ELc78EKDF16_S1_DF16_EEvlllT_PT11_llS4_llS2_PT12_llPT13_lli, .Lfunc_end3-_ZN12_GLOBAL__N_127rocblas_gemm_batched_kernelIDF16_Li16ELi16ELi64ELi64ELi4ELi64ELi4ELi4ELi64ELc84ELc78EKDF16_S1_DF16_EEvlllT_PT11_llS4_llS2_PT12_llPT13_lli
                                        ; -- End function
	.set _ZN12_GLOBAL__N_127rocblas_gemm_batched_kernelIDF16_Li16ELi16ELi64ELi64ELi4ELi64ELi4ELi4ELi64ELc84ELc78EKDF16_S1_DF16_EEvlllT_PT11_llS4_llS2_PT12_llPT13_lli.num_vgpr, 44
	.set _ZN12_GLOBAL__N_127rocblas_gemm_batched_kernelIDF16_Li16ELi16ELi64ELi64ELi4ELi64ELi4ELi4ELi64ELc84ELc78EKDF16_S1_DF16_EEvlllT_PT11_llS4_llS2_PT12_llPT13_lli.num_agpr, 0
	.set _ZN12_GLOBAL__N_127rocblas_gemm_batched_kernelIDF16_Li16ELi16ELi64ELi64ELi4ELi64ELi4ELi4ELi64ELc84ELc78EKDF16_S1_DF16_EEvlllT_PT11_llS4_llS2_PT12_llPT13_lli.numbered_sgpr, 40
	.set _ZN12_GLOBAL__N_127rocblas_gemm_batched_kernelIDF16_Li16ELi16ELi64ELi64ELi4ELi64ELi4ELi4ELi64ELc84ELc78EKDF16_S1_DF16_EEvlllT_PT11_llS4_llS2_PT12_llPT13_lli.num_named_barrier, 0
	.set _ZN12_GLOBAL__N_127rocblas_gemm_batched_kernelIDF16_Li16ELi16ELi64ELi64ELi4ELi64ELi4ELi4ELi64ELc84ELc78EKDF16_S1_DF16_EEvlllT_PT11_llS4_llS2_PT12_llPT13_lli.private_seg_size, 0
	.set _ZN12_GLOBAL__N_127rocblas_gemm_batched_kernelIDF16_Li16ELi16ELi64ELi64ELi4ELi64ELi4ELi4ELi64ELc84ELc78EKDF16_S1_DF16_EEvlllT_PT11_llS4_llS2_PT12_llPT13_lli.uses_vcc, 1
	.set _ZN12_GLOBAL__N_127rocblas_gemm_batched_kernelIDF16_Li16ELi16ELi64ELi64ELi4ELi64ELi4ELi4ELi64ELc84ELc78EKDF16_S1_DF16_EEvlllT_PT11_llS4_llS2_PT12_llPT13_lli.uses_flat_scratch, 0
	.set _ZN12_GLOBAL__N_127rocblas_gemm_batched_kernelIDF16_Li16ELi16ELi64ELi64ELi4ELi64ELi4ELi4ELi64ELc84ELc78EKDF16_S1_DF16_EEvlllT_PT11_llS4_llS2_PT12_llPT13_lli.has_dyn_sized_stack, 0
	.set _ZN12_GLOBAL__N_127rocblas_gemm_batched_kernelIDF16_Li16ELi16ELi64ELi64ELi4ELi64ELi4ELi4ELi64ELc84ELc78EKDF16_S1_DF16_EEvlllT_PT11_llS4_llS2_PT12_llPT13_lli.has_recursion, 0
	.set _ZN12_GLOBAL__N_127rocblas_gemm_batched_kernelIDF16_Li16ELi16ELi64ELi64ELi4ELi64ELi4ELi4ELi64ELc84ELc78EKDF16_S1_DF16_EEvlllT_PT11_llS4_llS2_PT12_llPT13_lli.has_indirect_call, 0
	.section	.AMDGPU.csdata,"",@progbits
; Kernel info:
; codeLenInByte = 2756
; TotalNumSgprs: 42
; NumVgprs: 44
; ScratchSize: 0
; MemoryBound: 0
; FloatMode: 240
; IeeeMode: 1
; LDSByteSize: 1024 bytes/workgroup (compile time only)
; SGPRBlocks: 0
; VGPRBlocks: 5
; NumSGPRsForWavesPerEU: 42
; NumVGPRsForWavesPerEU: 44
; Occupancy: 16
; WaveLimiterHint : 0
; COMPUTE_PGM_RSRC2:SCRATCH_EN: 0
; COMPUTE_PGM_RSRC2:USER_SGPR: 2
; COMPUTE_PGM_RSRC2:TRAP_HANDLER: 0
; COMPUTE_PGM_RSRC2:TGID_X_EN: 1
; COMPUTE_PGM_RSRC2:TGID_Y_EN: 1
; COMPUTE_PGM_RSRC2:TGID_Z_EN: 1
; COMPUTE_PGM_RSRC2:TIDIG_COMP_CNT: 1
	.section	.text._ZN12_GLOBAL__N_127rocblas_gemm_batched_kernelIDF16_Li16ELi16ELi64ELi64ELi4ELi64ELi4ELi4ELi64ELc78ELc84EKDF16_S1_DF16_EEvlllT_PT11_llS4_llS2_PT12_llPT13_lli,"axG",@progbits,_ZN12_GLOBAL__N_127rocblas_gemm_batched_kernelIDF16_Li16ELi16ELi64ELi64ELi4ELi64ELi4ELi4ELi64ELc78ELc84EKDF16_S1_DF16_EEvlllT_PT11_llS4_llS2_PT12_llPT13_lli,comdat
	.globl	_ZN12_GLOBAL__N_127rocblas_gemm_batched_kernelIDF16_Li16ELi16ELi64ELi64ELi4ELi64ELi4ELi4ELi64ELc78ELc84EKDF16_S1_DF16_EEvlllT_PT11_llS4_llS2_PT12_llPT13_lli ; -- Begin function _ZN12_GLOBAL__N_127rocblas_gemm_batched_kernelIDF16_Li16ELi16ELi64ELi64ELi4ELi64ELi4ELi4ELi64ELc78ELc84EKDF16_S1_DF16_EEvlllT_PT11_llS4_llS2_PT12_llPT13_lli
	.p2align	8
	.type	_ZN12_GLOBAL__N_127rocblas_gemm_batched_kernelIDF16_Li16ELi16ELi64ELi64ELi4ELi64ELi4ELi4ELi64ELc78ELc84EKDF16_S1_DF16_EEvlllT_PT11_llS4_llS2_PT12_llPT13_lli,@function
_ZN12_GLOBAL__N_127rocblas_gemm_batched_kernelIDF16_Li16ELi16ELi64ELi64ELi4ELi64ELi4ELi4ELi64ELc78ELc84EKDF16_S1_DF16_EEvlllT_PT11_llS4_llS2_PT12_llPT13_lli: ; @_ZN12_GLOBAL__N_127rocblas_gemm_batched_kernelIDF16_Li16ELi16ELi64ELi64ELi4ELi64ELi4ELi4ELi64ELc78ELc84EKDF16_S1_DF16_EEvlllT_PT11_llS4_llS2_PT12_llPT13_lli
; %bb.0:
	s_load_b32 s31, s[0:1], 0x88
	s_lshr_b32 s2, ttmp7, 16
	s_wait_kmcnt 0x0
	s_cmp_ge_i32 s2, s31
	s_cbranch_scc1 .LBB4_11
; %bb.1:
	s_clause 0x3
	s_load_b96 s[28:30], s[0:1], 0x10
	s_load_b256 s[12:19], s[0:1], 0x20
	s_load_b128 s[20:23], s[0:1], 0x78
	s_load_b256 s[4:11], s[0:1], 0x58
	v_dual_mov_b32 v1, 0 :: v_dual_and_b32 v8, 0x3ff, v0
	v_bfe_u32 v6, v0, 10, 10
	s_clause 0x1
	s_load_b128 s[24:27], s[0:1], 0x40
	s_load_b32 s1, s[0:1], 0x50
	v_and_b32_e32 v11, 3, v0
	s_lshl_b32 s0, ttmp7, 6
	s_mov_b32 s34, ttmp9
	v_lshl_add_u32 v2, v6, 4, v8
	s_and_b32 s0, s0, 0x3fffc0
	v_lshl_add_u32 v15, v6, 3, 0x200
	v_add_nc_u32_e32 v7, s0, v6
	s_ashr_i32 s35, ttmp9, 31
	v_and_b32_e32 v20, 63, v2
	v_lshrrev_b32_e32 v18, 6, v2
	v_lshrrev_b32_e32 v0, 2, v2
	v_lshlrev_b32_e32 v2, 1, v11
	s_lshl_b64 s[34:35], s[34:35], 6
	v_lshlrev_b32_e32 v14, 1, v8
	s_wait_kmcnt 0x0
	v_mad_co_u64_u32 v[4:5], null, v7, s20, 0
	v_lshl_or_b32 v10, v0, 3, v2
	v_mad_co_u64_u32 v[2:3], null, v7, s6, 0
	v_mad_co_u64_u32 v[0:1], null, s24, v11, v[0:1]
	s_delay_alu instid0(VALU_DEP_3)
	v_add_nc_u32_e32 v13, 0x200, v10
	v_mad_co_u64_u32 v[5:6], null, v7, s21, v[5:6]
	s_cmp_eq_f16 s1, 0
	v_mad_co_u64_u32 v[6:7], null, v7, s7, v[3:4]
	v_mad_co_u64_u32 v[16:17], null, s25, v11, v[1:2]
	v_add_co_u32 v7, s36, s34, v8
	s_delay_alu instid0(VALU_DEP_1) | instskip(NEXT) | instid1(VALU_DEP_4)
	v_add_co_ci_u32_e64 v8, null, s35, 0, s36
	v_mov_b32_e32 v3, v6
	v_lshlrev_b32_e32 v9, 1, v20
	s_cselect_b32 s33, -1, 0
	s_delay_alu instid0(VALU_DEP_3)
	v_lshlrev_b64_e32 v[6:7], 1, v[7:8]
	s_lshl_b64 s[20:21], s[20:21], 4
	v_lshlrev_b64_e32 v[1:2], 1, v[2:3]
	v_lshl_or_b32 v12, v18, 7, v9
	v_mad_co_u64_u32 v[9:10], null, s14, v18, s[34:35]
	s_lshl_b64 s[34:35], s[6:7], 4
	s_mov_b32 s3, 0
	s_lshl_b64 s[6:7], s[24:25], 3
	v_mov_b32_e32 v3, v10
	v_add_co_u32 v10, vcc_lo, v0, s0
	s_delay_alu instid0(VALU_DEP_1) | instskip(NEXT) | instid1(VALU_DEP_3)
	v_add_co_ci_u32_e64 v11, null, 0, v16, vcc_lo
	v_mad_co_u64_u32 v[18:19], null, s15, v18, v[3:4]
	v_add_co_u32 v16, vcc_lo, s4, v1
	s_wait_alu 0xfffd
	v_add_co_ci_u32_e64 v17, null, s5, v2, vcc_lo
	v_add_co_u32 v2, vcc_lo, v9, v20
	s_wait_alu 0xfffd
	s_delay_alu instid0(VALU_DEP_4) | instskip(SKIP_3) | instid1(VALU_DEP_4)
	v_add_co_ci_u32_e64 v3, null, 0, v18, vcc_lo
	v_cmp_gt_i64_e64 s0, s[28:29], 0
	v_lshlrev_b64_e32 v[0:1], 1, v[10:11]
	v_lshlrev_b64_e32 v[4:5], 1, v[4:5]
	;; [unrolled: 1-line block ×3, first 2 shown]
	s_lshl_b64 s[4:5], s[26:27], 1
	s_lshl_b64 s[14:15], s[14:15], 3
	v_cndmask_b32_e64 v9, 0, 1, s0
	v_add_co_u32 v0, vcc_lo, s18, v0
	s_wait_alu 0xfffd
	v_add_co_ci_u32_e64 v1, null, s19, v1, vcc_lo
	v_add_co_u32 v2, vcc_lo, s12, v2
	s_wait_alu 0xfffd
	v_add_co_ci_u32_e64 v3, null, s13, v3, vcc_lo
	v_cmp_ne_u32_e64 s0, 1, v9
	s_lshl_b64 s[12:13], s[16:17], 1
	s_wait_alu 0xfffe
	s_lshl_b64 s[16:17], s[34:35], 1
	s_lshl_b64 s[18:19], s[20:21], 1
	s_branch .LBB4_3
.LBB4_2:                                ;   in Loop: Header=BB4_3 Depth=1
	s_add_co_i32 s2, s2, 0x10000
	s_wait_alu 0xfffe
	s_cmp_lt_i32 s2, s31
	s_cbranch_scc0 .LBB4_11
.LBB4_3:                                ; =>This Loop Header: Depth=1
                                        ;     Child Loop BB4_5 Depth 2
	s_and_b32 vcc_lo, exec_lo, s0
	s_wait_alu 0xfffe
	s_cbranch_vccnz .LBB4_6
; %bb.4:                                ;   in Loop: Header=BB4_3 Depth=1
	v_mad_co_u64_u32 v[8:9], null, s4, s2, v[0:1]
	v_mad_co_u64_u32 v[10:11], null, s12, s2, v[2:3]
	v_dual_mov_b32 v18, 0 :: v_dual_mov_b32 v19, 0
	v_dual_mov_b32 v20, 0 :: v_dual_mov_b32 v21, 0
	;; [unrolled: 1-line block ×3, first 2 shown]
	s_delay_alu instid0(VALU_DEP_4) | instskip(SKIP_3) | instid1(VALU_DEP_3)
	v_mad_co_u64_u32 v[25:26], null, s5, s2, v[9:10]
	v_mad_co_u64_u32 v[26:27], null, s13, s2, v[11:12]
	v_mov_b32_e32 v24, 0
	s_mov_b64 s[20:21], 0
	v_mov_b32_e32 v9, v25
	v_mov_b32_e32 v25, 0
	s_delay_alu instid0(VALU_DEP_4)
	v_mov_b32_e32 v11, v26
.LBB4_5:                                ;   Parent Loop BB4_3 Depth=1
                                        ; =>  This Inner Loop Header: Depth=2
	global_load_u16 v26, v[10:11], off
	global_load_u16 v27, v[8:9], off
	s_wait_alu 0xfffe
	s_add_nc_u64 s[20:21], s[20:21], 4
	v_add_co_u32 v8, vcc_lo, v8, s6
	s_wait_alu 0xfffe
	v_cmp_lt_i64_e64 s24, s[20:21], s[28:29]
	s_wait_alu 0xfffd
	v_add_co_ci_u32_e64 v9, null, s7, v9, vcc_lo
	v_add_co_u32 v10, vcc_lo, v10, s14
	s_wait_alu 0xfffd
	v_add_co_ci_u32_e64 v11, null, s15, v11, vcc_lo
	s_and_b32 vcc_lo, exec_lo, s24
	s_wait_loadcnt 0x1
	ds_store_b16 v12, v26
	s_wait_loadcnt 0x0
	ds_store_b16 v13, v27
	s_wait_dscnt 0x0
	s_barrier_signal -1
	s_barrier_wait -1
	global_inv scope:SCOPE_SE
	ds_load_u16 v34, v14 offset:32
	ds_load_u16 v35, v14 offset:96
	;; [unrolled: 1-line block ×8, first 2 shown]
	ds_load_2addr_b64 v[26:29], v15 offset1:16
	ds_load_2addr_b64 v[30:33], v15 offset0:32 offset1:48
	s_wait_dscnt 0x9
	ds_load_u16_d16_hi v34, v14
	s_wait_dscnt 0x9
	ds_load_u16_d16_hi v35, v14 offset:64
	s_wait_dscnt 0x9
	ds_load_u16_d16_hi v36, v14 offset:128
	;; [unrolled: 2-line block ×7, first 2 shown]
	s_wait_loadcnt_dscnt 0x0
	s_barrier_signal -1
	s_barrier_wait -1
	global_inv scope:SCOPE_SE
	v_pk_fma_f16 v25, v34, v26, v25 op_sel_hi:[1,0,1]
	v_pk_fma_f16 v24, v35, v26, v24 op_sel_hi:[1,0,1]
	v_pk_fma_f16 v23, v34, v28, v23 op_sel_hi:[1,0,1]
	v_pk_fma_f16 v22, v35, v28, v22 op_sel_hi:[1,0,1]
	v_pk_fma_f16 v21, v34, v30, v21 op_sel_hi:[1,0,1]
	v_pk_fma_f16 v20, v35, v30, v20 op_sel_hi:[1,0,1]
	v_pk_fma_f16 v19, v34, v32, v19 op_sel_hi:[1,0,1]
	v_pk_fma_f16 v18, v35, v32, v18 op_sel_hi:[1,0,1]
	v_pk_fma_f16 v25, v36, v26, v25 op_sel:[0,1,0]
	v_pk_fma_f16 v24, v37, v26, v24 op_sel:[0,1,0]
	;; [unrolled: 1-line block ×8, first 2 shown]
	v_pk_fma_f16 v25, v38, v27, v25 op_sel_hi:[1,0,1]
	v_pk_fma_f16 v24, v39, v27, v24 op_sel_hi:[1,0,1]
	;; [unrolled: 1-line block ×8, first 2 shown]
	v_pk_fma_f16 v25, v40, v27, v25 op_sel:[0,1,0]
	v_pk_fma_f16 v24, v41, v27, v24 op_sel:[0,1,0]
	;; [unrolled: 1-line block ×8, first 2 shown]
	s_wait_alu 0xfffe
	s_cbranch_vccnz .LBB4_5
	s_branch .LBB4_7
.LBB4_6:                                ;   in Loop: Header=BB4_3 Depth=1
	v_dual_mov_b32 v25, 0 :: v_dual_mov_b32 v24, 0
	v_dual_mov_b32 v23, 0 :: v_dual_mov_b32 v22, 0
	;; [unrolled: 1-line block ×4, first 2 shown]
.LBB4_7:                                ;   in Loop: Header=BB4_3 Depth=1
	s_mul_u64 s[20:21], s[22:23], s[2:3]
	v_lshrrev_b32_e32 v29, 16, v25
	v_lshrrev_b32_e32 v28, 16, v24
	;; [unrolled: 1-line block ×8, first 2 shown]
	s_wait_alu 0xfffe
	s_lshl_b64 s[20:21], s[20:21], 1
	s_and_not1_b32 vcc_lo, exec_lo, s33
	s_wait_alu 0xfffe
	s_add_nc_u64 s[20:21], s[10:11], s[20:21]
	s_cbranch_vccnz .LBB4_9
; %bb.8:                                ;   in Loop: Header=BB4_3 Depth=1
	s_wait_alu 0xfffe
	v_add_co_u32 v32, vcc_lo, s20, v4
	s_wait_alu 0xfffd
	v_add_co_ci_u32_e64 v33, null, s21, v5, vcc_lo
	v_mul_f16_e32 v34, s30, v29
	s_delay_alu instid0(VALU_DEP_3) | instskip(SKIP_1) | instid1(VALU_DEP_3)
	v_add_co_u32 v30, vcc_lo, v32, v6
	s_wait_alu 0xfffd
	v_add_co_ci_u32_e64 v31, null, v33, v7, vcc_lo
	v_add_co_u32 v32, vcc_lo, v32, s18
	v_mul_f16_e32 v35, s30, v25
	v_mul_f16_e32 v36, s30, v28
	s_wait_alu 0xfffd
	v_add_co_ci_u32_e64 v33, null, s19, v33, vcc_lo
	v_mul_f16_e32 v37, s30, v24
	s_clause 0x3
	global_store_b16 v[30:31], v34, off
	global_store_b16 v[30:31], v35, off offset:32
	global_store_b16 v[30:31], v36, off offset:64
	;; [unrolled: 1-line block ×3, first 2 shown]
	v_add_co_u32 v30, vcc_lo, v32, v6
	s_wait_alu 0xfffd
	v_add_co_ci_u32_e64 v31, null, v33, v7, vcc_lo
	v_add_co_u32 v38, vcc_lo, v32, s18
	s_wait_alu 0xfffd
	v_add_co_ci_u32_e64 v39, null, s19, v33, vcc_lo
	v_mul_f16_e32 v34, s30, v27
	v_mul_f16_e32 v35, s30, v23
	;; [unrolled: 1-line block ×3, first 2 shown]
	v_add_co_u32 v32, vcc_lo, v38, v6
	v_mul_f16_e32 v37, s30, v22
	v_mul_f16_e32 v40, s30, v11
	s_wait_alu 0xfffd
	v_add_co_ci_u32_e64 v33, null, v39, v7, vcc_lo
	v_mul_f16_e32 v41, s30, v21
	v_mul_f16_e32 v42, s30, v10
	;; [unrolled: 1-line block ×3, first 2 shown]
	s_clause 0x7
	global_store_b16 v[30:31], v34, off
	global_store_b16 v[30:31], v35, off offset:32
	global_store_b16 v[30:31], v36, off offset:64
	;; [unrolled: 1-line block ×3, first 2 shown]
	global_store_b16 v[32:33], v40, off
	global_store_b16 v[32:33], v41, off offset:32
	global_store_b16 v[32:33], v42, off offset:64
	global_store_b16 v[32:33], v43, off offset:96
	v_add_co_u32 v30, vcc_lo, v38, s18
	s_wait_alu 0xfffd
	v_add_co_ci_u32_e64 v31, null, s19, v39, vcc_lo
	v_mul_f16_e32 v32, s30, v9
	s_delay_alu instid0(VALU_DEP_3) | instskip(SKIP_1) | instid1(VALU_DEP_3)
	v_add_co_u32 v30, vcc_lo, v30, v6
	s_wait_alu 0xfffd
	v_add_co_ci_u32_e64 v31, null, v31, v7, vcc_lo
	v_mul_f16_e32 v33, s30, v19
	v_mul_f16_e32 v34, s30, v8
	;; [unrolled: 1-line block ×3, first 2 shown]
	s_clause 0x3
	global_store_b16 v[30:31], v32, off
	global_store_b16 v[30:31], v33, off offset:32
	global_store_b16 v[30:31], v34, off offset:64
	global_store_b16 v[30:31], v35, off offset:96
	s_cbranch_execnz .LBB4_2
	s_branch .LBB4_10
.LBB4_9:                                ;   in Loop: Header=BB4_3 Depth=1
.LBB4_10:                               ;   in Loop: Header=BB4_3 Depth=1
	s_mul_u64 s[24:25], s[8:9], s[2:3]
	s_wait_alu 0xfffe
	s_lshl_b64 s[24:25], s[24:25], 1
	s_wait_alu 0xfffe
	v_add_co_u32 v34, vcc_lo, v16, s24
	s_wait_alu 0xfffd
	v_add_co_ci_u32_e64 v35, null, s25, v17, vcc_lo
	s_delay_alu instid0(VALU_DEP_2) | instskip(SKIP_1) | instid1(VALU_DEP_2)
	v_add_co_u32 v30, vcc_lo, v34, v6
	s_wait_alu 0xfffd
	v_add_co_ci_u32_e64 v31, null, v35, v7, vcc_lo
	v_add_co_u32 v36, vcc_lo, s20, v4
	s_wait_alu 0xfffd
	v_add_co_ci_u32_e64 v37, null, s21, v5, vcc_lo
	global_load_u16 v32, v[30:31], off
	s_wait_loadcnt 0x0
	v_mul_f16_e32 v38, s1, v32
	v_add_co_u32 v32, vcc_lo, v36, v6
	s_wait_alu 0xfffd
	v_add_co_ci_u32_e64 v33, null, v37, v7, vcc_lo
	s_delay_alu instid0(VALU_DEP_3) | instskip(SKIP_4) | instid1(VALU_DEP_1)
	v_fmac_f16_e32 v38, s30, v29
	global_store_b16 v[32:33], v38, off
	global_load_u16 v29, v[30:31], off offset:32
	s_wait_loadcnt 0x0
	v_mul_f16_e32 v29, s1, v29
	v_fmac_f16_e32 v29, s30, v25
	global_store_b16 v[32:33], v29, off offset:32
	global_load_u16 v25, v[30:31], off offset:64
	s_wait_loadcnt 0x0
	v_mul_f16_e32 v25, s1, v25
	s_delay_alu instid0(VALU_DEP_1)
	v_fmac_f16_e32 v25, s30, v28
	global_store_b16 v[32:33], v25, off offset:64
	global_load_u16 v25, v[30:31], off offset:96
	v_add_co_u32 v30, vcc_lo, v34, s16
	s_wait_alu 0xfffd
	v_add_co_ci_u32_e64 v31, null, s17, v35, vcc_lo
	s_wait_loadcnt 0x0
	v_mul_f16_e32 v28, s1, v25
	s_delay_alu instid0(VALU_DEP_1)
	v_fmac_f16_e32 v28, s30, v24
	v_add_co_u32 v24, vcc_lo, v30, v6
	s_wait_alu 0xfffd
	v_add_co_ci_u32_e64 v25, null, v31, v7, vcc_lo
	global_store_b16 v[32:33], v28, off offset:96
	v_add_co_u32 v32, vcc_lo, v36, s18
	global_load_u16 v28, v[24:25], off
	s_wait_alu 0xfffd
	v_add_co_ci_u32_e64 v33, null, s19, v37, vcc_lo
	s_wait_loadcnt 0x0
	v_mul_f16_e32 v34, s1, v28
	v_add_co_u32 v28, vcc_lo, v32, v6
	s_wait_alu 0xfffd
	v_add_co_ci_u32_e64 v29, null, v33, v7, vcc_lo
	s_delay_alu instid0(VALU_DEP_3) | instskip(SKIP_4) | instid1(VALU_DEP_1)
	v_fmac_f16_e32 v34, s30, v27
	global_store_b16 v[28:29], v34, off
	global_load_u16 v27, v[24:25], off offset:32
	s_wait_loadcnt 0x0
	v_mul_f16_e32 v27, s1, v27
	v_fmac_f16_e32 v27, s30, v23
	global_store_b16 v[28:29], v27, off offset:32
	global_load_u16 v23, v[24:25], off offset:64
	s_wait_loadcnt 0x0
	v_mul_f16_e32 v23, s1, v23
	s_delay_alu instid0(VALU_DEP_1)
	v_fmac_f16_e32 v23, s30, v26
	v_add_co_u32 v26, vcc_lo, v30, s16
	s_wait_alu 0xfffd
	v_add_co_ci_u32_e64 v27, null, s17, v31, vcc_lo
	global_store_b16 v[28:29], v23, off offset:64
	global_load_u16 v23, v[24:25], off offset:96
	s_wait_loadcnt 0x0
	v_mul_f16_e32 v24, s1, v23
	s_delay_alu instid0(VALU_DEP_1)
	v_fmac_f16_e32 v24, s30, v22
	v_add_co_u32 v22, vcc_lo, v26, v6
	s_wait_alu 0xfffd
	v_add_co_ci_u32_e64 v23, null, v27, v7, vcc_lo
	global_store_b16 v[28:29], v24, off offset:96
	v_add_co_u32 v28, vcc_lo, v32, s18
	global_load_u16 v24, v[22:23], off
	s_wait_alu 0xfffd
	v_add_co_ci_u32_e64 v29, null, s19, v33, vcc_lo
	s_wait_loadcnt 0x0
	v_mul_f16_e32 v30, s1, v24
	v_add_co_u32 v24, vcc_lo, v28, v6
	s_wait_alu 0xfffd
	v_add_co_ci_u32_e64 v25, null, v29, v7, vcc_lo
	s_delay_alu instid0(VALU_DEP_3) | instskip(SKIP_4) | instid1(VALU_DEP_1)
	v_fmac_f16_e32 v30, s30, v11
	global_store_b16 v[24:25], v30, off
	global_load_u16 v11, v[22:23], off offset:32
	s_wait_loadcnt 0x0
	v_mul_f16_e32 v11, s1, v11
	v_fmac_f16_e32 v11, s30, v21
	global_store_b16 v[24:25], v11, off offset:32
	global_load_u16 v11, v[22:23], off offset:64
	s_wait_loadcnt 0x0
	v_mul_f16_e32 v11, s1, v11
	s_delay_alu instid0(VALU_DEP_1)
	v_fmac_f16_e32 v11, s30, v10
	global_store_b16 v[24:25], v11, off offset:64
	global_load_u16 v10, v[22:23], off offset:96
	s_wait_loadcnt 0x0
	v_mul_f16_e32 v21, s1, v10
	v_add_co_u32 v10, vcc_lo, v26, s16
	s_wait_alu 0xfffd
	v_add_co_ci_u32_e64 v11, null, s17, v27, vcc_lo
	s_delay_alu instid0(VALU_DEP_3) | instskip(NEXT) | instid1(VALU_DEP_3)
	v_fmac_f16_e32 v21, s30, v20
	v_add_co_u32 v10, vcc_lo, v10, v6
	s_wait_alu 0xfffd
	s_delay_alu instid0(VALU_DEP_3)
	v_add_co_ci_u32_e64 v11, null, v11, v7, vcc_lo
	global_store_b16 v[24:25], v21, off offset:96
	global_load_u16 v20, v[10:11], off
	s_wait_loadcnt 0x0
	v_mul_f16_e32 v22, s1, v20
	v_add_co_u32 v20, vcc_lo, v28, s18
	s_wait_alu 0xfffd
	v_add_co_ci_u32_e64 v21, null, s19, v29, vcc_lo
	s_delay_alu instid0(VALU_DEP_3) | instskip(NEXT) | instid1(VALU_DEP_3)
	v_fmac_f16_e32 v22, s30, v9
	v_add_co_u32 v20, vcc_lo, v20, v6
	s_wait_alu 0xfffd
	s_delay_alu instid0(VALU_DEP_3) | instskip(SKIP_4) | instid1(VALU_DEP_1)
	v_add_co_ci_u32_e64 v21, null, v21, v7, vcc_lo
	global_store_b16 v[20:21], v22, off
	global_load_u16 v9, v[10:11], off offset:32
	s_wait_loadcnt 0x0
	v_mul_f16_e32 v9, s1, v9
	v_fmac_f16_e32 v9, s30, v19
	global_store_b16 v[20:21], v9, off offset:32
	global_load_u16 v9, v[10:11], off offset:64
	s_wait_loadcnt 0x0
	v_mul_f16_e32 v9, s1, v9
	s_delay_alu instid0(VALU_DEP_1) | instskip(SKIP_4) | instid1(VALU_DEP_1)
	v_fmac_f16_e32 v9, s30, v8
	global_store_b16 v[20:21], v9, off offset:64
	global_load_u16 v8, v[10:11], off offset:96
	s_wait_loadcnt 0x0
	v_mul_f16_e32 v8, s1, v8
	v_fmac_f16_e32 v8, s30, v18
	global_store_b16 v[20:21], v8, off offset:96
	s_branch .LBB4_2
.LBB4_11:
	s_endpgm
	.section	.rodata,"a",@progbits
	.p2align	6, 0x0
	.amdhsa_kernel _ZN12_GLOBAL__N_127rocblas_gemm_batched_kernelIDF16_Li16ELi16ELi64ELi64ELi4ELi64ELi4ELi4ELi64ELc78ELc84EKDF16_S1_DF16_EEvlllT_PT11_llS4_llS2_PT12_llPT13_lli
		.amdhsa_group_segment_fixed_size 1024
		.amdhsa_private_segment_fixed_size 0
		.amdhsa_kernarg_size 140
		.amdhsa_user_sgpr_count 2
		.amdhsa_user_sgpr_dispatch_ptr 0
		.amdhsa_user_sgpr_queue_ptr 0
		.amdhsa_user_sgpr_kernarg_segment_ptr 1
		.amdhsa_user_sgpr_dispatch_id 0
		.amdhsa_user_sgpr_private_segment_size 0
		.amdhsa_wavefront_size32 1
		.amdhsa_uses_dynamic_stack 0
		.amdhsa_enable_private_segment 0
		.amdhsa_system_sgpr_workgroup_id_x 1
		.amdhsa_system_sgpr_workgroup_id_y 1
		.amdhsa_system_sgpr_workgroup_id_z 1
		.amdhsa_system_sgpr_workgroup_info 0
		.amdhsa_system_vgpr_workitem_id 1
		.amdhsa_next_free_vgpr 44
		.amdhsa_next_free_sgpr 37
		.amdhsa_reserve_vcc 1
		.amdhsa_float_round_mode_32 0
		.amdhsa_float_round_mode_16_64 0
		.amdhsa_float_denorm_mode_32 3
		.amdhsa_float_denorm_mode_16_64 3
		.amdhsa_fp16_overflow 0
		.amdhsa_workgroup_processor_mode 1
		.amdhsa_memory_ordered 1
		.amdhsa_forward_progress 1
		.amdhsa_inst_pref_size 22
		.amdhsa_round_robin_scheduling 0
		.amdhsa_exception_fp_ieee_invalid_op 0
		.amdhsa_exception_fp_denorm_src 0
		.amdhsa_exception_fp_ieee_div_zero 0
		.amdhsa_exception_fp_ieee_overflow 0
		.amdhsa_exception_fp_ieee_underflow 0
		.amdhsa_exception_fp_ieee_inexact 0
		.amdhsa_exception_int_div_zero 0
	.end_amdhsa_kernel
	.section	.text._ZN12_GLOBAL__N_127rocblas_gemm_batched_kernelIDF16_Li16ELi16ELi64ELi64ELi4ELi64ELi4ELi4ELi64ELc78ELc84EKDF16_S1_DF16_EEvlllT_PT11_llS4_llS2_PT12_llPT13_lli,"axG",@progbits,_ZN12_GLOBAL__N_127rocblas_gemm_batched_kernelIDF16_Li16ELi16ELi64ELi64ELi4ELi64ELi4ELi4ELi64ELc78ELc84EKDF16_S1_DF16_EEvlllT_PT11_llS4_llS2_PT12_llPT13_lli,comdat
.Lfunc_end4:
	.size	_ZN12_GLOBAL__N_127rocblas_gemm_batched_kernelIDF16_Li16ELi16ELi64ELi64ELi4ELi64ELi4ELi4ELi64ELc78ELc84EKDF16_S1_DF16_EEvlllT_PT11_llS4_llS2_PT12_llPT13_lli, .Lfunc_end4-_ZN12_GLOBAL__N_127rocblas_gemm_batched_kernelIDF16_Li16ELi16ELi64ELi64ELi4ELi64ELi4ELi4ELi64ELc78ELc84EKDF16_S1_DF16_EEvlllT_PT11_llS4_llS2_PT12_llPT13_lli
                                        ; -- End function
	.set _ZN12_GLOBAL__N_127rocblas_gemm_batched_kernelIDF16_Li16ELi16ELi64ELi64ELi4ELi64ELi4ELi4ELi64ELc78ELc84EKDF16_S1_DF16_EEvlllT_PT11_llS4_llS2_PT12_llPT13_lli.num_vgpr, 44
	.set _ZN12_GLOBAL__N_127rocblas_gemm_batched_kernelIDF16_Li16ELi16ELi64ELi64ELi4ELi64ELi4ELi4ELi64ELc78ELc84EKDF16_S1_DF16_EEvlllT_PT11_llS4_llS2_PT12_llPT13_lli.num_agpr, 0
	.set _ZN12_GLOBAL__N_127rocblas_gemm_batched_kernelIDF16_Li16ELi16ELi64ELi64ELi4ELi64ELi4ELi4ELi64ELc78ELc84EKDF16_S1_DF16_EEvlllT_PT11_llS4_llS2_PT12_llPT13_lli.numbered_sgpr, 37
	.set _ZN12_GLOBAL__N_127rocblas_gemm_batched_kernelIDF16_Li16ELi16ELi64ELi64ELi4ELi64ELi4ELi4ELi64ELc78ELc84EKDF16_S1_DF16_EEvlllT_PT11_llS4_llS2_PT12_llPT13_lli.num_named_barrier, 0
	.set _ZN12_GLOBAL__N_127rocblas_gemm_batched_kernelIDF16_Li16ELi16ELi64ELi64ELi4ELi64ELi4ELi4ELi64ELc78ELc84EKDF16_S1_DF16_EEvlllT_PT11_llS4_llS2_PT12_llPT13_lli.private_seg_size, 0
	.set _ZN12_GLOBAL__N_127rocblas_gemm_batched_kernelIDF16_Li16ELi16ELi64ELi64ELi4ELi64ELi4ELi4ELi64ELc78ELc84EKDF16_S1_DF16_EEvlllT_PT11_llS4_llS2_PT12_llPT13_lli.uses_vcc, 1
	.set _ZN12_GLOBAL__N_127rocblas_gemm_batched_kernelIDF16_Li16ELi16ELi64ELi64ELi4ELi64ELi4ELi4ELi64ELc78ELc84EKDF16_S1_DF16_EEvlllT_PT11_llS4_llS2_PT12_llPT13_lli.uses_flat_scratch, 0
	.set _ZN12_GLOBAL__N_127rocblas_gemm_batched_kernelIDF16_Li16ELi16ELi64ELi64ELi4ELi64ELi4ELi4ELi64ELc78ELc84EKDF16_S1_DF16_EEvlllT_PT11_llS4_llS2_PT12_llPT13_lli.has_dyn_sized_stack, 0
	.set _ZN12_GLOBAL__N_127rocblas_gemm_batched_kernelIDF16_Li16ELi16ELi64ELi64ELi4ELi64ELi4ELi4ELi64ELc78ELc84EKDF16_S1_DF16_EEvlllT_PT11_llS4_llS2_PT12_llPT13_lli.has_recursion, 0
	.set _ZN12_GLOBAL__N_127rocblas_gemm_batched_kernelIDF16_Li16ELi16ELi64ELi64ELi4ELi64ELi4ELi4ELi64ELc78ELc84EKDF16_S1_DF16_EEvlllT_PT11_llS4_llS2_PT12_llPT13_lli.has_indirect_call, 0
	.section	.AMDGPU.csdata,"",@progbits
; Kernel info:
; codeLenInByte = 2740
; TotalNumSgprs: 39
; NumVgprs: 44
; ScratchSize: 0
; MemoryBound: 0
; FloatMode: 240
; IeeeMode: 1
; LDSByteSize: 1024 bytes/workgroup (compile time only)
; SGPRBlocks: 0
; VGPRBlocks: 5
; NumSGPRsForWavesPerEU: 39
; NumVGPRsForWavesPerEU: 44
; Occupancy: 16
; WaveLimiterHint : 0
; COMPUTE_PGM_RSRC2:SCRATCH_EN: 0
; COMPUTE_PGM_RSRC2:USER_SGPR: 2
; COMPUTE_PGM_RSRC2:TRAP_HANDLER: 0
; COMPUTE_PGM_RSRC2:TGID_X_EN: 1
; COMPUTE_PGM_RSRC2:TGID_Y_EN: 1
; COMPUTE_PGM_RSRC2:TGID_Z_EN: 1
; COMPUTE_PGM_RSRC2:TIDIG_COMP_CNT: 1
	.section	.text._ZN12_GLOBAL__N_127rocblas_gemm_batched_kernelIDF16_Li16ELi16ELi64ELi64ELi4ELi64ELi4ELi4ELi64ELc84ELc84EKDF16_S1_DF16_EEvlllT_PT11_llS4_llS2_PT12_llPT13_lli,"axG",@progbits,_ZN12_GLOBAL__N_127rocblas_gemm_batched_kernelIDF16_Li16ELi16ELi64ELi64ELi4ELi64ELi4ELi4ELi64ELc84ELc84EKDF16_S1_DF16_EEvlllT_PT11_llS4_llS2_PT12_llPT13_lli,comdat
	.globl	_ZN12_GLOBAL__N_127rocblas_gemm_batched_kernelIDF16_Li16ELi16ELi64ELi64ELi4ELi64ELi4ELi4ELi64ELc84ELc84EKDF16_S1_DF16_EEvlllT_PT11_llS4_llS2_PT12_llPT13_lli ; -- Begin function _ZN12_GLOBAL__N_127rocblas_gemm_batched_kernelIDF16_Li16ELi16ELi64ELi64ELi4ELi64ELi4ELi4ELi64ELc84ELc84EKDF16_S1_DF16_EEvlllT_PT11_llS4_llS2_PT12_llPT13_lli
	.p2align	8
	.type	_ZN12_GLOBAL__N_127rocblas_gemm_batched_kernelIDF16_Li16ELi16ELi64ELi64ELi4ELi64ELi4ELi4ELi64ELc84ELc84EKDF16_S1_DF16_EEvlllT_PT11_llS4_llS2_PT12_llPT13_lli,@function
_ZN12_GLOBAL__N_127rocblas_gemm_batched_kernelIDF16_Li16ELi16ELi64ELi64ELi4ELi64ELi4ELi4ELi64ELc84ELc84EKDF16_S1_DF16_EEvlllT_PT11_llS4_llS2_PT12_llPT13_lli: ; @_ZN12_GLOBAL__N_127rocblas_gemm_batched_kernelIDF16_Li16ELi16ELi64ELi64ELi4ELi64ELi4ELi4ELi64ELc84ELc84EKDF16_S1_DF16_EEvlllT_PT11_llS4_llS2_PT12_llPT13_lli
; %bb.0:
	s_load_b32 s31, s[0:1], 0x88
	s_lshr_b32 s2, ttmp7, 16
	s_wait_kmcnt 0x0
	s_cmp_ge_i32 s2, s31
	s_cbranch_scc1 .LBB5_11
; %bb.1:
	v_dual_mov_b32 v1, 0 :: v_dual_and_b32 v8, 0x3ff, v0
	v_bfe_u32 v6, v0, 10, 10
	s_clause 0x5
	s_load_b96 s[28:30], s[0:1], 0x10
	s_load_b128 s[20:23], s[0:1], 0x78
	s_load_b256 s[12:19], s[0:1], 0x20
	s_load_b256 s[4:11], s[0:1], 0x58
	s_load_b128 s[24:27], s[0:1], 0x40
	s_load_b32 s1, s[0:1], 0x50
	v_and_b32_e32 v9, 3, v0
	s_lshl_b32 s0, ttmp7, 6
	v_lshl_add_u32 v2, v6, 4, v8
	s_and_b32 s0, s0, 0x3fffc0
	v_lshl_add_u32 v15, v6, 3, 0x200
	v_add_nc_u32_e32 v7, s0, v6
	v_lshlrev_b32_e32 v3, 1, v9
	v_and_b32_e32 v10, 63, v2
	v_lshrrev_b32_e32 v0, 2, v2
	v_lshrrev_b32_e32 v18, 6, v2
	s_mov_b32 s34, ttmp9
	s_ashr_i32 s35, ttmp9, 31
	v_lshlrev_b32_e32 v2, 1, v10
	v_lshl_or_b32 v11, v0, 3, v3
	s_lshl_b64 s[34:35], s[34:35], 6
	v_lshlrev_b32_e32 v14, 1, v8
	s_wait_kmcnt 0x0
	v_mad_co_u64_u32 v[4:5], null, v7, s20, 0
	v_lshl_or_b32 v12, v18, 7, v2
	v_mad_co_u64_u32 v[2:3], null, v7, s6, 0
	v_mad_co_u64_u32 v[0:1], null, s24, v9, v[0:1]
	v_add_nc_u32_e32 v13, 0x200, v11
	v_mad_co_u64_u32 v[5:6], null, v7, s21, v[5:6]
	s_cmp_eq_f16 s1, 0
	v_mad_co_u64_u32 v[6:7], null, v7, s7, v[3:4]
	v_add_co_u32 v0, vcc_lo, v0, s0
	s_mul_i32 s0, s14, s35
	v_add_co_u32 v7, s36, s34, v8
	s_delay_alu instid0(VALU_DEP_1) | instskip(SKIP_4) | instid1(VALU_DEP_4)
	v_add_co_ci_u32_e64 v8, null, s35, 0, s36
	v_mov_b32_e32 v3, v6
	v_or_b32_e32 v11, s34, v10
	v_mad_co_u64_u32 v[9:10], null, s25, v9, v[1:2]
	v_lshlrev_b64_e32 v[4:5], 1, v[4:5]
	v_lshlrev_b64_e32 v[2:3], 1, v[2:3]
	s_delay_alu instid0(VALU_DEP_4)
	v_mul_lo_u32 v6, s15, v11
	v_mad_co_u64_u32 v[10:11], null, s14, v11, 0
	s_cselect_b32 s33, -1, 0
	v_add_co_ci_u32_e64 v1, null, 0, v9, vcc_lo
	v_add_co_u32 v16, vcc_lo, s4, v2
	s_wait_alu 0xfffd
	v_add_co_ci_u32_e64 v17, null, s5, v3, vcc_lo
	s_wait_alu 0xfffe
	v_add3_u32 v11, v11, s0, v6
	v_lshlrev_b64_e32 v[0:1], 1, v[0:1]
	v_lshlrev_b32_e32 v6, 1, v18
	v_cmp_gt_i64_e64 s0, s[28:29], 0
	s_lshl_b64 s[20:21], s[20:21], 4
	v_lshlrev_b64_e32 v[2:3], 1, v[10:11]
	s_lshl_b64 s[36:37], s[6:7], 4
	v_add_co_u32 v0, vcc_lo, s18, v0
	s_wait_alu 0xfffd
	v_add_co_ci_u32_e64 v1, null, s19, v1, vcc_lo
	s_delay_alu instid0(VALU_DEP_3) | instskip(SKIP_3) | instid1(VALU_DEP_3)
	v_add_co_u32 v2, vcc_lo, v2, v6
	s_wait_alu 0xfffd
	v_add_co_ci_u32_e64 v3, null, 0, v3, vcc_lo
	v_cndmask_b32_e64 v9, 0, 1, s0
	v_add_co_u32 v2, vcc_lo, s12, v2
	v_lshlrev_b64_e32 v[6:7], 1, v[7:8]
	s_wait_alu 0xfffd
	v_add_co_ci_u32_e64 v3, null, s13, v3, vcc_lo
	v_cmp_ne_u32_e64 s0, 1, v9
	s_mov_b32 s3, 0
	s_lshl_b64 s[4:5], s[26:27], 1
	s_lshl_b64 s[6:7], s[24:25], 3
	;; [unrolled: 1-line block ×3, first 2 shown]
	s_wait_alu 0xfffe
	s_lshl_b64 s[14:15], s[36:37], 1
	s_lshl_b64 s[16:17], s[20:21], 1
	s_branch .LBB5_3
.LBB5_2:                                ;   in Loop: Header=BB5_3 Depth=1
	s_add_co_i32 s2, s2, 0x10000
	s_wait_alu 0xfffe
	s_cmp_lt_i32 s2, s31
	s_cbranch_scc0 .LBB5_11
.LBB5_3:                                ; =>This Loop Header: Depth=1
                                        ;     Child Loop BB5_5 Depth 2
	s_and_b32 vcc_lo, exec_lo, s0
	s_wait_alu 0xfffe
	s_cbranch_vccnz .LBB5_6
; %bb.4:                                ;   in Loop: Header=BB5_3 Depth=1
	v_mad_co_u64_u32 v[8:9], null, s4, s2, v[0:1]
	v_mad_co_u64_u32 v[10:11], null, s12, s2, v[2:3]
	v_dual_mov_b32 v18, 0 :: v_dual_mov_b32 v19, 0
	v_dual_mov_b32 v20, 0 :: v_dual_mov_b32 v21, 0
	v_dual_mov_b32 v22, 0 :: v_dual_mov_b32 v23, 0
	s_delay_alu instid0(VALU_DEP_4) | instskip(SKIP_3) | instid1(VALU_DEP_3)
	v_mad_co_u64_u32 v[25:26], null, s5, s2, v[9:10]
	v_mad_co_u64_u32 v[26:27], null, s13, s2, v[11:12]
	v_mov_b32_e32 v24, 0
	s_mov_b64 s[18:19], 0
	v_mov_b32_e32 v9, v25
	v_mov_b32_e32 v25, 0
	s_delay_alu instid0(VALU_DEP_4)
	v_mov_b32_e32 v11, v26
.LBB5_5:                                ;   Parent Loop BB5_3 Depth=1
                                        ; =>  This Inner Loop Header: Depth=2
	global_load_u16 v26, v[10:11], off
	global_load_u16 v27, v[8:9], off
	s_wait_alu 0xfffe
	s_add_nc_u64 s[18:19], s[18:19], 4
	v_add_co_u32 v8, vcc_lo, v8, s6
	s_wait_alu 0xfffe
	v_cmp_lt_i64_e64 s20, s[18:19], s[28:29]
	s_wait_alu 0xfffd
	v_add_co_ci_u32_e64 v9, null, s7, v9, vcc_lo
	v_add_co_u32 v10, vcc_lo, v10, 8
	s_wait_alu 0xfffd
	v_add_co_ci_u32_e64 v11, null, 0, v11, vcc_lo
	s_and_b32 vcc_lo, exec_lo, s20
	s_wait_loadcnt 0x1
	ds_store_b16 v12, v26
	s_wait_loadcnt 0x0
	ds_store_b16 v13, v27
	s_wait_dscnt 0x0
	s_barrier_signal -1
	s_barrier_wait -1
	global_inv scope:SCOPE_SE
	ds_load_u16 v34, v14 offset:32
	ds_load_u16 v35, v14 offset:96
	;; [unrolled: 1-line block ×8, first 2 shown]
	ds_load_2addr_b64 v[26:29], v15 offset1:16
	ds_load_2addr_b64 v[30:33], v15 offset0:32 offset1:48
	s_wait_dscnt 0x9
	ds_load_u16_d16_hi v34, v14
	s_wait_dscnt 0x9
	ds_load_u16_d16_hi v35, v14 offset:64
	s_wait_dscnt 0x9
	ds_load_u16_d16_hi v36, v14 offset:128
	;; [unrolled: 2-line block ×7, first 2 shown]
	s_wait_loadcnt_dscnt 0x0
	s_barrier_signal -1
	s_barrier_wait -1
	global_inv scope:SCOPE_SE
	v_pk_fma_f16 v25, v34, v26, v25 op_sel_hi:[1,0,1]
	v_pk_fma_f16 v24, v35, v26, v24 op_sel_hi:[1,0,1]
	;; [unrolled: 1-line block ×8, first 2 shown]
	v_pk_fma_f16 v25, v36, v26, v25 op_sel:[0,1,0]
	v_pk_fma_f16 v24, v37, v26, v24 op_sel:[0,1,0]
	;; [unrolled: 1-line block ×8, first 2 shown]
	v_pk_fma_f16 v25, v38, v27, v25 op_sel_hi:[1,0,1]
	v_pk_fma_f16 v24, v39, v27, v24 op_sel_hi:[1,0,1]
	;; [unrolled: 1-line block ×8, first 2 shown]
	v_pk_fma_f16 v25, v40, v27, v25 op_sel:[0,1,0]
	v_pk_fma_f16 v24, v41, v27, v24 op_sel:[0,1,0]
	;; [unrolled: 1-line block ×8, first 2 shown]
	s_wait_alu 0xfffe
	s_cbranch_vccnz .LBB5_5
	s_branch .LBB5_7
.LBB5_6:                                ;   in Loop: Header=BB5_3 Depth=1
	v_dual_mov_b32 v25, 0 :: v_dual_mov_b32 v24, 0
	v_dual_mov_b32 v23, 0 :: v_dual_mov_b32 v22, 0
	;; [unrolled: 1-line block ×4, first 2 shown]
.LBB5_7:                                ;   in Loop: Header=BB5_3 Depth=1
	s_mul_u64 s[18:19], s[22:23], s[2:3]
	v_lshrrev_b32_e32 v29, 16, v25
	v_lshrrev_b32_e32 v28, 16, v24
	;; [unrolled: 1-line block ×8, first 2 shown]
	s_wait_alu 0xfffe
	s_lshl_b64 s[18:19], s[18:19], 1
	s_and_not1_b32 vcc_lo, exec_lo, s33
	s_wait_alu 0xfffe
	s_add_nc_u64 s[18:19], s[10:11], s[18:19]
	s_cbranch_vccnz .LBB5_9
; %bb.8:                                ;   in Loop: Header=BB5_3 Depth=1
	s_wait_alu 0xfffe
	v_add_co_u32 v32, vcc_lo, s18, v4
	s_wait_alu 0xfffd
	v_add_co_ci_u32_e64 v33, null, s19, v5, vcc_lo
	v_mul_f16_e32 v34, s30, v29
	s_delay_alu instid0(VALU_DEP_3) | instskip(SKIP_1) | instid1(VALU_DEP_3)
	v_add_co_u32 v30, vcc_lo, v32, v6
	s_wait_alu 0xfffd
	v_add_co_ci_u32_e64 v31, null, v33, v7, vcc_lo
	v_add_co_u32 v32, vcc_lo, v32, s16
	v_mul_f16_e32 v35, s30, v25
	v_mul_f16_e32 v36, s30, v28
	s_wait_alu 0xfffd
	v_add_co_ci_u32_e64 v33, null, s17, v33, vcc_lo
	v_mul_f16_e32 v37, s30, v24
	s_clause 0x3
	global_store_b16 v[30:31], v34, off
	global_store_b16 v[30:31], v35, off offset:32
	global_store_b16 v[30:31], v36, off offset:64
	;; [unrolled: 1-line block ×3, first 2 shown]
	v_add_co_u32 v30, vcc_lo, v32, v6
	s_wait_alu 0xfffd
	v_add_co_ci_u32_e64 v31, null, v33, v7, vcc_lo
	v_add_co_u32 v38, vcc_lo, v32, s16
	s_wait_alu 0xfffd
	v_add_co_ci_u32_e64 v39, null, s17, v33, vcc_lo
	v_mul_f16_e32 v34, s30, v27
	v_mul_f16_e32 v35, s30, v23
	;; [unrolled: 1-line block ×3, first 2 shown]
	v_add_co_u32 v32, vcc_lo, v38, v6
	v_mul_f16_e32 v37, s30, v22
	v_mul_f16_e32 v40, s30, v11
	s_wait_alu 0xfffd
	v_add_co_ci_u32_e64 v33, null, v39, v7, vcc_lo
	v_mul_f16_e32 v41, s30, v21
	v_mul_f16_e32 v42, s30, v10
	;; [unrolled: 1-line block ×3, first 2 shown]
	s_clause 0x7
	global_store_b16 v[30:31], v34, off
	global_store_b16 v[30:31], v35, off offset:32
	global_store_b16 v[30:31], v36, off offset:64
	;; [unrolled: 1-line block ×3, first 2 shown]
	global_store_b16 v[32:33], v40, off
	global_store_b16 v[32:33], v41, off offset:32
	global_store_b16 v[32:33], v42, off offset:64
	global_store_b16 v[32:33], v43, off offset:96
	v_add_co_u32 v30, vcc_lo, v38, s16
	s_wait_alu 0xfffd
	v_add_co_ci_u32_e64 v31, null, s17, v39, vcc_lo
	v_mul_f16_e32 v32, s30, v9
	s_delay_alu instid0(VALU_DEP_3) | instskip(SKIP_1) | instid1(VALU_DEP_3)
	v_add_co_u32 v30, vcc_lo, v30, v6
	s_wait_alu 0xfffd
	v_add_co_ci_u32_e64 v31, null, v31, v7, vcc_lo
	v_mul_f16_e32 v33, s30, v19
	v_mul_f16_e32 v34, s30, v8
	;; [unrolled: 1-line block ×3, first 2 shown]
	s_clause 0x3
	global_store_b16 v[30:31], v32, off
	global_store_b16 v[30:31], v33, off offset:32
	global_store_b16 v[30:31], v34, off offset:64
	;; [unrolled: 1-line block ×3, first 2 shown]
	s_cbranch_execnz .LBB5_2
	s_branch .LBB5_10
.LBB5_9:                                ;   in Loop: Header=BB5_3 Depth=1
.LBB5_10:                               ;   in Loop: Header=BB5_3 Depth=1
	s_mul_u64 s[20:21], s[8:9], s[2:3]
	s_wait_alu 0xfffe
	s_lshl_b64 s[20:21], s[20:21], 1
	s_wait_alu 0xfffe
	v_add_co_u32 v34, vcc_lo, v16, s20
	s_wait_alu 0xfffd
	v_add_co_ci_u32_e64 v35, null, s21, v17, vcc_lo
	s_delay_alu instid0(VALU_DEP_2) | instskip(SKIP_1) | instid1(VALU_DEP_2)
	v_add_co_u32 v30, vcc_lo, v34, v6
	s_wait_alu 0xfffd
	v_add_co_ci_u32_e64 v31, null, v35, v7, vcc_lo
	v_add_co_u32 v36, vcc_lo, s18, v4
	s_wait_alu 0xfffd
	v_add_co_ci_u32_e64 v37, null, s19, v5, vcc_lo
	global_load_u16 v32, v[30:31], off
	s_wait_loadcnt 0x0
	v_mul_f16_e32 v38, s1, v32
	v_add_co_u32 v32, vcc_lo, v36, v6
	s_wait_alu 0xfffd
	v_add_co_ci_u32_e64 v33, null, v37, v7, vcc_lo
	s_delay_alu instid0(VALU_DEP_3) | instskip(SKIP_4) | instid1(VALU_DEP_1)
	v_fmac_f16_e32 v38, s30, v29
	global_store_b16 v[32:33], v38, off
	global_load_u16 v29, v[30:31], off offset:32
	s_wait_loadcnt 0x0
	v_mul_f16_e32 v29, s1, v29
	v_fmac_f16_e32 v29, s30, v25
	global_store_b16 v[32:33], v29, off offset:32
	global_load_u16 v25, v[30:31], off offset:64
	s_wait_loadcnt 0x0
	v_mul_f16_e32 v25, s1, v25
	s_delay_alu instid0(VALU_DEP_1)
	v_fmac_f16_e32 v25, s30, v28
	global_store_b16 v[32:33], v25, off offset:64
	global_load_u16 v25, v[30:31], off offset:96
	v_add_co_u32 v30, vcc_lo, v34, s14
	s_wait_alu 0xfffd
	v_add_co_ci_u32_e64 v31, null, s15, v35, vcc_lo
	s_wait_loadcnt 0x0
	v_mul_f16_e32 v28, s1, v25
	s_delay_alu instid0(VALU_DEP_1)
	v_fmac_f16_e32 v28, s30, v24
	v_add_co_u32 v24, vcc_lo, v30, v6
	s_wait_alu 0xfffd
	v_add_co_ci_u32_e64 v25, null, v31, v7, vcc_lo
	global_store_b16 v[32:33], v28, off offset:96
	v_add_co_u32 v32, vcc_lo, v36, s16
	global_load_u16 v28, v[24:25], off
	s_wait_alu 0xfffd
	v_add_co_ci_u32_e64 v33, null, s17, v37, vcc_lo
	s_wait_loadcnt 0x0
	v_mul_f16_e32 v34, s1, v28
	v_add_co_u32 v28, vcc_lo, v32, v6
	s_wait_alu 0xfffd
	v_add_co_ci_u32_e64 v29, null, v33, v7, vcc_lo
	s_delay_alu instid0(VALU_DEP_3) | instskip(SKIP_4) | instid1(VALU_DEP_1)
	v_fmac_f16_e32 v34, s30, v27
	global_store_b16 v[28:29], v34, off
	global_load_u16 v27, v[24:25], off offset:32
	s_wait_loadcnt 0x0
	v_mul_f16_e32 v27, s1, v27
	v_fmac_f16_e32 v27, s30, v23
	global_store_b16 v[28:29], v27, off offset:32
	global_load_u16 v23, v[24:25], off offset:64
	s_wait_loadcnt 0x0
	v_mul_f16_e32 v23, s1, v23
	s_delay_alu instid0(VALU_DEP_1)
	v_fmac_f16_e32 v23, s30, v26
	v_add_co_u32 v26, vcc_lo, v30, s14
	s_wait_alu 0xfffd
	v_add_co_ci_u32_e64 v27, null, s15, v31, vcc_lo
	global_store_b16 v[28:29], v23, off offset:64
	global_load_u16 v23, v[24:25], off offset:96
	s_wait_loadcnt 0x0
	v_mul_f16_e32 v24, s1, v23
	s_delay_alu instid0(VALU_DEP_1)
	v_fmac_f16_e32 v24, s30, v22
	v_add_co_u32 v22, vcc_lo, v26, v6
	s_wait_alu 0xfffd
	v_add_co_ci_u32_e64 v23, null, v27, v7, vcc_lo
	global_store_b16 v[28:29], v24, off offset:96
	v_add_co_u32 v28, vcc_lo, v32, s16
	global_load_u16 v24, v[22:23], off
	s_wait_alu 0xfffd
	v_add_co_ci_u32_e64 v29, null, s17, v33, vcc_lo
	s_wait_loadcnt 0x0
	v_mul_f16_e32 v30, s1, v24
	v_add_co_u32 v24, vcc_lo, v28, v6
	s_wait_alu 0xfffd
	v_add_co_ci_u32_e64 v25, null, v29, v7, vcc_lo
	s_delay_alu instid0(VALU_DEP_3) | instskip(SKIP_4) | instid1(VALU_DEP_1)
	v_fmac_f16_e32 v30, s30, v11
	global_store_b16 v[24:25], v30, off
	global_load_u16 v11, v[22:23], off offset:32
	s_wait_loadcnt 0x0
	v_mul_f16_e32 v11, s1, v11
	v_fmac_f16_e32 v11, s30, v21
	global_store_b16 v[24:25], v11, off offset:32
	global_load_u16 v11, v[22:23], off offset:64
	s_wait_loadcnt 0x0
	v_mul_f16_e32 v11, s1, v11
	s_delay_alu instid0(VALU_DEP_1)
	v_fmac_f16_e32 v11, s30, v10
	global_store_b16 v[24:25], v11, off offset:64
	global_load_u16 v10, v[22:23], off offset:96
	s_wait_loadcnt 0x0
	v_mul_f16_e32 v21, s1, v10
	v_add_co_u32 v10, vcc_lo, v26, s14
	s_wait_alu 0xfffd
	v_add_co_ci_u32_e64 v11, null, s15, v27, vcc_lo
	s_delay_alu instid0(VALU_DEP_3) | instskip(NEXT) | instid1(VALU_DEP_3)
	v_fmac_f16_e32 v21, s30, v20
	v_add_co_u32 v10, vcc_lo, v10, v6
	s_wait_alu 0xfffd
	s_delay_alu instid0(VALU_DEP_3)
	v_add_co_ci_u32_e64 v11, null, v11, v7, vcc_lo
	global_store_b16 v[24:25], v21, off offset:96
	global_load_u16 v20, v[10:11], off
	s_wait_loadcnt 0x0
	v_mul_f16_e32 v22, s1, v20
	v_add_co_u32 v20, vcc_lo, v28, s16
	s_wait_alu 0xfffd
	v_add_co_ci_u32_e64 v21, null, s17, v29, vcc_lo
	s_delay_alu instid0(VALU_DEP_3) | instskip(NEXT) | instid1(VALU_DEP_3)
	v_fmac_f16_e32 v22, s30, v9
	v_add_co_u32 v20, vcc_lo, v20, v6
	s_wait_alu 0xfffd
	s_delay_alu instid0(VALU_DEP_3) | instskip(SKIP_4) | instid1(VALU_DEP_1)
	v_add_co_ci_u32_e64 v21, null, v21, v7, vcc_lo
	global_store_b16 v[20:21], v22, off
	global_load_u16 v9, v[10:11], off offset:32
	s_wait_loadcnt 0x0
	v_mul_f16_e32 v9, s1, v9
	v_fmac_f16_e32 v9, s30, v19
	global_store_b16 v[20:21], v9, off offset:32
	global_load_u16 v9, v[10:11], off offset:64
	s_wait_loadcnt 0x0
	v_mul_f16_e32 v9, s1, v9
	s_delay_alu instid0(VALU_DEP_1) | instskip(SKIP_4) | instid1(VALU_DEP_1)
	v_fmac_f16_e32 v9, s30, v8
	global_store_b16 v[20:21], v9, off offset:64
	global_load_u16 v8, v[10:11], off offset:96
	s_wait_loadcnt 0x0
	v_mul_f16_e32 v8, s1, v8
	v_fmac_f16_e32 v8, s30, v18
	global_store_b16 v[20:21], v8, off offset:96
	s_branch .LBB5_2
.LBB5_11:
	s_endpgm
	.section	.rodata,"a",@progbits
	.p2align	6, 0x0
	.amdhsa_kernel _ZN12_GLOBAL__N_127rocblas_gemm_batched_kernelIDF16_Li16ELi16ELi64ELi64ELi4ELi64ELi4ELi4ELi64ELc84ELc84EKDF16_S1_DF16_EEvlllT_PT11_llS4_llS2_PT12_llPT13_lli
		.amdhsa_group_segment_fixed_size 1024
		.amdhsa_private_segment_fixed_size 0
		.amdhsa_kernarg_size 140
		.amdhsa_user_sgpr_count 2
		.amdhsa_user_sgpr_dispatch_ptr 0
		.amdhsa_user_sgpr_queue_ptr 0
		.amdhsa_user_sgpr_kernarg_segment_ptr 1
		.amdhsa_user_sgpr_dispatch_id 0
		.amdhsa_user_sgpr_private_segment_size 0
		.amdhsa_wavefront_size32 1
		.amdhsa_uses_dynamic_stack 0
		.amdhsa_enable_private_segment 0
		.amdhsa_system_sgpr_workgroup_id_x 1
		.amdhsa_system_sgpr_workgroup_id_y 1
		.amdhsa_system_sgpr_workgroup_id_z 1
		.amdhsa_system_sgpr_workgroup_info 0
		.amdhsa_system_vgpr_workitem_id 1
		.amdhsa_next_free_vgpr 44
		.amdhsa_next_free_sgpr 38
		.amdhsa_reserve_vcc 1
		.amdhsa_float_round_mode_32 0
		.amdhsa_float_round_mode_16_64 0
		.amdhsa_float_denorm_mode_32 3
		.amdhsa_float_denorm_mode_16_64 3
		.amdhsa_fp16_overflow 0
		.amdhsa_workgroup_processor_mode 1
		.amdhsa_memory_ordered 1
		.amdhsa_forward_progress 1
		.amdhsa_inst_pref_size 22
		.amdhsa_round_robin_scheduling 0
		.amdhsa_exception_fp_ieee_invalid_op 0
		.amdhsa_exception_fp_denorm_src 0
		.amdhsa_exception_fp_ieee_div_zero 0
		.amdhsa_exception_fp_ieee_overflow 0
		.amdhsa_exception_fp_ieee_underflow 0
		.amdhsa_exception_fp_ieee_inexact 0
		.amdhsa_exception_int_div_zero 0
	.end_amdhsa_kernel
	.section	.text._ZN12_GLOBAL__N_127rocblas_gemm_batched_kernelIDF16_Li16ELi16ELi64ELi64ELi4ELi64ELi4ELi4ELi64ELc84ELc84EKDF16_S1_DF16_EEvlllT_PT11_llS4_llS2_PT12_llPT13_lli,"axG",@progbits,_ZN12_GLOBAL__N_127rocblas_gemm_batched_kernelIDF16_Li16ELi16ELi64ELi64ELi4ELi64ELi4ELi4ELi64ELc84ELc84EKDF16_S1_DF16_EEvlllT_PT11_llS4_llS2_PT12_llPT13_lli,comdat
.Lfunc_end5:
	.size	_ZN12_GLOBAL__N_127rocblas_gemm_batched_kernelIDF16_Li16ELi16ELi64ELi64ELi4ELi64ELi4ELi4ELi64ELc84ELc84EKDF16_S1_DF16_EEvlllT_PT11_llS4_llS2_PT12_llPT13_lli, .Lfunc_end5-_ZN12_GLOBAL__N_127rocblas_gemm_batched_kernelIDF16_Li16ELi16ELi64ELi64ELi4ELi64ELi4ELi4ELi64ELc84ELc84EKDF16_S1_DF16_EEvlllT_PT11_llS4_llS2_PT12_llPT13_lli
                                        ; -- End function
	.set _ZN12_GLOBAL__N_127rocblas_gemm_batched_kernelIDF16_Li16ELi16ELi64ELi64ELi4ELi64ELi4ELi4ELi64ELc84ELc84EKDF16_S1_DF16_EEvlllT_PT11_llS4_llS2_PT12_llPT13_lli.num_vgpr, 44
	.set _ZN12_GLOBAL__N_127rocblas_gemm_batched_kernelIDF16_Li16ELi16ELi64ELi64ELi4ELi64ELi4ELi4ELi64ELc84ELc84EKDF16_S1_DF16_EEvlllT_PT11_llS4_llS2_PT12_llPT13_lli.num_agpr, 0
	.set _ZN12_GLOBAL__N_127rocblas_gemm_batched_kernelIDF16_Li16ELi16ELi64ELi64ELi4ELi64ELi4ELi4ELi64ELc84ELc84EKDF16_S1_DF16_EEvlllT_PT11_llS4_llS2_PT12_llPT13_lli.numbered_sgpr, 38
	.set _ZN12_GLOBAL__N_127rocblas_gemm_batched_kernelIDF16_Li16ELi16ELi64ELi64ELi4ELi64ELi4ELi4ELi64ELc84ELc84EKDF16_S1_DF16_EEvlllT_PT11_llS4_llS2_PT12_llPT13_lli.num_named_barrier, 0
	.set _ZN12_GLOBAL__N_127rocblas_gemm_batched_kernelIDF16_Li16ELi16ELi64ELi64ELi4ELi64ELi4ELi4ELi64ELc84ELc84EKDF16_S1_DF16_EEvlllT_PT11_llS4_llS2_PT12_llPT13_lli.private_seg_size, 0
	.set _ZN12_GLOBAL__N_127rocblas_gemm_batched_kernelIDF16_Li16ELi16ELi64ELi64ELi4ELi64ELi4ELi4ELi64ELc84ELc84EKDF16_S1_DF16_EEvlllT_PT11_llS4_llS2_PT12_llPT13_lli.uses_vcc, 1
	.set _ZN12_GLOBAL__N_127rocblas_gemm_batched_kernelIDF16_Li16ELi16ELi64ELi64ELi4ELi64ELi4ELi4ELi64ELc84ELc84EKDF16_S1_DF16_EEvlllT_PT11_llS4_llS2_PT12_llPT13_lli.uses_flat_scratch, 0
	.set _ZN12_GLOBAL__N_127rocblas_gemm_batched_kernelIDF16_Li16ELi16ELi64ELi64ELi4ELi64ELi4ELi4ELi64ELc84ELc84EKDF16_S1_DF16_EEvlllT_PT11_llS4_llS2_PT12_llPT13_lli.has_dyn_sized_stack, 0
	.set _ZN12_GLOBAL__N_127rocblas_gemm_batched_kernelIDF16_Li16ELi16ELi64ELi64ELi4ELi64ELi4ELi4ELi64ELc84ELc84EKDF16_S1_DF16_EEvlllT_PT11_llS4_llS2_PT12_llPT13_lli.has_recursion, 0
	.set _ZN12_GLOBAL__N_127rocblas_gemm_batched_kernelIDF16_Li16ELi16ELi64ELi64ELi4ELi64ELi4ELi4ELi64ELc84ELc84EKDF16_S1_DF16_EEvlllT_PT11_llS4_llS2_PT12_llPT13_lli.has_indirect_call, 0
	.section	.AMDGPU.csdata,"",@progbits
; Kernel info:
; codeLenInByte = 2744
; TotalNumSgprs: 40
; NumVgprs: 44
; ScratchSize: 0
; MemoryBound: 0
; FloatMode: 240
; IeeeMode: 1
; LDSByteSize: 1024 bytes/workgroup (compile time only)
; SGPRBlocks: 0
; VGPRBlocks: 5
; NumSGPRsForWavesPerEU: 40
; NumVGPRsForWavesPerEU: 44
; Occupancy: 16
; WaveLimiterHint : 0
; COMPUTE_PGM_RSRC2:SCRATCH_EN: 0
; COMPUTE_PGM_RSRC2:USER_SGPR: 2
; COMPUTE_PGM_RSRC2:TRAP_HANDLER: 0
; COMPUTE_PGM_RSRC2:TGID_X_EN: 1
; COMPUTE_PGM_RSRC2:TGID_Y_EN: 1
; COMPUTE_PGM_RSRC2:TGID_Z_EN: 1
; COMPUTE_PGM_RSRC2:TIDIG_COMP_CNT: 1
	.section	.text._ZN12_GLOBAL__N_127rocblas_gemm_batched_kernelIDF16_Li16ELi16ELi64ELi64ELi4ELi64ELi4ELi4ELi64ELc67ELc67EKDF16_S1_DF16_EEvlllT_PT11_llS4_llS2_PT12_llPT13_lli,"axG",@progbits,_ZN12_GLOBAL__N_127rocblas_gemm_batched_kernelIDF16_Li16ELi16ELi64ELi64ELi4ELi64ELi4ELi4ELi64ELc67ELc67EKDF16_S1_DF16_EEvlllT_PT11_llS4_llS2_PT12_llPT13_lli,comdat
	.globl	_ZN12_GLOBAL__N_127rocblas_gemm_batched_kernelIDF16_Li16ELi16ELi64ELi64ELi4ELi64ELi4ELi4ELi64ELc67ELc67EKDF16_S1_DF16_EEvlllT_PT11_llS4_llS2_PT12_llPT13_lli ; -- Begin function _ZN12_GLOBAL__N_127rocblas_gemm_batched_kernelIDF16_Li16ELi16ELi64ELi64ELi4ELi64ELi4ELi4ELi64ELc67ELc67EKDF16_S1_DF16_EEvlllT_PT11_llS4_llS2_PT12_llPT13_lli
	.p2align	8
	.type	_ZN12_GLOBAL__N_127rocblas_gemm_batched_kernelIDF16_Li16ELi16ELi64ELi64ELi4ELi64ELi4ELi4ELi64ELc67ELc67EKDF16_S1_DF16_EEvlllT_PT11_llS4_llS2_PT12_llPT13_lli,@function
_ZN12_GLOBAL__N_127rocblas_gemm_batched_kernelIDF16_Li16ELi16ELi64ELi64ELi4ELi64ELi4ELi4ELi64ELc67ELc67EKDF16_S1_DF16_EEvlllT_PT11_llS4_llS2_PT12_llPT13_lli: ; @_ZN12_GLOBAL__N_127rocblas_gemm_batched_kernelIDF16_Li16ELi16ELi64ELi64ELi4ELi64ELi4ELi4ELi64ELc67ELc67EKDF16_S1_DF16_EEvlllT_PT11_llS4_llS2_PT12_llPT13_lli
; %bb.0:
	s_load_b32 s31, s[0:1], 0x88
	s_lshr_b32 s2, ttmp7, 16
	s_wait_kmcnt 0x0
	s_cmp_ge_i32 s2, s31
	s_cbranch_scc1 .LBB6_11
; %bb.1:
	v_dual_mov_b32 v1, 0 :: v_dual_and_b32 v8, 0x3ff, v0
	v_bfe_u32 v6, v0, 10, 10
	s_clause 0x5
	s_load_b96 s[28:30], s[0:1], 0x10
	s_load_b128 s[20:23], s[0:1], 0x78
	s_load_b256 s[12:19], s[0:1], 0x20
	s_load_b256 s[4:11], s[0:1], 0x58
	s_load_b128 s[24:27], s[0:1], 0x40
	s_load_b32 s1, s[0:1], 0x50
	v_and_b32_e32 v9, 3, v0
	s_lshl_b32 s0, ttmp7, 6
	v_lshl_add_u32 v2, v6, 4, v8
	s_and_b32 s0, s0, 0x3fffc0
	v_lshl_add_u32 v15, v6, 3, 0x200
	v_add_nc_u32_e32 v7, s0, v6
	v_lshlrev_b32_e32 v3, 1, v9
	v_and_b32_e32 v10, 63, v2
	v_lshrrev_b32_e32 v0, 2, v2
	v_lshrrev_b32_e32 v18, 6, v2
	s_mov_b32 s34, ttmp9
	s_ashr_i32 s35, ttmp9, 31
	v_lshlrev_b32_e32 v2, 1, v10
	v_lshl_or_b32 v11, v0, 3, v3
	s_lshl_b64 s[34:35], s[34:35], 6
	v_lshlrev_b32_e32 v14, 1, v8
	s_wait_kmcnt 0x0
	v_mad_co_u64_u32 v[4:5], null, v7, s20, 0
	v_lshl_or_b32 v12, v18, 7, v2
	v_mad_co_u64_u32 v[2:3], null, v7, s6, 0
	v_mad_co_u64_u32 v[0:1], null, s24, v9, v[0:1]
	v_add_nc_u32_e32 v13, 0x200, v11
	v_mad_co_u64_u32 v[5:6], null, v7, s21, v[5:6]
	s_cmp_eq_f16 s1, 0
	v_mad_co_u64_u32 v[6:7], null, v7, s7, v[3:4]
	v_add_co_u32 v0, vcc_lo, v0, s0
	s_mul_i32 s0, s14, s35
	v_add_co_u32 v7, s36, s34, v8
	s_delay_alu instid0(VALU_DEP_1) | instskip(SKIP_4) | instid1(VALU_DEP_4)
	v_add_co_ci_u32_e64 v8, null, s35, 0, s36
	v_mov_b32_e32 v3, v6
	v_or_b32_e32 v11, s34, v10
	v_mad_co_u64_u32 v[9:10], null, s25, v9, v[1:2]
	v_lshlrev_b64_e32 v[4:5], 1, v[4:5]
	v_lshlrev_b64_e32 v[2:3], 1, v[2:3]
	s_delay_alu instid0(VALU_DEP_4)
	v_mul_lo_u32 v6, s15, v11
	v_mad_co_u64_u32 v[10:11], null, s14, v11, 0
	s_cselect_b32 s33, -1, 0
	v_add_co_ci_u32_e64 v1, null, 0, v9, vcc_lo
	v_add_co_u32 v16, vcc_lo, s4, v2
	s_wait_alu 0xfffd
	v_add_co_ci_u32_e64 v17, null, s5, v3, vcc_lo
	s_wait_alu 0xfffe
	v_add3_u32 v11, v11, s0, v6
	v_lshlrev_b64_e32 v[0:1], 1, v[0:1]
	v_lshlrev_b32_e32 v6, 1, v18
	v_cmp_gt_i64_e64 s0, s[28:29], 0
	s_lshl_b64 s[20:21], s[20:21], 4
	v_lshlrev_b64_e32 v[2:3], 1, v[10:11]
	s_lshl_b64 s[36:37], s[6:7], 4
	v_add_co_u32 v0, vcc_lo, s18, v0
	s_wait_alu 0xfffd
	v_add_co_ci_u32_e64 v1, null, s19, v1, vcc_lo
	s_delay_alu instid0(VALU_DEP_3) | instskip(SKIP_3) | instid1(VALU_DEP_3)
	v_add_co_u32 v2, vcc_lo, v2, v6
	s_wait_alu 0xfffd
	v_add_co_ci_u32_e64 v3, null, 0, v3, vcc_lo
	v_cndmask_b32_e64 v9, 0, 1, s0
	v_add_co_u32 v2, vcc_lo, s12, v2
	v_lshlrev_b64_e32 v[6:7], 1, v[7:8]
	s_wait_alu 0xfffd
	v_add_co_ci_u32_e64 v3, null, s13, v3, vcc_lo
	v_cmp_ne_u32_e64 s0, 1, v9
	s_mov_b32 s3, 0
	s_lshl_b64 s[4:5], s[26:27], 1
	s_lshl_b64 s[6:7], s[24:25], 3
	;; [unrolled: 1-line block ×3, first 2 shown]
	s_wait_alu 0xfffe
	s_lshl_b64 s[14:15], s[36:37], 1
	s_lshl_b64 s[16:17], s[20:21], 1
	s_branch .LBB6_3
.LBB6_2:                                ;   in Loop: Header=BB6_3 Depth=1
	s_add_co_i32 s2, s2, 0x10000
	s_wait_alu 0xfffe
	s_cmp_lt_i32 s2, s31
	s_cbranch_scc0 .LBB6_11
.LBB6_3:                                ; =>This Loop Header: Depth=1
                                        ;     Child Loop BB6_5 Depth 2
	s_and_b32 vcc_lo, exec_lo, s0
	s_wait_alu 0xfffe
	s_cbranch_vccnz .LBB6_6
; %bb.4:                                ;   in Loop: Header=BB6_3 Depth=1
	v_mad_co_u64_u32 v[8:9], null, s4, s2, v[0:1]
	v_mad_co_u64_u32 v[10:11], null, s12, s2, v[2:3]
	v_dual_mov_b32 v18, 0 :: v_dual_mov_b32 v19, 0
	v_dual_mov_b32 v20, 0 :: v_dual_mov_b32 v21, 0
	;; [unrolled: 1-line block ×3, first 2 shown]
	s_delay_alu instid0(VALU_DEP_4) | instskip(SKIP_3) | instid1(VALU_DEP_3)
	v_mad_co_u64_u32 v[25:26], null, s5, s2, v[9:10]
	v_mad_co_u64_u32 v[26:27], null, s13, s2, v[11:12]
	v_mov_b32_e32 v24, 0
	s_mov_b64 s[18:19], 0
	v_mov_b32_e32 v9, v25
	v_mov_b32_e32 v25, 0
	s_delay_alu instid0(VALU_DEP_4)
	v_mov_b32_e32 v11, v26
.LBB6_5:                                ;   Parent Loop BB6_3 Depth=1
                                        ; =>  This Inner Loop Header: Depth=2
	global_load_u16 v26, v[10:11], off
	global_load_u16 v27, v[8:9], off
	s_wait_alu 0xfffe
	s_add_nc_u64 s[18:19], s[18:19], 4
	v_add_co_u32 v8, vcc_lo, v8, s6
	s_wait_alu 0xfffe
	v_cmp_lt_i64_e64 s20, s[18:19], s[28:29]
	s_wait_alu 0xfffd
	v_add_co_ci_u32_e64 v9, null, s7, v9, vcc_lo
	v_add_co_u32 v10, vcc_lo, v10, 8
	s_wait_alu 0xfffd
	v_add_co_ci_u32_e64 v11, null, 0, v11, vcc_lo
	s_and_b32 vcc_lo, exec_lo, s20
	s_wait_loadcnt 0x1
	ds_store_b16 v12, v26
	s_wait_loadcnt 0x0
	ds_store_b16 v13, v27
	s_wait_dscnt 0x0
	s_barrier_signal -1
	s_barrier_wait -1
	global_inv scope:SCOPE_SE
	ds_load_u16 v34, v14 offset:32
	ds_load_u16 v35, v14 offset:96
	;; [unrolled: 1-line block ×8, first 2 shown]
	ds_load_2addr_b64 v[26:29], v15 offset1:16
	ds_load_2addr_b64 v[30:33], v15 offset0:32 offset1:48
	s_wait_dscnt 0x9
	ds_load_u16_d16_hi v34, v14
	s_wait_dscnt 0x9
	ds_load_u16_d16_hi v35, v14 offset:64
	s_wait_dscnt 0x9
	ds_load_u16_d16_hi v36, v14 offset:128
	s_wait_dscnt 0x9
	ds_load_u16_d16_hi v37, v14 offset:192
	s_wait_dscnt 0x9
	ds_load_u16_d16_hi v38, v14 offset:256
	s_wait_dscnt 0x9
	ds_load_u16_d16_hi v39, v14 offset:320
	s_wait_dscnt 0x9
	ds_load_u16_d16_hi v40, v14 offset:384
	s_wait_dscnt 0x9
	ds_load_u16_d16_hi v41, v14 offset:448
	s_wait_loadcnt_dscnt 0x0
	s_barrier_signal -1
	s_barrier_wait -1
	global_inv scope:SCOPE_SE
	v_pk_fma_f16 v25, v34, v26, v25 op_sel_hi:[1,0,1]
	v_pk_fma_f16 v24, v35, v26, v24 op_sel_hi:[1,0,1]
	;; [unrolled: 1-line block ×8, first 2 shown]
	v_pk_fma_f16 v25, v36, v26, v25 op_sel:[0,1,0]
	v_pk_fma_f16 v24, v37, v26, v24 op_sel:[0,1,0]
	v_pk_fma_f16 v23, v36, v28, v23 op_sel:[0,1,0]
	v_pk_fma_f16 v22, v37, v28, v22 op_sel:[0,1,0]
	v_pk_fma_f16 v21, v36, v30, v21 op_sel:[0,1,0]
	v_pk_fma_f16 v20, v37, v30, v20 op_sel:[0,1,0]
	v_pk_fma_f16 v19, v36, v32, v19 op_sel:[0,1,0]
	v_pk_fma_f16 v18, v37, v32, v18 op_sel:[0,1,0]
	v_pk_fma_f16 v25, v38, v27, v25 op_sel_hi:[1,0,1]
	v_pk_fma_f16 v24, v39, v27, v24 op_sel_hi:[1,0,1]
	;; [unrolled: 1-line block ×8, first 2 shown]
	v_pk_fma_f16 v25, v40, v27, v25 op_sel:[0,1,0]
	v_pk_fma_f16 v24, v41, v27, v24 op_sel:[0,1,0]
	;; [unrolled: 1-line block ×8, first 2 shown]
	s_wait_alu 0xfffe
	s_cbranch_vccnz .LBB6_5
	s_branch .LBB6_7
.LBB6_6:                                ;   in Loop: Header=BB6_3 Depth=1
	v_dual_mov_b32 v25, 0 :: v_dual_mov_b32 v24, 0
	v_dual_mov_b32 v23, 0 :: v_dual_mov_b32 v22, 0
	;; [unrolled: 1-line block ×4, first 2 shown]
.LBB6_7:                                ;   in Loop: Header=BB6_3 Depth=1
	s_mul_u64 s[18:19], s[22:23], s[2:3]
	v_lshrrev_b32_e32 v29, 16, v25
	v_lshrrev_b32_e32 v28, 16, v24
	;; [unrolled: 1-line block ×8, first 2 shown]
	s_wait_alu 0xfffe
	s_lshl_b64 s[18:19], s[18:19], 1
	s_and_not1_b32 vcc_lo, exec_lo, s33
	s_wait_alu 0xfffe
	s_add_nc_u64 s[18:19], s[10:11], s[18:19]
	s_cbranch_vccnz .LBB6_9
; %bb.8:                                ;   in Loop: Header=BB6_3 Depth=1
	s_wait_alu 0xfffe
	v_add_co_u32 v32, vcc_lo, s18, v4
	s_wait_alu 0xfffd
	v_add_co_ci_u32_e64 v33, null, s19, v5, vcc_lo
	v_mul_f16_e32 v34, s30, v29
	s_delay_alu instid0(VALU_DEP_3) | instskip(SKIP_1) | instid1(VALU_DEP_3)
	v_add_co_u32 v30, vcc_lo, v32, v6
	s_wait_alu 0xfffd
	v_add_co_ci_u32_e64 v31, null, v33, v7, vcc_lo
	v_add_co_u32 v32, vcc_lo, v32, s16
	v_mul_f16_e32 v35, s30, v25
	v_mul_f16_e32 v36, s30, v28
	s_wait_alu 0xfffd
	v_add_co_ci_u32_e64 v33, null, s17, v33, vcc_lo
	v_mul_f16_e32 v37, s30, v24
	s_clause 0x3
	global_store_b16 v[30:31], v34, off
	global_store_b16 v[30:31], v35, off offset:32
	global_store_b16 v[30:31], v36, off offset:64
	;; [unrolled: 1-line block ×3, first 2 shown]
	v_add_co_u32 v30, vcc_lo, v32, v6
	s_wait_alu 0xfffd
	v_add_co_ci_u32_e64 v31, null, v33, v7, vcc_lo
	v_add_co_u32 v38, vcc_lo, v32, s16
	s_wait_alu 0xfffd
	v_add_co_ci_u32_e64 v39, null, s17, v33, vcc_lo
	v_mul_f16_e32 v34, s30, v27
	v_mul_f16_e32 v35, s30, v23
	;; [unrolled: 1-line block ×3, first 2 shown]
	v_add_co_u32 v32, vcc_lo, v38, v6
	v_mul_f16_e32 v37, s30, v22
	v_mul_f16_e32 v40, s30, v11
	s_wait_alu 0xfffd
	v_add_co_ci_u32_e64 v33, null, v39, v7, vcc_lo
	v_mul_f16_e32 v41, s30, v21
	v_mul_f16_e32 v42, s30, v10
	;; [unrolled: 1-line block ×3, first 2 shown]
	s_clause 0x7
	global_store_b16 v[30:31], v34, off
	global_store_b16 v[30:31], v35, off offset:32
	global_store_b16 v[30:31], v36, off offset:64
	;; [unrolled: 1-line block ×3, first 2 shown]
	global_store_b16 v[32:33], v40, off
	global_store_b16 v[32:33], v41, off offset:32
	global_store_b16 v[32:33], v42, off offset:64
	;; [unrolled: 1-line block ×3, first 2 shown]
	v_add_co_u32 v30, vcc_lo, v38, s16
	s_wait_alu 0xfffd
	v_add_co_ci_u32_e64 v31, null, s17, v39, vcc_lo
	v_mul_f16_e32 v32, s30, v9
	s_delay_alu instid0(VALU_DEP_3) | instskip(SKIP_1) | instid1(VALU_DEP_3)
	v_add_co_u32 v30, vcc_lo, v30, v6
	s_wait_alu 0xfffd
	v_add_co_ci_u32_e64 v31, null, v31, v7, vcc_lo
	v_mul_f16_e32 v33, s30, v19
	v_mul_f16_e32 v34, s30, v8
	;; [unrolled: 1-line block ×3, first 2 shown]
	s_clause 0x3
	global_store_b16 v[30:31], v32, off
	global_store_b16 v[30:31], v33, off offset:32
	global_store_b16 v[30:31], v34, off offset:64
	;; [unrolled: 1-line block ×3, first 2 shown]
	s_cbranch_execnz .LBB6_2
	s_branch .LBB6_10
.LBB6_9:                                ;   in Loop: Header=BB6_3 Depth=1
.LBB6_10:                               ;   in Loop: Header=BB6_3 Depth=1
	s_mul_u64 s[20:21], s[8:9], s[2:3]
	s_wait_alu 0xfffe
	s_lshl_b64 s[20:21], s[20:21], 1
	s_wait_alu 0xfffe
	v_add_co_u32 v34, vcc_lo, v16, s20
	s_wait_alu 0xfffd
	v_add_co_ci_u32_e64 v35, null, s21, v17, vcc_lo
	s_delay_alu instid0(VALU_DEP_2) | instskip(SKIP_1) | instid1(VALU_DEP_2)
	v_add_co_u32 v30, vcc_lo, v34, v6
	s_wait_alu 0xfffd
	v_add_co_ci_u32_e64 v31, null, v35, v7, vcc_lo
	v_add_co_u32 v36, vcc_lo, s18, v4
	s_wait_alu 0xfffd
	v_add_co_ci_u32_e64 v37, null, s19, v5, vcc_lo
	global_load_u16 v32, v[30:31], off
	s_wait_loadcnt 0x0
	v_mul_f16_e32 v38, s1, v32
	v_add_co_u32 v32, vcc_lo, v36, v6
	s_wait_alu 0xfffd
	v_add_co_ci_u32_e64 v33, null, v37, v7, vcc_lo
	s_delay_alu instid0(VALU_DEP_3) | instskip(SKIP_4) | instid1(VALU_DEP_1)
	v_fmac_f16_e32 v38, s30, v29
	global_store_b16 v[32:33], v38, off
	global_load_u16 v29, v[30:31], off offset:32
	s_wait_loadcnt 0x0
	v_mul_f16_e32 v29, s1, v29
	v_fmac_f16_e32 v29, s30, v25
	global_store_b16 v[32:33], v29, off offset:32
	global_load_u16 v25, v[30:31], off offset:64
	s_wait_loadcnt 0x0
	v_mul_f16_e32 v25, s1, v25
	s_delay_alu instid0(VALU_DEP_1)
	v_fmac_f16_e32 v25, s30, v28
	global_store_b16 v[32:33], v25, off offset:64
	global_load_u16 v25, v[30:31], off offset:96
	v_add_co_u32 v30, vcc_lo, v34, s14
	s_wait_alu 0xfffd
	v_add_co_ci_u32_e64 v31, null, s15, v35, vcc_lo
	s_wait_loadcnt 0x0
	v_mul_f16_e32 v28, s1, v25
	s_delay_alu instid0(VALU_DEP_1)
	v_fmac_f16_e32 v28, s30, v24
	v_add_co_u32 v24, vcc_lo, v30, v6
	s_wait_alu 0xfffd
	v_add_co_ci_u32_e64 v25, null, v31, v7, vcc_lo
	global_store_b16 v[32:33], v28, off offset:96
	v_add_co_u32 v32, vcc_lo, v36, s16
	global_load_u16 v28, v[24:25], off
	s_wait_alu 0xfffd
	v_add_co_ci_u32_e64 v33, null, s17, v37, vcc_lo
	s_wait_loadcnt 0x0
	v_mul_f16_e32 v34, s1, v28
	v_add_co_u32 v28, vcc_lo, v32, v6
	s_wait_alu 0xfffd
	v_add_co_ci_u32_e64 v29, null, v33, v7, vcc_lo
	s_delay_alu instid0(VALU_DEP_3) | instskip(SKIP_4) | instid1(VALU_DEP_1)
	v_fmac_f16_e32 v34, s30, v27
	global_store_b16 v[28:29], v34, off
	global_load_u16 v27, v[24:25], off offset:32
	s_wait_loadcnt 0x0
	v_mul_f16_e32 v27, s1, v27
	v_fmac_f16_e32 v27, s30, v23
	global_store_b16 v[28:29], v27, off offset:32
	global_load_u16 v23, v[24:25], off offset:64
	s_wait_loadcnt 0x0
	v_mul_f16_e32 v23, s1, v23
	s_delay_alu instid0(VALU_DEP_1)
	v_fmac_f16_e32 v23, s30, v26
	v_add_co_u32 v26, vcc_lo, v30, s14
	s_wait_alu 0xfffd
	v_add_co_ci_u32_e64 v27, null, s15, v31, vcc_lo
	global_store_b16 v[28:29], v23, off offset:64
	global_load_u16 v23, v[24:25], off offset:96
	s_wait_loadcnt 0x0
	v_mul_f16_e32 v24, s1, v23
	s_delay_alu instid0(VALU_DEP_1)
	v_fmac_f16_e32 v24, s30, v22
	v_add_co_u32 v22, vcc_lo, v26, v6
	s_wait_alu 0xfffd
	v_add_co_ci_u32_e64 v23, null, v27, v7, vcc_lo
	global_store_b16 v[28:29], v24, off offset:96
	v_add_co_u32 v28, vcc_lo, v32, s16
	global_load_u16 v24, v[22:23], off
	s_wait_alu 0xfffd
	v_add_co_ci_u32_e64 v29, null, s17, v33, vcc_lo
	s_wait_loadcnt 0x0
	v_mul_f16_e32 v30, s1, v24
	v_add_co_u32 v24, vcc_lo, v28, v6
	s_wait_alu 0xfffd
	v_add_co_ci_u32_e64 v25, null, v29, v7, vcc_lo
	s_delay_alu instid0(VALU_DEP_3) | instskip(SKIP_4) | instid1(VALU_DEP_1)
	v_fmac_f16_e32 v30, s30, v11
	global_store_b16 v[24:25], v30, off
	global_load_u16 v11, v[22:23], off offset:32
	s_wait_loadcnt 0x0
	v_mul_f16_e32 v11, s1, v11
	v_fmac_f16_e32 v11, s30, v21
	global_store_b16 v[24:25], v11, off offset:32
	global_load_u16 v11, v[22:23], off offset:64
	s_wait_loadcnt 0x0
	v_mul_f16_e32 v11, s1, v11
	s_delay_alu instid0(VALU_DEP_1)
	v_fmac_f16_e32 v11, s30, v10
	global_store_b16 v[24:25], v11, off offset:64
	global_load_u16 v10, v[22:23], off offset:96
	s_wait_loadcnt 0x0
	v_mul_f16_e32 v21, s1, v10
	v_add_co_u32 v10, vcc_lo, v26, s14
	s_wait_alu 0xfffd
	v_add_co_ci_u32_e64 v11, null, s15, v27, vcc_lo
	s_delay_alu instid0(VALU_DEP_3) | instskip(NEXT) | instid1(VALU_DEP_3)
	v_fmac_f16_e32 v21, s30, v20
	v_add_co_u32 v10, vcc_lo, v10, v6
	s_wait_alu 0xfffd
	s_delay_alu instid0(VALU_DEP_3)
	v_add_co_ci_u32_e64 v11, null, v11, v7, vcc_lo
	global_store_b16 v[24:25], v21, off offset:96
	global_load_u16 v20, v[10:11], off
	s_wait_loadcnt 0x0
	v_mul_f16_e32 v22, s1, v20
	v_add_co_u32 v20, vcc_lo, v28, s16
	s_wait_alu 0xfffd
	v_add_co_ci_u32_e64 v21, null, s17, v29, vcc_lo
	s_delay_alu instid0(VALU_DEP_3) | instskip(NEXT) | instid1(VALU_DEP_3)
	v_fmac_f16_e32 v22, s30, v9
	v_add_co_u32 v20, vcc_lo, v20, v6
	s_wait_alu 0xfffd
	s_delay_alu instid0(VALU_DEP_3) | instskip(SKIP_4) | instid1(VALU_DEP_1)
	v_add_co_ci_u32_e64 v21, null, v21, v7, vcc_lo
	global_store_b16 v[20:21], v22, off
	global_load_u16 v9, v[10:11], off offset:32
	s_wait_loadcnt 0x0
	v_mul_f16_e32 v9, s1, v9
	v_fmac_f16_e32 v9, s30, v19
	global_store_b16 v[20:21], v9, off offset:32
	global_load_u16 v9, v[10:11], off offset:64
	s_wait_loadcnt 0x0
	v_mul_f16_e32 v9, s1, v9
	s_delay_alu instid0(VALU_DEP_1) | instskip(SKIP_4) | instid1(VALU_DEP_1)
	v_fmac_f16_e32 v9, s30, v8
	global_store_b16 v[20:21], v9, off offset:64
	global_load_u16 v8, v[10:11], off offset:96
	s_wait_loadcnt 0x0
	v_mul_f16_e32 v8, s1, v8
	v_fmac_f16_e32 v8, s30, v18
	global_store_b16 v[20:21], v8, off offset:96
	s_branch .LBB6_2
.LBB6_11:
	s_endpgm
	.section	.rodata,"a",@progbits
	.p2align	6, 0x0
	.amdhsa_kernel _ZN12_GLOBAL__N_127rocblas_gemm_batched_kernelIDF16_Li16ELi16ELi64ELi64ELi4ELi64ELi4ELi4ELi64ELc67ELc67EKDF16_S1_DF16_EEvlllT_PT11_llS4_llS2_PT12_llPT13_lli
		.amdhsa_group_segment_fixed_size 1024
		.amdhsa_private_segment_fixed_size 0
		.amdhsa_kernarg_size 140
		.amdhsa_user_sgpr_count 2
		.amdhsa_user_sgpr_dispatch_ptr 0
		.amdhsa_user_sgpr_queue_ptr 0
		.amdhsa_user_sgpr_kernarg_segment_ptr 1
		.amdhsa_user_sgpr_dispatch_id 0
		.amdhsa_user_sgpr_private_segment_size 0
		.amdhsa_wavefront_size32 1
		.amdhsa_uses_dynamic_stack 0
		.amdhsa_enable_private_segment 0
		.amdhsa_system_sgpr_workgroup_id_x 1
		.amdhsa_system_sgpr_workgroup_id_y 1
		.amdhsa_system_sgpr_workgroup_id_z 1
		.amdhsa_system_sgpr_workgroup_info 0
		.amdhsa_system_vgpr_workitem_id 1
		.amdhsa_next_free_vgpr 44
		.amdhsa_next_free_sgpr 38
		.amdhsa_reserve_vcc 1
		.amdhsa_float_round_mode_32 0
		.amdhsa_float_round_mode_16_64 0
		.amdhsa_float_denorm_mode_32 3
		.amdhsa_float_denorm_mode_16_64 3
		.amdhsa_fp16_overflow 0
		.amdhsa_workgroup_processor_mode 1
		.amdhsa_memory_ordered 1
		.amdhsa_forward_progress 1
		.amdhsa_inst_pref_size 22
		.amdhsa_round_robin_scheduling 0
		.amdhsa_exception_fp_ieee_invalid_op 0
		.amdhsa_exception_fp_denorm_src 0
		.amdhsa_exception_fp_ieee_div_zero 0
		.amdhsa_exception_fp_ieee_overflow 0
		.amdhsa_exception_fp_ieee_underflow 0
		.amdhsa_exception_fp_ieee_inexact 0
		.amdhsa_exception_int_div_zero 0
	.end_amdhsa_kernel
	.section	.text._ZN12_GLOBAL__N_127rocblas_gemm_batched_kernelIDF16_Li16ELi16ELi64ELi64ELi4ELi64ELi4ELi4ELi64ELc67ELc67EKDF16_S1_DF16_EEvlllT_PT11_llS4_llS2_PT12_llPT13_lli,"axG",@progbits,_ZN12_GLOBAL__N_127rocblas_gemm_batched_kernelIDF16_Li16ELi16ELi64ELi64ELi4ELi64ELi4ELi4ELi64ELc67ELc67EKDF16_S1_DF16_EEvlllT_PT11_llS4_llS2_PT12_llPT13_lli,comdat
.Lfunc_end6:
	.size	_ZN12_GLOBAL__N_127rocblas_gemm_batched_kernelIDF16_Li16ELi16ELi64ELi64ELi4ELi64ELi4ELi4ELi64ELc67ELc67EKDF16_S1_DF16_EEvlllT_PT11_llS4_llS2_PT12_llPT13_lli, .Lfunc_end6-_ZN12_GLOBAL__N_127rocblas_gemm_batched_kernelIDF16_Li16ELi16ELi64ELi64ELi4ELi64ELi4ELi4ELi64ELc67ELc67EKDF16_S1_DF16_EEvlllT_PT11_llS4_llS2_PT12_llPT13_lli
                                        ; -- End function
	.set _ZN12_GLOBAL__N_127rocblas_gemm_batched_kernelIDF16_Li16ELi16ELi64ELi64ELi4ELi64ELi4ELi4ELi64ELc67ELc67EKDF16_S1_DF16_EEvlllT_PT11_llS4_llS2_PT12_llPT13_lli.num_vgpr, 44
	.set _ZN12_GLOBAL__N_127rocblas_gemm_batched_kernelIDF16_Li16ELi16ELi64ELi64ELi4ELi64ELi4ELi4ELi64ELc67ELc67EKDF16_S1_DF16_EEvlllT_PT11_llS4_llS2_PT12_llPT13_lli.num_agpr, 0
	.set _ZN12_GLOBAL__N_127rocblas_gemm_batched_kernelIDF16_Li16ELi16ELi64ELi64ELi4ELi64ELi4ELi4ELi64ELc67ELc67EKDF16_S1_DF16_EEvlllT_PT11_llS4_llS2_PT12_llPT13_lli.numbered_sgpr, 38
	.set _ZN12_GLOBAL__N_127rocblas_gemm_batched_kernelIDF16_Li16ELi16ELi64ELi64ELi4ELi64ELi4ELi4ELi64ELc67ELc67EKDF16_S1_DF16_EEvlllT_PT11_llS4_llS2_PT12_llPT13_lli.num_named_barrier, 0
	.set _ZN12_GLOBAL__N_127rocblas_gemm_batched_kernelIDF16_Li16ELi16ELi64ELi64ELi4ELi64ELi4ELi4ELi64ELc67ELc67EKDF16_S1_DF16_EEvlllT_PT11_llS4_llS2_PT12_llPT13_lli.private_seg_size, 0
	.set _ZN12_GLOBAL__N_127rocblas_gemm_batched_kernelIDF16_Li16ELi16ELi64ELi64ELi4ELi64ELi4ELi4ELi64ELc67ELc67EKDF16_S1_DF16_EEvlllT_PT11_llS4_llS2_PT12_llPT13_lli.uses_vcc, 1
	.set _ZN12_GLOBAL__N_127rocblas_gemm_batched_kernelIDF16_Li16ELi16ELi64ELi64ELi4ELi64ELi4ELi4ELi64ELc67ELc67EKDF16_S1_DF16_EEvlllT_PT11_llS4_llS2_PT12_llPT13_lli.uses_flat_scratch, 0
	.set _ZN12_GLOBAL__N_127rocblas_gemm_batched_kernelIDF16_Li16ELi16ELi64ELi64ELi4ELi64ELi4ELi4ELi64ELc67ELc67EKDF16_S1_DF16_EEvlllT_PT11_llS4_llS2_PT12_llPT13_lli.has_dyn_sized_stack, 0
	.set _ZN12_GLOBAL__N_127rocblas_gemm_batched_kernelIDF16_Li16ELi16ELi64ELi64ELi4ELi64ELi4ELi4ELi64ELc67ELc67EKDF16_S1_DF16_EEvlllT_PT11_llS4_llS2_PT12_llPT13_lli.has_recursion, 0
	.set _ZN12_GLOBAL__N_127rocblas_gemm_batched_kernelIDF16_Li16ELi16ELi64ELi64ELi4ELi64ELi4ELi4ELi64ELc67ELc67EKDF16_S1_DF16_EEvlllT_PT11_llS4_llS2_PT12_llPT13_lli.has_indirect_call, 0
	.section	.AMDGPU.csdata,"",@progbits
; Kernel info:
; codeLenInByte = 2744
; TotalNumSgprs: 40
; NumVgprs: 44
; ScratchSize: 0
; MemoryBound: 0
; FloatMode: 240
; IeeeMode: 1
; LDSByteSize: 1024 bytes/workgroup (compile time only)
; SGPRBlocks: 0
; VGPRBlocks: 5
; NumSGPRsForWavesPerEU: 40
; NumVGPRsForWavesPerEU: 44
; Occupancy: 16
; WaveLimiterHint : 0
; COMPUTE_PGM_RSRC2:SCRATCH_EN: 0
; COMPUTE_PGM_RSRC2:USER_SGPR: 2
; COMPUTE_PGM_RSRC2:TRAP_HANDLER: 0
; COMPUTE_PGM_RSRC2:TGID_X_EN: 1
; COMPUTE_PGM_RSRC2:TGID_Y_EN: 1
; COMPUTE_PGM_RSRC2:TGID_Z_EN: 1
; COMPUTE_PGM_RSRC2:TIDIG_COMP_CNT: 1
	.section	.text._ZN12_GLOBAL__N_127rocblas_gemm_batched_kernelIDF16_Li16ELi16ELi64ELi64ELi4ELi64ELi4ELi4ELi64ELc67ELc78EKDF16_S1_DF16_EEvlllT_PT11_llS4_llS2_PT12_llPT13_lli,"axG",@progbits,_ZN12_GLOBAL__N_127rocblas_gemm_batched_kernelIDF16_Li16ELi16ELi64ELi64ELi4ELi64ELi4ELi4ELi64ELc67ELc78EKDF16_S1_DF16_EEvlllT_PT11_llS4_llS2_PT12_llPT13_lli,comdat
	.globl	_ZN12_GLOBAL__N_127rocblas_gemm_batched_kernelIDF16_Li16ELi16ELi64ELi64ELi4ELi64ELi4ELi4ELi64ELc67ELc78EKDF16_S1_DF16_EEvlllT_PT11_llS4_llS2_PT12_llPT13_lli ; -- Begin function _ZN12_GLOBAL__N_127rocblas_gemm_batched_kernelIDF16_Li16ELi16ELi64ELi64ELi4ELi64ELi4ELi4ELi64ELc67ELc78EKDF16_S1_DF16_EEvlllT_PT11_llS4_llS2_PT12_llPT13_lli
	.p2align	8
	.type	_ZN12_GLOBAL__N_127rocblas_gemm_batched_kernelIDF16_Li16ELi16ELi64ELi64ELi4ELi64ELi4ELi4ELi64ELc67ELc78EKDF16_S1_DF16_EEvlllT_PT11_llS4_llS2_PT12_llPT13_lli,@function
_ZN12_GLOBAL__N_127rocblas_gemm_batched_kernelIDF16_Li16ELi16ELi64ELi64ELi4ELi64ELi4ELi4ELi64ELc67ELc78EKDF16_S1_DF16_EEvlllT_PT11_llS4_llS2_PT12_llPT13_lli: ; @_ZN12_GLOBAL__N_127rocblas_gemm_batched_kernelIDF16_Li16ELi16ELi64ELi64ELi4ELi64ELi4ELi4ELi64ELc67ELc78EKDF16_S1_DF16_EEvlllT_PT11_llS4_llS2_PT12_llPT13_lli
; %bb.0:
	s_load_b32 s27, s[0:1], 0x88
	s_lshr_b32 s28, ttmp7, 16
	s_wait_kmcnt 0x0
	s_cmp_ge_i32 s28, s27
	s_cbranch_scc1 .LBB7_11
; %bb.1:
	v_and_b32_e32 v10, 0x3ff, v0
	v_bfe_u32 v8, v0, 10, 10
	s_clause 0x5
	s_load_b256 s[4:11], s[0:1], 0x58
	s_load_b96 s[24:26], s[0:1], 0x10
	s_load_b256 s[12:19], s[0:1], 0x20
	s_load_b128 s[20:23], s[0:1], 0x40
	s_load_b32 s30, s[0:1], 0x50
	s_load_b128 s[0:3], s[0:1], 0x78
	v_lshlrev_b32_e32 v0, 1, v0
	s_lshl_b32 s29, ttmp7, 6
	v_lshl_add_u32 v1, v8, 4, v10
	s_and_b32 s29, s29, 0x3fffc0
	s_mov_b32 s34, ttmp9
	v_and_b32_e32 v18, 6, v0
	v_add_nc_u32_e32 v9, s29, v8
	v_and_b32_e32 v11, 63, v1
	v_lshrrev_b32_e32 v2, 2, v1
	v_lshrrev_b32_e32 v19, 6, v1
	s_ashr_i32 s35, ttmp9, 31
	v_lshl_add_u32 v15, v8, 3, 0x200
	v_lshlrev_b32_e32 v3, 1, v11
	v_lshl_or_b32 v4, v2, 3, v18
	v_add_nc_u32_e32 v16, s29, v2
	s_lshl_b64 s[34:35], s[34:35], 6
	s_wait_kmcnt 0x0
	v_mad_co_u64_u32 v[0:1], null, v9, s6, 0
	v_lshl_or_b32 v12, v19, 7, v3
	v_add_nc_u32_e32 v13, 0x200, v4
	v_mad_co_u64_u32 v[4:5], null, v9, s0, 0
	v_mad_co_u64_u32 v[2:3], null, s20, v16, 0
	s_cmp_eq_f16 s30, 0
	s_mov_b32 s29, 0
	s_cselect_b32 s20, -1, 0
	s_lshl_b64 s[36:37], s[0:1], 4
	v_mad_co_u64_u32 v[6:7], null, v9, s7, v[1:2]
	v_mov_b32_e32 v1, v5
	s_mul_i32 s0, s14, s35
	v_lshlrev_b32_e32 v14, 1, v10
	s_lshl_b64 s[38:39], s[6:7], 4
	s_lshl_b64 s[6:7], s[16:17], 1
	v_mad_co_u64_u32 v[7:8], null, v9, s1, v[1:2]
	v_mad_co_u64_u32 v[8:9], null, s21, v16, v[3:4]
	v_mov_b32_e32 v1, v6
	v_or_b32_e32 v6, s34, v11
	v_add_co_u32 v9, s21, s34, v10
	v_mov_b32_e32 v5, v7
	s_delay_alu instid0(VALU_DEP_4)
	v_lshlrev_b64_e32 v[0:1], 1, v[0:1]
	v_mov_b32_e32 v3, v8
	v_mul_lo_u32 v8, s15, v6
	v_mad_co_u64_u32 v[6:7], null, s14, v6, 0
	s_wait_alu 0xf1ff
	v_add_co_ci_u32_e64 v10, null, s35, 0, s21
	v_lshlrev_b64_e32 v[2:3], 1, v[2:3]
	v_add_co_u32 v16, vcc_lo, s4, v0
	s_delay_alu instid0(VALU_DEP_1) | instskip(SKIP_2) | instid1(VALU_DEP_4)
	v_add_co_ci_u32_e64 v17, null, s5, v1, vcc_lo
	s_wait_alu 0xfffe
	v_add3_u32 v7, v7, s0, v8
	v_add_co_u32 v0, vcc_lo, v2, v18
	s_wait_alu 0xfffd
	v_add_co_ci_u32_e64 v1, null, 0, v3, vcc_lo
	s_delay_alu instid0(VALU_DEP_3)
	v_lshlrev_b64_e32 v[2:3], 1, v[6:7]
	v_lshlrev_b32_e32 v6, 1, v19
	v_cmp_gt_i64_e64 s0, s[24:25], 0
	v_add_co_u32 v0, vcc_lo, s18, v0
	s_wait_alu 0xfffd
	v_add_co_ci_u32_e64 v1, null, s19, v1, vcc_lo
	v_add_co_u32 v2, vcc_lo, v2, v6
	s_wait_alu 0xfffd
	v_add_co_ci_u32_e64 v3, null, 0, v3, vcc_lo
	s_wait_alu 0xf1ff
	v_cndmask_b32_e64 v8, 0, 1, s0
	v_add_co_u32 v2, vcc_lo, s12, v2
	v_lshlrev_b64_e32 v[4:5], 1, v[4:5]
	v_lshlrev_b64_e32 v[6:7], 1, v[9:10]
	s_wait_alu 0xfffd
	v_add_co_ci_u32_e64 v3, null, s13, v3, vcc_lo
	v_cmp_ne_u32_e64 s0, 1, v8
	s_lshl_b64 s[4:5], s[22:23], 1
	s_lshl_b64 s[12:13], s[38:39], 1
	;; [unrolled: 1-line block ×3, first 2 shown]
	s_branch .LBB7_3
.LBB7_2:                                ;   in Loop: Header=BB7_3 Depth=1
	s_add_co_i32 s28, s28, 0x10000
	s_wait_alu 0xfffe
	s_cmp_lt_i32 s28, s27
	s_cbranch_scc0 .LBB7_11
.LBB7_3:                                ; =>This Loop Header: Depth=1
                                        ;     Child Loop BB7_5 Depth 2
	s_and_b32 vcc_lo, exec_lo, s0
	s_wait_alu 0xfffe
	s_cbranch_vccnz .LBB7_6
; %bb.4:                                ;   in Loop: Header=BB7_3 Depth=1
	v_mad_co_u64_u32 v[8:9], null, s4, s28, v[0:1]
	v_mad_co_u64_u32 v[10:11], null, s6, s28, v[2:3]
	v_dual_mov_b32 v18, 0 :: v_dual_mov_b32 v19, 0
	v_dual_mov_b32 v20, 0 :: v_dual_mov_b32 v21, 0
	;; [unrolled: 1-line block ×3, first 2 shown]
	s_delay_alu instid0(VALU_DEP_4) | instskip(SKIP_3) | instid1(VALU_DEP_3)
	v_mad_co_u64_u32 v[25:26], null, s5, s28, v[9:10]
	v_mad_co_u64_u32 v[26:27], null, s7, s28, v[11:12]
	v_mov_b32_e32 v24, 0
	s_mov_b64 s[16:17], 0
	v_mov_b32_e32 v9, v25
	v_mov_b32_e32 v25, 0
	s_delay_alu instid0(VALU_DEP_4)
	v_mov_b32_e32 v11, v26
.LBB7_5:                                ;   Parent Loop BB7_3 Depth=1
                                        ; =>  This Inner Loop Header: Depth=2
	global_load_u16 v26, v[10:11], off
	global_load_u16 v27, v[8:9], off
	s_wait_alu 0xfffe
	s_add_nc_u64 s[16:17], s[16:17], 4
	v_add_co_u32 v8, vcc_lo, v8, 8
	s_wait_alu 0xfffe
	v_cmp_lt_i64_e64 s1, s[16:17], s[24:25]
	s_wait_alu 0xfffd
	v_add_co_ci_u32_e64 v9, null, 0, v9, vcc_lo
	v_add_co_u32 v10, vcc_lo, v10, 8
	s_wait_alu 0xfffd
	v_add_co_ci_u32_e64 v11, null, 0, v11, vcc_lo
	s_and_b32 vcc_lo, exec_lo, s1
	s_wait_loadcnt 0x1
	ds_store_b16 v12, v26
	s_wait_loadcnt 0x0
	ds_store_b16 v13, v27
	s_wait_dscnt 0x0
	s_barrier_signal -1
	s_barrier_wait -1
	global_inv scope:SCOPE_SE
	ds_load_u16 v34, v14 offset:32
	ds_load_u16 v35, v14 offset:96
	ds_load_u16 v36, v14 offset:160
	ds_load_u16 v37, v14 offset:224
	ds_load_u16 v38, v14 offset:288
	ds_load_u16 v39, v14 offset:352
	ds_load_u16 v40, v14 offset:416
	ds_load_u16 v41, v14 offset:480
	ds_load_2addr_b64 v[26:29], v15 offset1:16
	ds_load_2addr_b64 v[30:33], v15 offset0:32 offset1:48
	s_wait_dscnt 0x9
	ds_load_u16_d16_hi v34, v14
	s_wait_dscnt 0x9
	ds_load_u16_d16_hi v35, v14 offset:64
	s_wait_dscnt 0x9
	ds_load_u16_d16_hi v36, v14 offset:128
	;; [unrolled: 2-line block ×7, first 2 shown]
	s_wait_loadcnt_dscnt 0x0
	s_barrier_signal -1
	s_barrier_wait -1
	global_inv scope:SCOPE_SE
	v_pk_fma_f16 v25, v34, v26, v25 op_sel_hi:[1,0,1]
	v_pk_fma_f16 v24, v35, v26, v24 op_sel_hi:[1,0,1]
	;; [unrolled: 1-line block ×8, first 2 shown]
	v_pk_fma_f16 v25, v36, v26, v25 op_sel:[0,1,0]
	v_pk_fma_f16 v24, v37, v26, v24 op_sel:[0,1,0]
	;; [unrolled: 1-line block ×8, first 2 shown]
	v_pk_fma_f16 v25, v38, v27, v25 op_sel_hi:[1,0,1]
	v_pk_fma_f16 v24, v39, v27, v24 op_sel_hi:[1,0,1]
	;; [unrolled: 1-line block ×8, first 2 shown]
	v_pk_fma_f16 v25, v40, v27, v25 op_sel:[0,1,0]
	v_pk_fma_f16 v24, v41, v27, v24 op_sel:[0,1,0]
	;; [unrolled: 1-line block ×8, first 2 shown]
	s_wait_alu 0xfffe
	s_cbranch_vccnz .LBB7_5
	s_branch .LBB7_7
.LBB7_6:                                ;   in Loop: Header=BB7_3 Depth=1
	v_dual_mov_b32 v25, 0 :: v_dual_mov_b32 v24, 0
	v_dual_mov_b32 v23, 0 :: v_dual_mov_b32 v22, 0
	;; [unrolled: 1-line block ×4, first 2 shown]
.LBB7_7:                                ;   in Loop: Header=BB7_3 Depth=1
	s_mul_u64 s[16:17], s[2:3], s[28:29]
	v_lshrrev_b32_e32 v29, 16, v25
	v_lshrrev_b32_e32 v28, 16, v24
	;; [unrolled: 1-line block ×8, first 2 shown]
	s_wait_alu 0xfffe
	s_lshl_b64 s[16:17], s[16:17], 1
	s_and_not1_b32 vcc_lo, exec_lo, s20
	s_wait_alu 0xfffe
	s_add_nc_u64 s[16:17], s[10:11], s[16:17]
	s_cbranch_vccnz .LBB7_9
; %bb.8:                                ;   in Loop: Header=BB7_3 Depth=1
	s_wait_alu 0xfffe
	v_add_co_u32 v32, vcc_lo, s16, v4
	s_wait_alu 0xfffd
	v_add_co_ci_u32_e64 v33, null, s17, v5, vcc_lo
	v_mul_f16_e32 v34, s26, v29
	s_delay_alu instid0(VALU_DEP_3) | instskip(SKIP_1) | instid1(VALU_DEP_3)
	v_add_co_u32 v30, vcc_lo, v32, v6
	s_wait_alu 0xfffd
	v_add_co_ci_u32_e64 v31, null, v33, v7, vcc_lo
	v_add_co_u32 v32, vcc_lo, v32, s14
	v_mul_f16_e32 v35, s26, v25
	v_mul_f16_e32 v36, s26, v28
	s_wait_alu 0xfffd
	v_add_co_ci_u32_e64 v33, null, s15, v33, vcc_lo
	v_mul_f16_e32 v37, s26, v24
	s_clause 0x3
	global_store_b16 v[30:31], v34, off
	global_store_b16 v[30:31], v35, off offset:32
	global_store_b16 v[30:31], v36, off offset:64
	;; [unrolled: 1-line block ×3, first 2 shown]
	v_add_co_u32 v30, vcc_lo, v32, v6
	s_wait_alu 0xfffd
	v_add_co_ci_u32_e64 v31, null, v33, v7, vcc_lo
	v_add_co_u32 v38, vcc_lo, v32, s14
	s_wait_alu 0xfffd
	v_add_co_ci_u32_e64 v39, null, s15, v33, vcc_lo
	v_mul_f16_e32 v34, s26, v27
	v_mul_f16_e32 v35, s26, v23
	;; [unrolled: 1-line block ×3, first 2 shown]
	v_add_co_u32 v32, vcc_lo, v38, v6
	v_mul_f16_e32 v37, s26, v22
	v_mul_f16_e32 v40, s26, v11
	s_wait_alu 0xfffd
	v_add_co_ci_u32_e64 v33, null, v39, v7, vcc_lo
	v_mul_f16_e32 v41, s26, v21
	v_mul_f16_e32 v42, s26, v10
	;; [unrolled: 1-line block ×3, first 2 shown]
	s_clause 0x7
	global_store_b16 v[30:31], v34, off
	global_store_b16 v[30:31], v35, off offset:32
	global_store_b16 v[30:31], v36, off offset:64
	;; [unrolled: 1-line block ×3, first 2 shown]
	global_store_b16 v[32:33], v40, off
	global_store_b16 v[32:33], v41, off offset:32
	global_store_b16 v[32:33], v42, off offset:64
	global_store_b16 v[32:33], v43, off offset:96
	v_add_co_u32 v30, vcc_lo, v38, s14
	s_wait_alu 0xfffd
	v_add_co_ci_u32_e64 v31, null, s15, v39, vcc_lo
	v_mul_f16_e32 v32, s26, v9
	s_delay_alu instid0(VALU_DEP_3) | instskip(SKIP_1) | instid1(VALU_DEP_3)
	v_add_co_u32 v30, vcc_lo, v30, v6
	s_wait_alu 0xfffd
	v_add_co_ci_u32_e64 v31, null, v31, v7, vcc_lo
	v_mul_f16_e32 v33, s26, v19
	v_mul_f16_e32 v34, s26, v8
	;; [unrolled: 1-line block ×3, first 2 shown]
	s_clause 0x3
	global_store_b16 v[30:31], v32, off
	global_store_b16 v[30:31], v33, off offset:32
	global_store_b16 v[30:31], v34, off offset:64
	;; [unrolled: 1-line block ×3, first 2 shown]
	s_cbranch_execnz .LBB7_2
	s_branch .LBB7_10
.LBB7_9:                                ;   in Loop: Header=BB7_3 Depth=1
.LBB7_10:                               ;   in Loop: Header=BB7_3 Depth=1
	s_mul_u64 s[18:19], s[8:9], s[28:29]
	s_wait_alu 0xfffe
	s_lshl_b64 s[18:19], s[18:19], 1
	s_wait_alu 0xfffe
	v_add_co_u32 v34, vcc_lo, v16, s18
	s_wait_alu 0xfffd
	v_add_co_ci_u32_e64 v35, null, s19, v17, vcc_lo
	s_delay_alu instid0(VALU_DEP_2) | instskip(SKIP_1) | instid1(VALU_DEP_2)
	v_add_co_u32 v30, vcc_lo, v34, v6
	s_wait_alu 0xfffd
	v_add_co_ci_u32_e64 v31, null, v35, v7, vcc_lo
	v_add_co_u32 v36, vcc_lo, s16, v4
	s_wait_alu 0xfffd
	v_add_co_ci_u32_e64 v37, null, s17, v5, vcc_lo
	global_load_u16 v32, v[30:31], off
	s_wait_loadcnt 0x0
	v_mul_f16_e32 v38, s30, v32
	v_add_co_u32 v32, vcc_lo, v36, v6
	s_wait_alu 0xfffd
	v_add_co_ci_u32_e64 v33, null, v37, v7, vcc_lo
	s_delay_alu instid0(VALU_DEP_3) | instskip(SKIP_4) | instid1(VALU_DEP_1)
	v_fmac_f16_e32 v38, s26, v29
	global_store_b16 v[32:33], v38, off
	global_load_u16 v29, v[30:31], off offset:32
	s_wait_loadcnt 0x0
	v_mul_f16_e32 v29, s30, v29
	v_fmac_f16_e32 v29, s26, v25
	global_store_b16 v[32:33], v29, off offset:32
	global_load_u16 v25, v[30:31], off offset:64
	s_wait_loadcnt 0x0
	v_mul_f16_e32 v25, s30, v25
	s_delay_alu instid0(VALU_DEP_1)
	v_fmac_f16_e32 v25, s26, v28
	global_store_b16 v[32:33], v25, off offset:64
	global_load_u16 v25, v[30:31], off offset:96
	v_add_co_u32 v30, vcc_lo, v34, s12
	s_wait_alu 0xfffd
	v_add_co_ci_u32_e64 v31, null, s13, v35, vcc_lo
	s_wait_loadcnt 0x0
	v_mul_f16_e32 v28, s30, v25
	s_delay_alu instid0(VALU_DEP_1)
	v_fmac_f16_e32 v28, s26, v24
	v_add_co_u32 v24, vcc_lo, v30, v6
	s_wait_alu 0xfffd
	v_add_co_ci_u32_e64 v25, null, v31, v7, vcc_lo
	global_store_b16 v[32:33], v28, off offset:96
	v_add_co_u32 v32, vcc_lo, v36, s14
	global_load_u16 v28, v[24:25], off
	s_wait_alu 0xfffd
	v_add_co_ci_u32_e64 v33, null, s15, v37, vcc_lo
	s_wait_loadcnt 0x0
	v_mul_f16_e32 v34, s30, v28
	v_add_co_u32 v28, vcc_lo, v32, v6
	s_wait_alu 0xfffd
	v_add_co_ci_u32_e64 v29, null, v33, v7, vcc_lo
	s_delay_alu instid0(VALU_DEP_3) | instskip(SKIP_4) | instid1(VALU_DEP_1)
	v_fmac_f16_e32 v34, s26, v27
	global_store_b16 v[28:29], v34, off
	global_load_u16 v27, v[24:25], off offset:32
	s_wait_loadcnt 0x0
	v_mul_f16_e32 v27, s30, v27
	v_fmac_f16_e32 v27, s26, v23
	global_store_b16 v[28:29], v27, off offset:32
	global_load_u16 v23, v[24:25], off offset:64
	s_wait_loadcnt 0x0
	v_mul_f16_e32 v23, s30, v23
	s_delay_alu instid0(VALU_DEP_1)
	v_fmac_f16_e32 v23, s26, v26
	v_add_co_u32 v26, vcc_lo, v30, s12
	s_wait_alu 0xfffd
	v_add_co_ci_u32_e64 v27, null, s13, v31, vcc_lo
	global_store_b16 v[28:29], v23, off offset:64
	global_load_u16 v23, v[24:25], off offset:96
	s_wait_loadcnt 0x0
	v_mul_f16_e32 v24, s30, v23
	s_delay_alu instid0(VALU_DEP_1)
	v_fmac_f16_e32 v24, s26, v22
	v_add_co_u32 v22, vcc_lo, v26, v6
	s_wait_alu 0xfffd
	v_add_co_ci_u32_e64 v23, null, v27, v7, vcc_lo
	global_store_b16 v[28:29], v24, off offset:96
	v_add_co_u32 v28, vcc_lo, v32, s14
	global_load_u16 v24, v[22:23], off
	s_wait_alu 0xfffd
	v_add_co_ci_u32_e64 v29, null, s15, v33, vcc_lo
	s_wait_loadcnt 0x0
	v_mul_f16_e32 v30, s30, v24
	v_add_co_u32 v24, vcc_lo, v28, v6
	s_wait_alu 0xfffd
	v_add_co_ci_u32_e64 v25, null, v29, v7, vcc_lo
	s_delay_alu instid0(VALU_DEP_3) | instskip(SKIP_4) | instid1(VALU_DEP_1)
	v_fmac_f16_e32 v30, s26, v11
	global_store_b16 v[24:25], v30, off
	global_load_u16 v11, v[22:23], off offset:32
	s_wait_loadcnt 0x0
	v_mul_f16_e32 v11, s30, v11
	v_fmac_f16_e32 v11, s26, v21
	global_store_b16 v[24:25], v11, off offset:32
	global_load_u16 v11, v[22:23], off offset:64
	s_wait_loadcnt 0x0
	v_mul_f16_e32 v11, s30, v11
	s_delay_alu instid0(VALU_DEP_1)
	v_fmac_f16_e32 v11, s26, v10
	global_store_b16 v[24:25], v11, off offset:64
	global_load_u16 v10, v[22:23], off offset:96
	s_wait_loadcnt 0x0
	v_mul_f16_e32 v21, s30, v10
	v_add_co_u32 v10, vcc_lo, v26, s12
	s_wait_alu 0xfffd
	v_add_co_ci_u32_e64 v11, null, s13, v27, vcc_lo
	s_delay_alu instid0(VALU_DEP_3) | instskip(NEXT) | instid1(VALU_DEP_3)
	v_fmac_f16_e32 v21, s26, v20
	v_add_co_u32 v10, vcc_lo, v10, v6
	s_wait_alu 0xfffd
	s_delay_alu instid0(VALU_DEP_3)
	v_add_co_ci_u32_e64 v11, null, v11, v7, vcc_lo
	global_store_b16 v[24:25], v21, off offset:96
	global_load_u16 v20, v[10:11], off
	s_wait_loadcnt 0x0
	v_mul_f16_e32 v22, s30, v20
	v_add_co_u32 v20, vcc_lo, v28, s14
	s_wait_alu 0xfffd
	v_add_co_ci_u32_e64 v21, null, s15, v29, vcc_lo
	s_delay_alu instid0(VALU_DEP_3) | instskip(NEXT) | instid1(VALU_DEP_3)
	v_fmac_f16_e32 v22, s26, v9
	v_add_co_u32 v20, vcc_lo, v20, v6
	s_wait_alu 0xfffd
	s_delay_alu instid0(VALU_DEP_3) | instskip(SKIP_4) | instid1(VALU_DEP_1)
	v_add_co_ci_u32_e64 v21, null, v21, v7, vcc_lo
	global_store_b16 v[20:21], v22, off
	global_load_u16 v9, v[10:11], off offset:32
	s_wait_loadcnt 0x0
	v_mul_f16_e32 v9, s30, v9
	v_fmac_f16_e32 v9, s26, v19
	global_store_b16 v[20:21], v9, off offset:32
	global_load_u16 v9, v[10:11], off offset:64
	s_wait_loadcnt 0x0
	v_mul_f16_e32 v9, s30, v9
	s_delay_alu instid0(VALU_DEP_1) | instskip(SKIP_4) | instid1(VALU_DEP_1)
	v_fmac_f16_e32 v9, s26, v8
	global_store_b16 v[20:21], v9, off offset:64
	global_load_u16 v8, v[10:11], off offset:96
	s_wait_loadcnt 0x0
	v_mul_f16_e32 v8, s30, v8
	v_fmac_f16_e32 v8, s26, v18
	global_store_b16 v[20:21], v8, off offset:96
	s_branch .LBB7_2
.LBB7_11:
	s_endpgm
	.section	.rodata,"a",@progbits
	.p2align	6, 0x0
	.amdhsa_kernel _ZN12_GLOBAL__N_127rocblas_gemm_batched_kernelIDF16_Li16ELi16ELi64ELi64ELi4ELi64ELi4ELi4ELi64ELc67ELc78EKDF16_S1_DF16_EEvlllT_PT11_llS4_llS2_PT12_llPT13_lli
		.amdhsa_group_segment_fixed_size 1024
		.amdhsa_private_segment_fixed_size 0
		.amdhsa_kernarg_size 140
		.amdhsa_user_sgpr_count 2
		.amdhsa_user_sgpr_dispatch_ptr 0
		.amdhsa_user_sgpr_queue_ptr 0
		.amdhsa_user_sgpr_kernarg_segment_ptr 1
		.amdhsa_user_sgpr_dispatch_id 0
		.amdhsa_user_sgpr_private_segment_size 0
		.amdhsa_wavefront_size32 1
		.amdhsa_uses_dynamic_stack 0
		.amdhsa_enable_private_segment 0
		.amdhsa_system_sgpr_workgroup_id_x 1
		.amdhsa_system_sgpr_workgroup_id_y 1
		.amdhsa_system_sgpr_workgroup_id_z 1
		.amdhsa_system_sgpr_workgroup_info 0
		.amdhsa_system_vgpr_workitem_id 1
		.amdhsa_next_free_vgpr 44
		.amdhsa_next_free_sgpr 40
		.amdhsa_reserve_vcc 1
		.amdhsa_float_round_mode_32 0
		.amdhsa_float_round_mode_16_64 0
		.amdhsa_float_denorm_mode_32 3
		.amdhsa_float_denorm_mode_16_64 3
		.amdhsa_fp16_overflow 0
		.amdhsa_workgroup_processor_mode 1
		.amdhsa_memory_ordered 1
		.amdhsa_forward_progress 1
		.amdhsa_inst_pref_size 22
		.amdhsa_round_robin_scheduling 0
		.amdhsa_exception_fp_ieee_invalid_op 0
		.amdhsa_exception_fp_denorm_src 0
		.amdhsa_exception_fp_ieee_div_zero 0
		.amdhsa_exception_fp_ieee_overflow 0
		.amdhsa_exception_fp_ieee_underflow 0
		.amdhsa_exception_fp_ieee_inexact 0
		.amdhsa_exception_int_div_zero 0
	.end_amdhsa_kernel
	.section	.text._ZN12_GLOBAL__N_127rocblas_gemm_batched_kernelIDF16_Li16ELi16ELi64ELi64ELi4ELi64ELi4ELi4ELi64ELc67ELc78EKDF16_S1_DF16_EEvlllT_PT11_llS4_llS2_PT12_llPT13_lli,"axG",@progbits,_ZN12_GLOBAL__N_127rocblas_gemm_batched_kernelIDF16_Li16ELi16ELi64ELi64ELi4ELi64ELi4ELi4ELi64ELc67ELc78EKDF16_S1_DF16_EEvlllT_PT11_llS4_llS2_PT12_llPT13_lli,comdat
.Lfunc_end7:
	.size	_ZN12_GLOBAL__N_127rocblas_gemm_batched_kernelIDF16_Li16ELi16ELi64ELi64ELi4ELi64ELi4ELi4ELi64ELc67ELc78EKDF16_S1_DF16_EEvlllT_PT11_llS4_llS2_PT12_llPT13_lli, .Lfunc_end7-_ZN12_GLOBAL__N_127rocblas_gemm_batched_kernelIDF16_Li16ELi16ELi64ELi64ELi4ELi64ELi4ELi4ELi64ELc67ELc78EKDF16_S1_DF16_EEvlllT_PT11_llS4_llS2_PT12_llPT13_lli
                                        ; -- End function
	.set _ZN12_GLOBAL__N_127rocblas_gemm_batched_kernelIDF16_Li16ELi16ELi64ELi64ELi4ELi64ELi4ELi4ELi64ELc67ELc78EKDF16_S1_DF16_EEvlllT_PT11_llS4_llS2_PT12_llPT13_lli.num_vgpr, 44
	.set _ZN12_GLOBAL__N_127rocblas_gemm_batched_kernelIDF16_Li16ELi16ELi64ELi64ELi4ELi64ELi4ELi4ELi64ELc67ELc78EKDF16_S1_DF16_EEvlllT_PT11_llS4_llS2_PT12_llPT13_lli.num_agpr, 0
	.set _ZN12_GLOBAL__N_127rocblas_gemm_batched_kernelIDF16_Li16ELi16ELi64ELi64ELi4ELi64ELi4ELi4ELi64ELc67ELc78EKDF16_S1_DF16_EEvlllT_PT11_llS4_llS2_PT12_llPT13_lli.numbered_sgpr, 40
	.set _ZN12_GLOBAL__N_127rocblas_gemm_batched_kernelIDF16_Li16ELi16ELi64ELi64ELi4ELi64ELi4ELi4ELi64ELc67ELc78EKDF16_S1_DF16_EEvlllT_PT11_llS4_llS2_PT12_llPT13_lli.num_named_barrier, 0
	.set _ZN12_GLOBAL__N_127rocblas_gemm_batched_kernelIDF16_Li16ELi16ELi64ELi64ELi4ELi64ELi4ELi4ELi64ELc67ELc78EKDF16_S1_DF16_EEvlllT_PT11_llS4_llS2_PT12_llPT13_lli.private_seg_size, 0
	.set _ZN12_GLOBAL__N_127rocblas_gemm_batched_kernelIDF16_Li16ELi16ELi64ELi64ELi4ELi64ELi4ELi4ELi64ELc67ELc78EKDF16_S1_DF16_EEvlllT_PT11_llS4_llS2_PT12_llPT13_lli.uses_vcc, 1
	.set _ZN12_GLOBAL__N_127rocblas_gemm_batched_kernelIDF16_Li16ELi16ELi64ELi64ELi4ELi64ELi4ELi4ELi64ELc67ELc78EKDF16_S1_DF16_EEvlllT_PT11_llS4_llS2_PT12_llPT13_lli.uses_flat_scratch, 0
	.set _ZN12_GLOBAL__N_127rocblas_gemm_batched_kernelIDF16_Li16ELi16ELi64ELi64ELi4ELi64ELi4ELi4ELi64ELc67ELc78EKDF16_S1_DF16_EEvlllT_PT11_llS4_llS2_PT12_llPT13_lli.has_dyn_sized_stack, 0
	.set _ZN12_GLOBAL__N_127rocblas_gemm_batched_kernelIDF16_Li16ELi16ELi64ELi64ELi4ELi64ELi4ELi4ELi64ELc67ELc78EKDF16_S1_DF16_EEvlllT_PT11_llS4_llS2_PT12_llPT13_lli.has_recursion, 0
	.set _ZN12_GLOBAL__N_127rocblas_gemm_batched_kernelIDF16_Li16ELi16ELi64ELi64ELi4ELi64ELi4ELi4ELi64ELc67ELc78EKDF16_S1_DF16_EEvlllT_PT11_llS4_llS2_PT12_llPT13_lli.has_indirect_call, 0
	.section	.AMDGPU.csdata,"",@progbits
; Kernel info:
; codeLenInByte = 2756
; TotalNumSgprs: 42
; NumVgprs: 44
; ScratchSize: 0
; MemoryBound: 0
; FloatMode: 240
; IeeeMode: 1
; LDSByteSize: 1024 bytes/workgroup (compile time only)
; SGPRBlocks: 0
; VGPRBlocks: 5
; NumSGPRsForWavesPerEU: 42
; NumVGPRsForWavesPerEU: 44
; Occupancy: 16
; WaveLimiterHint : 0
; COMPUTE_PGM_RSRC2:SCRATCH_EN: 0
; COMPUTE_PGM_RSRC2:USER_SGPR: 2
; COMPUTE_PGM_RSRC2:TRAP_HANDLER: 0
; COMPUTE_PGM_RSRC2:TGID_X_EN: 1
; COMPUTE_PGM_RSRC2:TGID_Y_EN: 1
; COMPUTE_PGM_RSRC2:TGID_Z_EN: 1
; COMPUTE_PGM_RSRC2:TIDIG_COMP_CNT: 1
	.section	.text._ZN12_GLOBAL__N_127rocblas_gemm_batched_kernelIDF16_Li16ELi16ELi64ELi64ELi4ELi64ELi4ELi4ELi64ELc67ELc84EKDF16_S1_DF16_EEvlllT_PT11_llS4_llS2_PT12_llPT13_lli,"axG",@progbits,_ZN12_GLOBAL__N_127rocblas_gemm_batched_kernelIDF16_Li16ELi16ELi64ELi64ELi4ELi64ELi4ELi4ELi64ELc67ELc84EKDF16_S1_DF16_EEvlllT_PT11_llS4_llS2_PT12_llPT13_lli,comdat
	.globl	_ZN12_GLOBAL__N_127rocblas_gemm_batched_kernelIDF16_Li16ELi16ELi64ELi64ELi4ELi64ELi4ELi4ELi64ELc67ELc84EKDF16_S1_DF16_EEvlllT_PT11_llS4_llS2_PT12_llPT13_lli ; -- Begin function _ZN12_GLOBAL__N_127rocblas_gemm_batched_kernelIDF16_Li16ELi16ELi64ELi64ELi4ELi64ELi4ELi4ELi64ELc67ELc84EKDF16_S1_DF16_EEvlllT_PT11_llS4_llS2_PT12_llPT13_lli
	.p2align	8
	.type	_ZN12_GLOBAL__N_127rocblas_gemm_batched_kernelIDF16_Li16ELi16ELi64ELi64ELi4ELi64ELi4ELi4ELi64ELc67ELc84EKDF16_S1_DF16_EEvlllT_PT11_llS4_llS2_PT12_llPT13_lli,@function
_ZN12_GLOBAL__N_127rocblas_gemm_batched_kernelIDF16_Li16ELi16ELi64ELi64ELi4ELi64ELi4ELi4ELi64ELc67ELc84EKDF16_S1_DF16_EEvlllT_PT11_llS4_llS2_PT12_llPT13_lli: ; @_ZN12_GLOBAL__N_127rocblas_gemm_batched_kernelIDF16_Li16ELi16ELi64ELi64ELi4ELi64ELi4ELi4ELi64ELc67ELc84EKDF16_S1_DF16_EEvlllT_PT11_llS4_llS2_PT12_llPT13_lli
; %bb.0:
	s_load_b32 s31, s[0:1], 0x88
	s_lshr_b32 s2, ttmp7, 16
	s_wait_kmcnt 0x0
	s_cmp_ge_i32 s2, s31
	s_cbranch_scc1 .LBB8_11
; %bb.1:
	v_dual_mov_b32 v1, 0 :: v_dual_and_b32 v8, 0x3ff, v0
	v_bfe_u32 v6, v0, 10, 10
	s_clause 0x5
	s_load_b96 s[28:30], s[0:1], 0x10
	s_load_b128 s[20:23], s[0:1], 0x78
	s_load_b256 s[12:19], s[0:1], 0x20
	s_load_b256 s[4:11], s[0:1], 0x58
	s_load_b128 s[24:27], s[0:1], 0x40
	s_load_b32 s1, s[0:1], 0x50
	v_and_b32_e32 v9, 3, v0
	s_lshl_b32 s0, ttmp7, 6
	v_lshl_add_u32 v2, v6, 4, v8
	s_and_b32 s0, s0, 0x3fffc0
	v_lshl_add_u32 v15, v6, 3, 0x200
	v_add_nc_u32_e32 v7, s0, v6
	v_lshlrev_b32_e32 v3, 1, v9
	v_and_b32_e32 v10, 63, v2
	v_lshrrev_b32_e32 v0, 2, v2
	v_lshrrev_b32_e32 v18, 6, v2
	s_mov_b32 s34, ttmp9
	s_ashr_i32 s35, ttmp9, 31
	v_lshlrev_b32_e32 v2, 1, v10
	v_lshl_or_b32 v11, v0, 3, v3
	s_lshl_b64 s[34:35], s[34:35], 6
	v_lshlrev_b32_e32 v14, 1, v8
	s_wait_kmcnt 0x0
	v_mad_co_u64_u32 v[4:5], null, v7, s20, 0
	v_lshl_or_b32 v12, v18, 7, v2
	v_mad_co_u64_u32 v[2:3], null, v7, s6, 0
	v_mad_co_u64_u32 v[0:1], null, s24, v9, v[0:1]
	v_add_nc_u32_e32 v13, 0x200, v11
	v_mad_co_u64_u32 v[5:6], null, v7, s21, v[5:6]
	s_cmp_eq_f16 s1, 0
	v_mad_co_u64_u32 v[6:7], null, v7, s7, v[3:4]
	v_add_co_u32 v0, vcc_lo, v0, s0
	s_mul_i32 s0, s14, s35
	v_add_co_u32 v7, s36, s34, v8
	s_delay_alu instid0(VALU_DEP_1) | instskip(SKIP_4) | instid1(VALU_DEP_4)
	v_add_co_ci_u32_e64 v8, null, s35, 0, s36
	v_mov_b32_e32 v3, v6
	v_or_b32_e32 v11, s34, v10
	v_mad_co_u64_u32 v[9:10], null, s25, v9, v[1:2]
	v_lshlrev_b64_e32 v[4:5], 1, v[4:5]
	v_lshlrev_b64_e32 v[2:3], 1, v[2:3]
	s_delay_alu instid0(VALU_DEP_4)
	v_mul_lo_u32 v6, s15, v11
	v_mad_co_u64_u32 v[10:11], null, s14, v11, 0
	s_cselect_b32 s33, -1, 0
	v_add_co_ci_u32_e64 v1, null, 0, v9, vcc_lo
	v_add_co_u32 v16, vcc_lo, s4, v2
	s_wait_alu 0xfffd
	v_add_co_ci_u32_e64 v17, null, s5, v3, vcc_lo
	s_wait_alu 0xfffe
	v_add3_u32 v11, v11, s0, v6
	v_lshlrev_b64_e32 v[0:1], 1, v[0:1]
	v_lshlrev_b32_e32 v6, 1, v18
	v_cmp_gt_i64_e64 s0, s[28:29], 0
	s_lshl_b64 s[20:21], s[20:21], 4
	v_lshlrev_b64_e32 v[2:3], 1, v[10:11]
	s_lshl_b64 s[36:37], s[6:7], 4
	v_add_co_u32 v0, vcc_lo, s18, v0
	s_wait_alu 0xfffd
	v_add_co_ci_u32_e64 v1, null, s19, v1, vcc_lo
	s_delay_alu instid0(VALU_DEP_3) | instskip(SKIP_3) | instid1(VALU_DEP_3)
	v_add_co_u32 v2, vcc_lo, v2, v6
	s_wait_alu 0xfffd
	v_add_co_ci_u32_e64 v3, null, 0, v3, vcc_lo
	v_cndmask_b32_e64 v9, 0, 1, s0
	v_add_co_u32 v2, vcc_lo, s12, v2
	v_lshlrev_b64_e32 v[6:7], 1, v[7:8]
	s_wait_alu 0xfffd
	v_add_co_ci_u32_e64 v3, null, s13, v3, vcc_lo
	v_cmp_ne_u32_e64 s0, 1, v9
	s_mov_b32 s3, 0
	s_lshl_b64 s[4:5], s[26:27], 1
	s_lshl_b64 s[6:7], s[24:25], 3
	;; [unrolled: 1-line block ×3, first 2 shown]
	s_wait_alu 0xfffe
	s_lshl_b64 s[14:15], s[36:37], 1
	s_lshl_b64 s[16:17], s[20:21], 1
	s_branch .LBB8_3
.LBB8_2:                                ;   in Loop: Header=BB8_3 Depth=1
	s_add_co_i32 s2, s2, 0x10000
	s_wait_alu 0xfffe
	s_cmp_lt_i32 s2, s31
	s_cbranch_scc0 .LBB8_11
.LBB8_3:                                ; =>This Loop Header: Depth=1
                                        ;     Child Loop BB8_5 Depth 2
	s_and_b32 vcc_lo, exec_lo, s0
	s_wait_alu 0xfffe
	s_cbranch_vccnz .LBB8_6
; %bb.4:                                ;   in Loop: Header=BB8_3 Depth=1
	v_mad_co_u64_u32 v[8:9], null, s4, s2, v[0:1]
	v_mad_co_u64_u32 v[10:11], null, s12, s2, v[2:3]
	v_dual_mov_b32 v18, 0 :: v_dual_mov_b32 v19, 0
	v_dual_mov_b32 v20, 0 :: v_dual_mov_b32 v21, 0
	;; [unrolled: 1-line block ×3, first 2 shown]
	s_delay_alu instid0(VALU_DEP_4) | instskip(SKIP_3) | instid1(VALU_DEP_3)
	v_mad_co_u64_u32 v[25:26], null, s5, s2, v[9:10]
	v_mad_co_u64_u32 v[26:27], null, s13, s2, v[11:12]
	v_mov_b32_e32 v24, 0
	s_mov_b64 s[18:19], 0
	v_mov_b32_e32 v9, v25
	v_mov_b32_e32 v25, 0
	s_delay_alu instid0(VALU_DEP_4)
	v_mov_b32_e32 v11, v26
.LBB8_5:                                ;   Parent Loop BB8_3 Depth=1
                                        ; =>  This Inner Loop Header: Depth=2
	global_load_u16 v26, v[10:11], off
	global_load_u16 v27, v[8:9], off
	s_wait_alu 0xfffe
	s_add_nc_u64 s[18:19], s[18:19], 4
	v_add_co_u32 v8, vcc_lo, v8, s6
	s_wait_alu 0xfffe
	v_cmp_lt_i64_e64 s20, s[18:19], s[28:29]
	s_wait_alu 0xfffd
	v_add_co_ci_u32_e64 v9, null, s7, v9, vcc_lo
	v_add_co_u32 v10, vcc_lo, v10, 8
	s_wait_alu 0xfffd
	v_add_co_ci_u32_e64 v11, null, 0, v11, vcc_lo
	s_and_b32 vcc_lo, exec_lo, s20
	s_wait_loadcnt 0x1
	ds_store_b16 v12, v26
	s_wait_loadcnt 0x0
	ds_store_b16 v13, v27
	s_wait_dscnt 0x0
	s_barrier_signal -1
	s_barrier_wait -1
	global_inv scope:SCOPE_SE
	ds_load_u16 v34, v14 offset:32
	ds_load_u16 v35, v14 offset:96
	;; [unrolled: 1-line block ×8, first 2 shown]
	ds_load_2addr_b64 v[26:29], v15 offset1:16
	ds_load_2addr_b64 v[30:33], v15 offset0:32 offset1:48
	s_wait_dscnt 0x9
	ds_load_u16_d16_hi v34, v14
	s_wait_dscnt 0x9
	ds_load_u16_d16_hi v35, v14 offset:64
	s_wait_dscnt 0x9
	ds_load_u16_d16_hi v36, v14 offset:128
	;; [unrolled: 2-line block ×7, first 2 shown]
	s_wait_loadcnt_dscnt 0x0
	s_barrier_signal -1
	s_barrier_wait -1
	global_inv scope:SCOPE_SE
	v_pk_fma_f16 v25, v34, v26, v25 op_sel_hi:[1,0,1]
	v_pk_fma_f16 v24, v35, v26, v24 op_sel_hi:[1,0,1]
	;; [unrolled: 1-line block ×8, first 2 shown]
	v_pk_fma_f16 v25, v36, v26, v25 op_sel:[0,1,0]
	v_pk_fma_f16 v24, v37, v26, v24 op_sel:[0,1,0]
	v_pk_fma_f16 v23, v36, v28, v23 op_sel:[0,1,0]
	v_pk_fma_f16 v22, v37, v28, v22 op_sel:[0,1,0]
	v_pk_fma_f16 v21, v36, v30, v21 op_sel:[0,1,0]
	v_pk_fma_f16 v20, v37, v30, v20 op_sel:[0,1,0]
	v_pk_fma_f16 v19, v36, v32, v19 op_sel:[0,1,0]
	v_pk_fma_f16 v18, v37, v32, v18 op_sel:[0,1,0]
	v_pk_fma_f16 v25, v38, v27, v25 op_sel_hi:[1,0,1]
	v_pk_fma_f16 v24, v39, v27, v24 op_sel_hi:[1,0,1]
	;; [unrolled: 1-line block ×8, first 2 shown]
	v_pk_fma_f16 v25, v40, v27, v25 op_sel:[0,1,0]
	v_pk_fma_f16 v24, v41, v27, v24 op_sel:[0,1,0]
	;; [unrolled: 1-line block ×8, first 2 shown]
	s_wait_alu 0xfffe
	s_cbranch_vccnz .LBB8_5
	s_branch .LBB8_7
.LBB8_6:                                ;   in Loop: Header=BB8_3 Depth=1
	v_dual_mov_b32 v25, 0 :: v_dual_mov_b32 v24, 0
	v_dual_mov_b32 v23, 0 :: v_dual_mov_b32 v22, 0
	;; [unrolled: 1-line block ×4, first 2 shown]
.LBB8_7:                                ;   in Loop: Header=BB8_3 Depth=1
	s_mul_u64 s[18:19], s[22:23], s[2:3]
	v_lshrrev_b32_e32 v29, 16, v25
	v_lshrrev_b32_e32 v28, 16, v24
	;; [unrolled: 1-line block ×8, first 2 shown]
	s_wait_alu 0xfffe
	s_lshl_b64 s[18:19], s[18:19], 1
	s_and_not1_b32 vcc_lo, exec_lo, s33
	s_wait_alu 0xfffe
	s_add_nc_u64 s[18:19], s[10:11], s[18:19]
	s_cbranch_vccnz .LBB8_9
; %bb.8:                                ;   in Loop: Header=BB8_3 Depth=1
	s_wait_alu 0xfffe
	v_add_co_u32 v32, vcc_lo, s18, v4
	s_wait_alu 0xfffd
	v_add_co_ci_u32_e64 v33, null, s19, v5, vcc_lo
	v_mul_f16_e32 v34, s30, v29
	s_delay_alu instid0(VALU_DEP_3) | instskip(SKIP_1) | instid1(VALU_DEP_3)
	v_add_co_u32 v30, vcc_lo, v32, v6
	s_wait_alu 0xfffd
	v_add_co_ci_u32_e64 v31, null, v33, v7, vcc_lo
	v_add_co_u32 v32, vcc_lo, v32, s16
	v_mul_f16_e32 v35, s30, v25
	v_mul_f16_e32 v36, s30, v28
	s_wait_alu 0xfffd
	v_add_co_ci_u32_e64 v33, null, s17, v33, vcc_lo
	v_mul_f16_e32 v37, s30, v24
	s_clause 0x3
	global_store_b16 v[30:31], v34, off
	global_store_b16 v[30:31], v35, off offset:32
	global_store_b16 v[30:31], v36, off offset:64
	;; [unrolled: 1-line block ×3, first 2 shown]
	v_add_co_u32 v30, vcc_lo, v32, v6
	s_wait_alu 0xfffd
	v_add_co_ci_u32_e64 v31, null, v33, v7, vcc_lo
	v_add_co_u32 v38, vcc_lo, v32, s16
	s_wait_alu 0xfffd
	v_add_co_ci_u32_e64 v39, null, s17, v33, vcc_lo
	v_mul_f16_e32 v34, s30, v27
	v_mul_f16_e32 v35, s30, v23
	;; [unrolled: 1-line block ×3, first 2 shown]
	v_add_co_u32 v32, vcc_lo, v38, v6
	v_mul_f16_e32 v37, s30, v22
	v_mul_f16_e32 v40, s30, v11
	s_wait_alu 0xfffd
	v_add_co_ci_u32_e64 v33, null, v39, v7, vcc_lo
	v_mul_f16_e32 v41, s30, v21
	v_mul_f16_e32 v42, s30, v10
	;; [unrolled: 1-line block ×3, first 2 shown]
	s_clause 0x7
	global_store_b16 v[30:31], v34, off
	global_store_b16 v[30:31], v35, off offset:32
	global_store_b16 v[30:31], v36, off offset:64
	;; [unrolled: 1-line block ×3, first 2 shown]
	global_store_b16 v[32:33], v40, off
	global_store_b16 v[32:33], v41, off offset:32
	global_store_b16 v[32:33], v42, off offset:64
	;; [unrolled: 1-line block ×3, first 2 shown]
	v_add_co_u32 v30, vcc_lo, v38, s16
	s_wait_alu 0xfffd
	v_add_co_ci_u32_e64 v31, null, s17, v39, vcc_lo
	v_mul_f16_e32 v32, s30, v9
	s_delay_alu instid0(VALU_DEP_3) | instskip(SKIP_1) | instid1(VALU_DEP_3)
	v_add_co_u32 v30, vcc_lo, v30, v6
	s_wait_alu 0xfffd
	v_add_co_ci_u32_e64 v31, null, v31, v7, vcc_lo
	v_mul_f16_e32 v33, s30, v19
	v_mul_f16_e32 v34, s30, v8
	;; [unrolled: 1-line block ×3, first 2 shown]
	s_clause 0x3
	global_store_b16 v[30:31], v32, off
	global_store_b16 v[30:31], v33, off offset:32
	global_store_b16 v[30:31], v34, off offset:64
	;; [unrolled: 1-line block ×3, first 2 shown]
	s_cbranch_execnz .LBB8_2
	s_branch .LBB8_10
.LBB8_9:                                ;   in Loop: Header=BB8_3 Depth=1
.LBB8_10:                               ;   in Loop: Header=BB8_3 Depth=1
	s_mul_u64 s[20:21], s[8:9], s[2:3]
	s_wait_alu 0xfffe
	s_lshl_b64 s[20:21], s[20:21], 1
	s_wait_alu 0xfffe
	v_add_co_u32 v34, vcc_lo, v16, s20
	s_wait_alu 0xfffd
	v_add_co_ci_u32_e64 v35, null, s21, v17, vcc_lo
	s_delay_alu instid0(VALU_DEP_2) | instskip(SKIP_1) | instid1(VALU_DEP_2)
	v_add_co_u32 v30, vcc_lo, v34, v6
	s_wait_alu 0xfffd
	v_add_co_ci_u32_e64 v31, null, v35, v7, vcc_lo
	v_add_co_u32 v36, vcc_lo, s18, v4
	s_wait_alu 0xfffd
	v_add_co_ci_u32_e64 v37, null, s19, v5, vcc_lo
	global_load_u16 v32, v[30:31], off
	s_wait_loadcnt 0x0
	v_mul_f16_e32 v38, s1, v32
	v_add_co_u32 v32, vcc_lo, v36, v6
	s_wait_alu 0xfffd
	v_add_co_ci_u32_e64 v33, null, v37, v7, vcc_lo
	s_delay_alu instid0(VALU_DEP_3) | instskip(SKIP_4) | instid1(VALU_DEP_1)
	v_fmac_f16_e32 v38, s30, v29
	global_store_b16 v[32:33], v38, off
	global_load_u16 v29, v[30:31], off offset:32
	s_wait_loadcnt 0x0
	v_mul_f16_e32 v29, s1, v29
	v_fmac_f16_e32 v29, s30, v25
	global_store_b16 v[32:33], v29, off offset:32
	global_load_u16 v25, v[30:31], off offset:64
	s_wait_loadcnt 0x0
	v_mul_f16_e32 v25, s1, v25
	s_delay_alu instid0(VALU_DEP_1)
	v_fmac_f16_e32 v25, s30, v28
	global_store_b16 v[32:33], v25, off offset:64
	global_load_u16 v25, v[30:31], off offset:96
	v_add_co_u32 v30, vcc_lo, v34, s14
	s_wait_alu 0xfffd
	v_add_co_ci_u32_e64 v31, null, s15, v35, vcc_lo
	s_wait_loadcnt 0x0
	v_mul_f16_e32 v28, s1, v25
	s_delay_alu instid0(VALU_DEP_1)
	v_fmac_f16_e32 v28, s30, v24
	v_add_co_u32 v24, vcc_lo, v30, v6
	s_wait_alu 0xfffd
	v_add_co_ci_u32_e64 v25, null, v31, v7, vcc_lo
	global_store_b16 v[32:33], v28, off offset:96
	v_add_co_u32 v32, vcc_lo, v36, s16
	global_load_u16 v28, v[24:25], off
	s_wait_alu 0xfffd
	v_add_co_ci_u32_e64 v33, null, s17, v37, vcc_lo
	s_wait_loadcnt 0x0
	v_mul_f16_e32 v34, s1, v28
	v_add_co_u32 v28, vcc_lo, v32, v6
	s_wait_alu 0xfffd
	v_add_co_ci_u32_e64 v29, null, v33, v7, vcc_lo
	s_delay_alu instid0(VALU_DEP_3) | instskip(SKIP_4) | instid1(VALU_DEP_1)
	v_fmac_f16_e32 v34, s30, v27
	global_store_b16 v[28:29], v34, off
	global_load_u16 v27, v[24:25], off offset:32
	s_wait_loadcnt 0x0
	v_mul_f16_e32 v27, s1, v27
	v_fmac_f16_e32 v27, s30, v23
	global_store_b16 v[28:29], v27, off offset:32
	global_load_u16 v23, v[24:25], off offset:64
	s_wait_loadcnt 0x0
	v_mul_f16_e32 v23, s1, v23
	s_delay_alu instid0(VALU_DEP_1)
	v_fmac_f16_e32 v23, s30, v26
	v_add_co_u32 v26, vcc_lo, v30, s14
	s_wait_alu 0xfffd
	v_add_co_ci_u32_e64 v27, null, s15, v31, vcc_lo
	global_store_b16 v[28:29], v23, off offset:64
	global_load_u16 v23, v[24:25], off offset:96
	s_wait_loadcnt 0x0
	v_mul_f16_e32 v24, s1, v23
	s_delay_alu instid0(VALU_DEP_1)
	v_fmac_f16_e32 v24, s30, v22
	v_add_co_u32 v22, vcc_lo, v26, v6
	s_wait_alu 0xfffd
	v_add_co_ci_u32_e64 v23, null, v27, v7, vcc_lo
	global_store_b16 v[28:29], v24, off offset:96
	v_add_co_u32 v28, vcc_lo, v32, s16
	global_load_u16 v24, v[22:23], off
	s_wait_alu 0xfffd
	v_add_co_ci_u32_e64 v29, null, s17, v33, vcc_lo
	s_wait_loadcnt 0x0
	v_mul_f16_e32 v30, s1, v24
	v_add_co_u32 v24, vcc_lo, v28, v6
	s_wait_alu 0xfffd
	v_add_co_ci_u32_e64 v25, null, v29, v7, vcc_lo
	s_delay_alu instid0(VALU_DEP_3) | instskip(SKIP_4) | instid1(VALU_DEP_1)
	v_fmac_f16_e32 v30, s30, v11
	global_store_b16 v[24:25], v30, off
	global_load_u16 v11, v[22:23], off offset:32
	s_wait_loadcnt 0x0
	v_mul_f16_e32 v11, s1, v11
	v_fmac_f16_e32 v11, s30, v21
	global_store_b16 v[24:25], v11, off offset:32
	global_load_u16 v11, v[22:23], off offset:64
	s_wait_loadcnt 0x0
	v_mul_f16_e32 v11, s1, v11
	s_delay_alu instid0(VALU_DEP_1)
	v_fmac_f16_e32 v11, s30, v10
	global_store_b16 v[24:25], v11, off offset:64
	global_load_u16 v10, v[22:23], off offset:96
	s_wait_loadcnt 0x0
	v_mul_f16_e32 v21, s1, v10
	v_add_co_u32 v10, vcc_lo, v26, s14
	s_wait_alu 0xfffd
	v_add_co_ci_u32_e64 v11, null, s15, v27, vcc_lo
	s_delay_alu instid0(VALU_DEP_3) | instskip(NEXT) | instid1(VALU_DEP_3)
	v_fmac_f16_e32 v21, s30, v20
	v_add_co_u32 v10, vcc_lo, v10, v6
	s_wait_alu 0xfffd
	s_delay_alu instid0(VALU_DEP_3)
	v_add_co_ci_u32_e64 v11, null, v11, v7, vcc_lo
	global_store_b16 v[24:25], v21, off offset:96
	global_load_u16 v20, v[10:11], off
	s_wait_loadcnt 0x0
	v_mul_f16_e32 v22, s1, v20
	v_add_co_u32 v20, vcc_lo, v28, s16
	s_wait_alu 0xfffd
	v_add_co_ci_u32_e64 v21, null, s17, v29, vcc_lo
	s_delay_alu instid0(VALU_DEP_3) | instskip(NEXT) | instid1(VALU_DEP_3)
	v_fmac_f16_e32 v22, s30, v9
	v_add_co_u32 v20, vcc_lo, v20, v6
	s_wait_alu 0xfffd
	s_delay_alu instid0(VALU_DEP_3) | instskip(SKIP_4) | instid1(VALU_DEP_1)
	v_add_co_ci_u32_e64 v21, null, v21, v7, vcc_lo
	global_store_b16 v[20:21], v22, off
	global_load_u16 v9, v[10:11], off offset:32
	s_wait_loadcnt 0x0
	v_mul_f16_e32 v9, s1, v9
	v_fmac_f16_e32 v9, s30, v19
	global_store_b16 v[20:21], v9, off offset:32
	global_load_u16 v9, v[10:11], off offset:64
	s_wait_loadcnt 0x0
	v_mul_f16_e32 v9, s1, v9
	s_delay_alu instid0(VALU_DEP_1) | instskip(SKIP_4) | instid1(VALU_DEP_1)
	v_fmac_f16_e32 v9, s30, v8
	global_store_b16 v[20:21], v9, off offset:64
	global_load_u16 v8, v[10:11], off offset:96
	s_wait_loadcnt 0x0
	v_mul_f16_e32 v8, s1, v8
	v_fmac_f16_e32 v8, s30, v18
	global_store_b16 v[20:21], v8, off offset:96
	s_branch .LBB8_2
.LBB8_11:
	s_endpgm
	.section	.rodata,"a",@progbits
	.p2align	6, 0x0
	.amdhsa_kernel _ZN12_GLOBAL__N_127rocblas_gemm_batched_kernelIDF16_Li16ELi16ELi64ELi64ELi4ELi64ELi4ELi4ELi64ELc67ELc84EKDF16_S1_DF16_EEvlllT_PT11_llS4_llS2_PT12_llPT13_lli
		.amdhsa_group_segment_fixed_size 1024
		.amdhsa_private_segment_fixed_size 0
		.amdhsa_kernarg_size 140
		.amdhsa_user_sgpr_count 2
		.amdhsa_user_sgpr_dispatch_ptr 0
		.amdhsa_user_sgpr_queue_ptr 0
		.amdhsa_user_sgpr_kernarg_segment_ptr 1
		.amdhsa_user_sgpr_dispatch_id 0
		.amdhsa_user_sgpr_private_segment_size 0
		.amdhsa_wavefront_size32 1
		.amdhsa_uses_dynamic_stack 0
		.amdhsa_enable_private_segment 0
		.amdhsa_system_sgpr_workgroup_id_x 1
		.amdhsa_system_sgpr_workgroup_id_y 1
		.amdhsa_system_sgpr_workgroup_id_z 1
		.amdhsa_system_sgpr_workgroup_info 0
		.amdhsa_system_vgpr_workitem_id 1
		.amdhsa_next_free_vgpr 44
		.amdhsa_next_free_sgpr 38
		.amdhsa_reserve_vcc 1
		.amdhsa_float_round_mode_32 0
		.amdhsa_float_round_mode_16_64 0
		.amdhsa_float_denorm_mode_32 3
		.amdhsa_float_denorm_mode_16_64 3
		.amdhsa_fp16_overflow 0
		.amdhsa_workgroup_processor_mode 1
		.amdhsa_memory_ordered 1
		.amdhsa_forward_progress 1
		.amdhsa_inst_pref_size 22
		.amdhsa_round_robin_scheduling 0
		.amdhsa_exception_fp_ieee_invalid_op 0
		.amdhsa_exception_fp_denorm_src 0
		.amdhsa_exception_fp_ieee_div_zero 0
		.amdhsa_exception_fp_ieee_overflow 0
		.amdhsa_exception_fp_ieee_underflow 0
		.amdhsa_exception_fp_ieee_inexact 0
		.amdhsa_exception_int_div_zero 0
	.end_amdhsa_kernel
	.section	.text._ZN12_GLOBAL__N_127rocblas_gemm_batched_kernelIDF16_Li16ELi16ELi64ELi64ELi4ELi64ELi4ELi4ELi64ELc67ELc84EKDF16_S1_DF16_EEvlllT_PT11_llS4_llS2_PT12_llPT13_lli,"axG",@progbits,_ZN12_GLOBAL__N_127rocblas_gemm_batched_kernelIDF16_Li16ELi16ELi64ELi64ELi4ELi64ELi4ELi4ELi64ELc67ELc84EKDF16_S1_DF16_EEvlllT_PT11_llS4_llS2_PT12_llPT13_lli,comdat
.Lfunc_end8:
	.size	_ZN12_GLOBAL__N_127rocblas_gemm_batched_kernelIDF16_Li16ELi16ELi64ELi64ELi4ELi64ELi4ELi4ELi64ELc67ELc84EKDF16_S1_DF16_EEvlllT_PT11_llS4_llS2_PT12_llPT13_lli, .Lfunc_end8-_ZN12_GLOBAL__N_127rocblas_gemm_batched_kernelIDF16_Li16ELi16ELi64ELi64ELi4ELi64ELi4ELi4ELi64ELc67ELc84EKDF16_S1_DF16_EEvlllT_PT11_llS4_llS2_PT12_llPT13_lli
                                        ; -- End function
	.set _ZN12_GLOBAL__N_127rocblas_gemm_batched_kernelIDF16_Li16ELi16ELi64ELi64ELi4ELi64ELi4ELi4ELi64ELc67ELc84EKDF16_S1_DF16_EEvlllT_PT11_llS4_llS2_PT12_llPT13_lli.num_vgpr, 44
	.set _ZN12_GLOBAL__N_127rocblas_gemm_batched_kernelIDF16_Li16ELi16ELi64ELi64ELi4ELi64ELi4ELi4ELi64ELc67ELc84EKDF16_S1_DF16_EEvlllT_PT11_llS4_llS2_PT12_llPT13_lli.num_agpr, 0
	.set _ZN12_GLOBAL__N_127rocblas_gemm_batched_kernelIDF16_Li16ELi16ELi64ELi64ELi4ELi64ELi4ELi4ELi64ELc67ELc84EKDF16_S1_DF16_EEvlllT_PT11_llS4_llS2_PT12_llPT13_lli.numbered_sgpr, 38
	.set _ZN12_GLOBAL__N_127rocblas_gemm_batched_kernelIDF16_Li16ELi16ELi64ELi64ELi4ELi64ELi4ELi4ELi64ELc67ELc84EKDF16_S1_DF16_EEvlllT_PT11_llS4_llS2_PT12_llPT13_lli.num_named_barrier, 0
	.set _ZN12_GLOBAL__N_127rocblas_gemm_batched_kernelIDF16_Li16ELi16ELi64ELi64ELi4ELi64ELi4ELi4ELi64ELc67ELc84EKDF16_S1_DF16_EEvlllT_PT11_llS4_llS2_PT12_llPT13_lli.private_seg_size, 0
	.set _ZN12_GLOBAL__N_127rocblas_gemm_batched_kernelIDF16_Li16ELi16ELi64ELi64ELi4ELi64ELi4ELi4ELi64ELc67ELc84EKDF16_S1_DF16_EEvlllT_PT11_llS4_llS2_PT12_llPT13_lli.uses_vcc, 1
	.set _ZN12_GLOBAL__N_127rocblas_gemm_batched_kernelIDF16_Li16ELi16ELi64ELi64ELi4ELi64ELi4ELi4ELi64ELc67ELc84EKDF16_S1_DF16_EEvlllT_PT11_llS4_llS2_PT12_llPT13_lli.uses_flat_scratch, 0
	.set _ZN12_GLOBAL__N_127rocblas_gemm_batched_kernelIDF16_Li16ELi16ELi64ELi64ELi4ELi64ELi4ELi4ELi64ELc67ELc84EKDF16_S1_DF16_EEvlllT_PT11_llS4_llS2_PT12_llPT13_lli.has_dyn_sized_stack, 0
	.set _ZN12_GLOBAL__N_127rocblas_gemm_batched_kernelIDF16_Li16ELi16ELi64ELi64ELi4ELi64ELi4ELi4ELi64ELc67ELc84EKDF16_S1_DF16_EEvlllT_PT11_llS4_llS2_PT12_llPT13_lli.has_recursion, 0
	.set _ZN12_GLOBAL__N_127rocblas_gemm_batched_kernelIDF16_Li16ELi16ELi64ELi64ELi4ELi64ELi4ELi4ELi64ELc67ELc84EKDF16_S1_DF16_EEvlllT_PT11_llS4_llS2_PT12_llPT13_lli.has_indirect_call, 0
	.section	.AMDGPU.csdata,"",@progbits
; Kernel info:
; codeLenInByte = 2744
; TotalNumSgprs: 40
; NumVgprs: 44
; ScratchSize: 0
; MemoryBound: 0
; FloatMode: 240
; IeeeMode: 1
; LDSByteSize: 1024 bytes/workgroup (compile time only)
; SGPRBlocks: 0
; VGPRBlocks: 5
; NumSGPRsForWavesPerEU: 40
; NumVGPRsForWavesPerEU: 44
; Occupancy: 16
; WaveLimiterHint : 0
; COMPUTE_PGM_RSRC2:SCRATCH_EN: 0
; COMPUTE_PGM_RSRC2:USER_SGPR: 2
; COMPUTE_PGM_RSRC2:TRAP_HANDLER: 0
; COMPUTE_PGM_RSRC2:TGID_X_EN: 1
; COMPUTE_PGM_RSRC2:TGID_Y_EN: 1
; COMPUTE_PGM_RSRC2:TGID_Z_EN: 1
; COMPUTE_PGM_RSRC2:TIDIG_COMP_CNT: 1
	.section	.text._ZN12_GLOBAL__N_127rocblas_gemm_batched_kernelIDF16_Li16ELi16ELi64ELi64ELi4ELi64ELi4ELi4ELi64ELc78ELc67EKDF16_S1_DF16_EEvlllT_PT11_llS4_llS2_PT12_llPT13_lli,"axG",@progbits,_ZN12_GLOBAL__N_127rocblas_gemm_batched_kernelIDF16_Li16ELi16ELi64ELi64ELi4ELi64ELi4ELi4ELi64ELc78ELc67EKDF16_S1_DF16_EEvlllT_PT11_llS4_llS2_PT12_llPT13_lli,comdat
	.globl	_ZN12_GLOBAL__N_127rocblas_gemm_batched_kernelIDF16_Li16ELi16ELi64ELi64ELi4ELi64ELi4ELi4ELi64ELc78ELc67EKDF16_S1_DF16_EEvlllT_PT11_llS4_llS2_PT12_llPT13_lli ; -- Begin function _ZN12_GLOBAL__N_127rocblas_gemm_batched_kernelIDF16_Li16ELi16ELi64ELi64ELi4ELi64ELi4ELi4ELi64ELc78ELc67EKDF16_S1_DF16_EEvlllT_PT11_llS4_llS2_PT12_llPT13_lli
	.p2align	8
	.type	_ZN12_GLOBAL__N_127rocblas_gemm_batched_kernelIDF16_Li16ELi16ELi64ELi64ELi4ELi64ELi4ELi4ELi64ELc78ELc67EKDF16_S1_DF16_EEvlllT_PT11_llS4_llS2_PT12_llPT13_lli,@function
_ZN12_GLOBAL__N_127rocblas_gemm_batched_kernelIDF16_Li16ELi16ELi64ELi64ELi4ELi64ELi4ELi4ELi64ELc78ELc67EKDF16_S1_DF16_EEvlllT_PT11_llS4_llS2_PT12_llPT13_lli: ; @_ZN12_GLOBAL__N_127rocblas_gemm_batched_kernelIDF16_Li16ELi16ELi64ELi64ELi4ELi64ELi4ELi4ELi64ELc78ELc67EKDF16_S1_DF16_EEvlllT_PT11_llS4_llS2_PT12_llPT13_lli
; %bb.0:
	s_load_b32 s31, s[0:1], 0x88
	s_lshr_b32 s2, ttmp7, 16
	s_wait_kmcnt 0x0
	s_cmp_ge_i32 s2, s31
	s_cbranch_scc1 .LBB9_11
; %bb.1:
	s_clause 0x3
	s_load_b96 s[28:30], s[0:1], 0x10
	s_load_b256 s[12:19], s[0:1], 0x20
	s_load_b128 s[20:23], s[0:1], 0x78
	s_load_b256 s[4:11], s[0:1], 0x58
	v_dual_mov_b32 v1, 0 :: v_dual_and_b32 v8, 0x3ff, v0
	v_bfe_u32 v6, v0, 10, 10
	s_clause 0x1
	s_load_b128 s[24:27], s[0:1], 0x40
	s_load_b32 s1, s[0:1], 0x50
	v_and_b32_e32 v11, 3, v0
	s_lshl_b32 s0, ttmp7, 6
	s_mov_b32 s34, ttmp9
	v_lshl_add_u32 v2, v6, 4, v8
	s_and_b32 s0, s0, 0x3fffc0
	v_lshl_add_u32 v15, v6, 3, 0x200
	v_add_nc_u32_e32 v7, s0, v6
	s_ashr_i32 s35, ttmp9, 31
	v_and_b32_e32 v20, 63, v2
	v_lshrrev_b32_e32 v18, 6, v2
	v_lshrrev_b32_e32 v0, 2, v2
	v_lshlrev_b32_e32 v2, 1, v11
	s_lshl_b64 s[34:35], s[34:35], 6
	v_lshlrev_b32_e32 v14, 1, v8
	s_wait_kmcnt 0x0
	v_mad_co_u64_u32 v[4:5], null, v7, s20, 0
	v_lshl_or_b32 v10, v0, 3, v2
	v_mad_co_u64_u32 v[2:3], null, v7, s6, 0
	v_mad_co_u64_u32 v[0:1], null, s24, v11, v[0:1]
	s_delay_alu instid0(VALU_DEP_3)
	v_add_nc_u32_e32 v13, 0x200, v10
	v_mad_co_u64_u32 v[5:6], null, v7, s21, v[5:6]
	s_cmp_eq_f16 s1, 0
	v_mad_co_u64_u32 v[6:7], null, v7, s7, v[3:4]
	v_mad_co_u64_u32 v[16:17], null, s25, v11, v[1:2]
	v_add_co_u32 v7, s36, s34, v8
	s_delay_alu instid0(VALU_DEP_1) | instskip(NEXT) | instid1(VALU_DEP_4)
	v_add_co_ci_u32_e64 v8, null, s35, 0, s36
	v_mov_b32_e32 v3, v6
	v_lshlrev_b32_e32 v9, 1, v20
	s_cselect_b32 s33, -1, 0
	s_delay_alu instid0(VALU_DEP_3)
	v_lshlrev_b64_e32 v[6:7], 1, v[7:8]
	s_lshl_b64 s[20:21], s[20:21], 4
	v_lshlrev_b64_e32 v[1:2], 1, v[2:3]
	v_lshl_or_b32 v12, v18, 7, v9
	v_mad_co_u64_u32 v[9:10], null, s14, v18, s[34:35]
	s_lshl_b64 s[34:35], s[6:7], 4
	s_mov_b32 s3, 0
	s_lshl_b64 s[6:7], s[24:25], 3
	v_mov_b32_e32 v3, v10
	v_add_co_u32 v10, vcc_lo, v0, s0
	s_delay_alu instid0(VALU_DEP_1) | instskip(NEXT) | instid1(VALU_DEP_3)
	v_add_co_ci_u32_e64 v11, null, 0, v16, vcc_lo
	v_mad_co_u64_u32 v[18:19], null, s15, v18, v[3:4]
	v_add_co_u32 v16, vcc_lo, s4, v1
	s_wait_alu 0xfffd
	v_add_co_ci_u32_e64 v17, null, s5, v2, vcc_lo
	v_add_co_u32 v2, vcc_lo, v9, v20
	s_wait_alu 0xfffd
	s_delay_alu instid0(VALU_DEP_4) | instskip(SKIP_3) | instid1(VALU_DEP_4)
	v_add_co_ci_u32_e64 v3, null, 0, v18, vcc_lo
	v_cmp_gt_i64_e64 s0, s[28:29], 0
	v_lshlrev_b64_e32 v[0:1], 1, v[10:11]
	v_lshlrev_b64_e32 v[4:5], 1, v[4:5]
	;; [unrolled: 1-line block ×3, first 2 shown]
	s_lshl_b64 s[4:5], s[26:27], 1
	s_lshl_b64 s[14:15], s[14:15], 3
	v_cndmask_b32_e64 v9, 0, 1, s0
	v_add_co_u32 v0, vcc_lo, s18, v0
	s_wait_alu 0xfffd
	v_add_co_ci_u32_e64 v1, null, s19, v1, vcc_lo
	v_add_co_u32 v2, vcc_lo, s12, v2
	s_wait_alu 0xfffd
	v_add_co_ci_u32_e64 v3, null, s13, v3, vcc_lo
	v_cmp_ne_u32_e64 s0, 1, v9
	s_lshl_b64 s[12:13], s[16:17], 1
	s_wait_alu 0xfffe
	s_lshl_b64 s[16:17], s[34:35], 1
	s_lshl_b64 s[18:19], s[20:21], 1
	s_branch .LBB9_3
.LBB9_2:                                ;   in Loop: Header=BB9_3 Depth=1
	s_add_co_i32 s2, s2, 0x10000
	s_wait_alu 0xfffe
	s_cmp_lt_i32 s2, s31
	s_cbranch_scc0 .LBB9_11
.LBB9_3:                                ; =>This Loop Header: Depth=1
                                        ;     Child Loop BB9_5 Depth 2
	s_and_b32 vcc_lo, exec_lo, s0
	s_wait_alu 0xfffe
	s_cbranch_vccnz .LBB9_6
; %bb.4:                                ;   in Loop: Header=BB9_3 Depth=1
	v_mad_co_u64_u32 v[8:9], null, s4, s2, v[0:1]
	v_mad_co_u64_u32 v[10:11], null, s12, s2, v[2:3]
	v_dual_mov_b32 v18, 0 :: v_dual_mov_b32 v19, 0
	v_dual_mov_b32 v20, 0 :: v_dual_mov_b32 v21, 0
	;; [unrolled: 1-line block ×3, first 2 shown]
	s_delay_alu instid0(VALU_DEP_4) | instskip(SKIP_3) | instid1(VALU_DEP_3)
	v_mad_co_u64_u32 v[25:26], null, s5, s2, v[9:10]
	v_mad_co_u64_u32 v[26:27], null, s13, s2, v[11:12]
	v_mov_b32_e32 v24, 0
	s_mov_b64 s[20:21], 0
	v_mov_b32_e32 v9, v25
	v_mov_b32_e32 v25, 0
	s_delay_alu instid0(VALU_DEP_4)
	v_mov_b32_e32 v11, v26
.LBB9_5:                                ;   Parent Loop BB9_3 Depth=1
                                        ; =>  This Inner Loop Header: Depth=2
	global_load_u16 v26, v[10:11], off
	global_load_u16 v27, v[8:9], off
	s_wait_alu 0xfffe
	s_add_nc_u64 s[20:21], s[20:21], 4
	v_add_co_u32 v8, vcc_lo, v8, s6
	s_wait_alu 0xfffe
	v_cmp_lt_i64_e64 s24, s[20:21], s[28:29]
	s_wait_alu 0xfffd
	v_add_co_ci_u32_e64 v9, null, s7, v9, vcc_lo
	v_add_co_u32 v10, vcc_lo, v10, s14
	s_wait_alu 0xfffd
	v_add_co_ci_u32_e64 v11, null, s15, v11, vcc_lo
	s_and_b32 vcc_lo, exec_lo, s24
	s_wait_loadcnt 0x1
	ds_store_b16 v12, v26
	s_wait_loadcnt 0x0
	ds_store_b16 v13, v27
	s_wait_dscnt 0x0
	s_barrier_signal -1
	s_barrier_wait -1
	global_inv scope:SCOPE_SE
	ds_load_u16 v34, v14 offset:32
	ds_load_u16 v35, v14 offset:96
	;; [unrolled: 1-line block ×8, first 2 shown]
	ds_load_2addr_b64 v[26:29], v15 offset1:16
	ds_load_2addr_b64 v[30:33], v15 offset0:32 offset1:48
	s_wait_dscnt 0x9
	ds_load_u16_d16_hi v34, v14
	s_wait_dscnt 0x9
	ds_load_u16_d16_hi v35, v14 offset:64
	s_wait_dscnt 0x9
	ds_load_u16_d16_hi v36, v14 offset:128
	;; [unrolled: 2-line block ×7, first 2 shown]
	s_wait_loadcnt_dscnt 0x0
	s_barrier_signal -1
	s_barrier_wait -1
	global_inv scope:SCOPE_SE
	v_pk_fma_f16 v25, v34, v26, v25 op_sel_hi:[1,0,1]
	v_pk_fma_f16 v24, v35, v26, v24 op_sel_hi:[1,0,1]
	;; [unrolled: 1-line block ×8, first 2 shown]
	v_pk_fma_f16 v25, v36, v26, v25 op_sel:[0,1,0]
	v_pk_fma_f16 v24, v37, v26, v24 op_sel:[0,1,0]
	;; [unrolled: 1-line block ×8, first 2 shown]
	v_pk_fma_f16 v25, v38, v27, v25 op_sel_hi:[1,0,1]
	v_pk_fma_f16 v24, v39, v27, v24 op_sel_hi:[1,0,1]
	;; [unrolled: 1-line block ×8, first 2 shown]
	v_pk_fma_f16 v25, v40, v27, v25 op_sel:[0,1,0]
	v_pk_fma_f16 v24, v41, v27, v24 op_sel:[0,1,0]
	;; [unrolled: 1-line block ×8, first 2 shown]
	s_wait_alu 0xfffe
	s_cbranch_vccnz .LBB9_5
	s_branch .LBB9_7
.LBB9_6:                                ;   in Loop: Header=BB9_3 Depth=1
	v_dual_mov_b32 v25, 0 :: v_dual_mov_b32 v24, 0
	v_dual_mov_b32 v23, 0 :: v_dual_mov_b32 v22, 0
	v_dual_mov_b32 v21, 0 :: v_dual_mov_b32 v20, 0
	v_dual_mov_b32 v19, 0 :: v_dual_mov_b32 v18, 0
.LBB9_7:                                ;   in Loop: Header=BB9_3 Depth=1
	s_mul_u64 s[20:21], s[22:23], s[2:3]
	v_lshrrev_b32_e32 v29, 16, v25
	v_lshrrev_b32_e32 v28, 16, v24
	;; [unrolled: 1-line block ×8, first 2 shown]
	s_wait_alu 0xfffe
	s_lshl_b64 s[20:21], s[20:21], 1
	s_and_not1_b32 vcc_lo, exec_lo, s33
	s_wait_alu 0xfffe
	s_add_nc_u64 s[20:21], s[10:11], s[20:21]
	s_cbranch_vccnz .LBB9_9
; %bb.8:                                ;   in Loop: Header=BB9_3 Depth=1
	s_wait_alu 0xfffe
	v_add_co_u32 v32, vcc_lo, s20, v4
	s_wait_alu 0xfffd
	v_add_co_ci_u32_e64 v33, null, s21, v5, vcc_lo
	v_mul_f16_e32 v34, s30, v29
	s_delay_alu instid0(VALU_DEP_3) | instskip(SKIP_1) | instid1(VALU_DEP_3)
	v_add_co_u32 v30, vcc_lo, v32, v6
	s_wait_alu 0xfffd
	v_add_co_ci_u32_e64 v31, null, v33, v7, vcc_lo
	v_add_co_u32 v32, vcc_lo, v32, s18
	v_mul_f16_e32 v35, s30, v25
	v_mul_f16_e32 v36, s30, v28
	s_wait_alu 0xfffd
	v_add_co_ci_u32_e64 v33, null, s19, v33, vcc_lo
	v_mul_f16_e32 v37, s30, v24
	s_clause 0x3
	global_store_b16 v[30:31], v34, off
	global_store_b16 v[30:31], v35, off offset:32
	global_store_b16 v[30:31], v36, off offset:64
	global_store_b16 v[30:31], v37, off offset:96
	v_add_co_u32 v30, vcc_lo, v32, v6
	s_wait_alu 0xfffd
	v_add_co_ci_u32_e64 v31, null, v33, v7, vcc_lo
	v_add_co_u32 v38, vcc_lo, v32, s18
	s_wait_alu 0xfffd
	v_add_co_ci_u32_e64 v39, null, s19, v33, vcc_lo
	v_mul_f16_e32 v34, s30, v27
	v_mul_f16_e32 v35, s30, v23
	;; [unrolled: 1-line block ×3, first 2 shown]
	v_add_co_u32 v32, vcc_lo, v38, v6
	v_mul_f16_e32 v37, s30, v22
	v_mul_f16_e32 v40, s30, v11
	s_wait_alu 0xfffd
	v_add_co_ci_u32_e64 v33, null, v39, v7, vcc_lo
	v_mul_f16_e32 v41, s30, v21
	v_mul_f16_e32 v42, s30, v10
	;; [unrolled: 1-line block ×3, first 2 shown]
	s_clause 0x7
	global_store_b16 v[30:31], v34, off
	global_store_b16 v[30:31], v35, off offset:32
	global_store_b16 v[30:31], v36, off offset:64
	;; [unrolled: 1-line block ×3, first 2 shown]
	global_store_b16 v[32:33], v40, off
	global_store_b16 v[32:33], v41, off offset:32
	global_store_b16 v[32:33], v42, off offset:64
	;; [unrolled: 1-line block ×3, first 2 shown]
	v_add_co_u32 v30, vcc_lo, v38, s18
	s_wait_alu 0xfffd
	v_add_co_ci_u32_e64 v31, null, s19, v39, vcc_lo
	v_mul_f16_e32 v32, s30, v9
	s_delay_alu instid0(VALU_DEP_3) | instskip(SKIP_1) | instid1(VALU_DEP_3)
	v_add_co_u32 v30, vcc_lo, v30, v6
	s_wait_alu 0xfffd
	v_add_co_ci_u32_e64 v31, null, v31, v7, vcc_lo
	v_mul_f16_e32 v33, s30, v19
	v_mul_f16_e32 v34, s30, v8
	;; [unrolled: 1-line block ×3, first 2 shown]
	s_clause 0x3
	global_store_b16 v[30:31], v32, off
	global_store_b16 v[30:31], v33, off offset:32
	global_store_b16 v[30:31], v34, off offset:64
	;; [unrolled: 1-line block ×3, first 2 shown]
	s_cbranch_execnz .LBB9_2
	s_branch .LBB9_10
.LBB9_9:                                ;   in Loop: Header=BB9_3 Depth=1
.LBB9_10:                               ;   in Loop: Header=BB9_3 Depth=1
	s_mul_u64 s[24:25], s[8:9], s[2:3]
	s_wait_alu 0xfffe
	s_lshl_b64 s[24:25], s[24:25], 1
	s_wait_alu 0xfffe
	v_add_co_u32 v34, vcc_lo, v16, s24
	s_wait_alu 0xfffd
	v_add_co_ci_u32_e64 v35, null, s25, v17, vcc_lo
	s_delay_alu instid0(VALU_DEP_2) | instskip(SKIP_1) | instid1(VALU_DEP_2)
	v_add_co_u32 v30, vcc_lo, v34, v6
	s_wait_alu 0xfffd
	v_add_co_ci_u32_e64 v31, null, v35, v7, vcc_lo
	v_add_co_u32 v36, vcc_lo, s20, v4
	s_wait_alu 0xfffd
	v_add_co_ci_u32_e64 v37, null, s21, v5, vcc_lo
	global_load_u16 v32, v[30:31], off
	s_wait_loadcnt 0x0
	v_mul_f16_e32 v38, s1, v32
	v_add_co_u32 v32, vcc_lo, v36, v6
	s_wait_alu 0xfffd
	v_add_co_ci_u32_e64 v33, null, v37, v7, vcc_lo
	s_delay_alu instid0(VALU_DEP_3) | instskip(SKIP_4) | instid1(VALU_DEP_1)
	v_fmac_f16_e32 v38, s30, v29
	global_store_b16 v[32:33], v38, off
	global_load_u16 v29, v[30:31], off offset:32
	s_wait_loadcnt 0x0
	v_mul_f16_e32 v29, s1, v29
	v_fmac_f16_e32 v29, s30, v25
	global_store_b16 v[32:33], v29, off offset:32
	global_load_u16 v25, v[30:31], off offset:64
	s_wait_loadcnt 0x0
	v_mul_f16_e32 v25, s1, v25
	s_delay_alu instid0(VALU_DEP_1)
	v_fmac_f16_e32 v25, s30, v28
	global_store_b16 v[32:33], v25, off offset:64
	global_load_u16 v25, v[30:31], off offset:96
	v_add_co_u32 v30, vcc_lo, v34, s16
	s_wait_alu 0xfffd
	v_add_co_ci_u32_e64 v31, null, s17, v35, vcc_lo
	s_wait_loadcnt 0x0
	v_mul_f16_e32 v28, s1, v25
	s_delay_alu instid0(VALU_DEP_1)
	v_fmac_f16_e32 v28, s30, v24
	v_add_co_u32 v24, vcc_lo, v30, v6
	s_wait_alu 0xfffd
	v_add_co_ci_u32_e64 v25, null, v31, v7, vcc_lo
	global_store_b16 v[32:33], v28, off offset:96
	v_add_co_u32 v32, vcc_lo, v36, s18
	global_load_u16 v28, v[24:25], off
	s_wait_alu 0xfffd
	v_add_co_ci_u32_e64 v33, null, s19, v37, vcc_lo
	s_wait_loadcnt 0x0
	v_mul_f16_e32 v34, s1, v28
	v_add_co_u32 v28, vcc_lo, v32, v6
	s_wait_alu 0xfffd
	v_add_co_ci_u32_e64 v29, null, v33, v7, vcc_lo
	s_delay_alu instid0(VALU_DEP_3) | instskip(SKIP_4) | instid1(VALU_DEP_1)
	v_fmac_f16_e32 v34, s30, v27
	global_store_b16 v[28:29], v34, off
	global_load_u16 v27, v[24:25], off offset:32
	s_wait_loadcnt 0x0
	v_mul_f16_e32 v27, s1, v27
	v_fmac_f16_e32 v27, s30, v23
	global_store_b16 v[28:29], v27, off offset:32
	global_load_u16 v23, v[24:25], off offset:64
	s_wait_loadcnt 0x0
	v_mul_f16_e32 v23, s1, v23
	s_delay_alu instid0(VALU_DEP_1)
	v_fmac_f16_e32 v23, s30, v26
	v_add_co_u32 v26, vcc_lo, v30, s16
	s_wait_alu 0xfffd
	v_add_co_ci_u32_e64 v27, null, s17, v31, vcc_lo
	global_store_b16 v[28:29], v23, off offset:64
	global_load_u16 v23, v[24:25], off offset:96
	s_wait_loadcnt 0x0
	v_mul_f16_e32 v24, s1, v23
	s_delay_alu instid0(VALU_DEP_1)
	v_fmac_f16_e32 v24, s30, v22
	v_add_co_u32 v22, vcc_lo, v26, v6
	s_wait_alu 0xfffd
	v_add_co_ci_u32_e64 v23, null, v27, v7, vcc_lo
	global_store_b16 v[28:29], v24, off offset:96
	v_add_co_u32 v28, vcc_lo, v32, s18
	global_load_u16 v24, v[22:23], off
	s_wait_alu 0xfffd
	v_add_co_ci_u32_e64 v29, null, s19, v33, vcc_lo
	s_wait_loadcnt 0x0
	v_mul_f16_e32 v30, s1, v24
	v_add_co_u32 v24, vcc_lo, v28, v6
	s_wait_alu 0xfffd
	v_add_co_ci_u32_e64 v25, null, v29, v7, vcc_lo
	s_delay_alu instid0(VALU_DEP_3) | instskip(SKIP_4) | instid1(VALU_DEP_1)
	v_fmac_f16_e32 v30, s30, v11
	global_store_b16 v[24:25], v30, off
	global_load_u16 v11, v[22:23], off offset:32
	s_wait_loadcnt 0x0
	v_mul_f16_e32 v11, s1, v11
	v_fmac_f16_e32 v11, s30, v21
	global_store_b16 v[24:25], v11, off offset:32
	global_load_u16 v11, v[22:23], off offset:64
	s_wait_loadcnt 0x0
	v_mul_f16_e32 v11, s1, v11
	s_delay_alu instid0(VALU_DEP_1)
	v_fmac_f16_e32 v11, s30, v10
	global_store_b16 v[24:25], v11, off offset:64
	global_load_u16 v10, v[22:23], off offset:96
	s_wait_loadcnt 0x0
	v_mul_f16_e32 v21, s1, v10
	v_add_co_u32 v10, vcc_lo, v26, s16
	s_wait_alu 0xfffd
	v_add_co_ci_u32_e64 v11, null, s17, v27, vcc_lo
	s_delay_alu instid0(VALU_DEP_3) | instskip(NEXT) | instid1(VALU_DEP_3)
	v_fmac_f16_e32 v21, s30, v20
	v_add_co_u32 v10, vcc_lo, v10, v6
	s_wait_alu 0xfffd
	s_delay_alu instid0(VALU_DEP_3)
	v_add_co_ci_u32_e64 v11, null, v11, v7, vcc_lo
	global_store_b16 v[24:25], v21, off offset:96
	global_load_u16 v20, v[10:11], off
	s_wait_loadcnt 0x0
	v_mul_f16_e32 v22, s1, v20
	v_add_co_u32 v20, vcc_lo, v28, s18
	s_wait_alu 0xfffd
	v_add_co_ci_u32_e64 v21, null, s19, v29, vcc_lo
	s_delay_alu instid0(VALU_DEP_3) | instskip(NEXT) | instid1(VALU_DEP_3)
	v_fmac_f16_e32 v22, s30, v9
	v_add_co_u32 v20, vcc_lo, v20, v6
	s_wait_alu 0xfffd
	s_delay_alu instid0(VALU_DEP_3) | instskip(SKIP_4) | instid1(VALU_DEP_1)
	v_add_co_ci_u32_e64 v21, null, v21, v7, vcc_lo
	global_store_b16 v[20:21], v22, off
	global_load_u16 v9, v[10:11], off offset:32
	s_wait_loadcnt 0x0
	v_mul_f16_e32 v9, s1, v9
	v_fmac_f16_e32 v9, s30, v19
	global_store_b16 v[20:21], v9, off offset:32
	global_load_u16 v9, v[10:11], off offset:64
	s_wait_loadcnt 0x0
	v_mul_f16_e32 v9, s1, v9
	s_delay_alu instid0(VALU_DEP_1) | instskip(SKIP_4) | instid1(VALU_DEP_1)
	v_fmac_f16_e32 v9, s30, v8
	global_store_b16 v[20:21], v9, off offset:64
	global_load_u16 v8, v[10:11], off offset:96
	s_wait_loadcnt 0x0
	v_mul_f16_e32 v8, s1, v8
	v_fmac_f16_e32 v8, s30, v18
	global_store_b16 v[20:21], v8, off offset:96
	s_branch .LBB9_2
.LBB9_11:
	s_endpgm
	.section	.rodata,"a",@progbits
	.p2align	6, 0x0
	.amdhsa_kernel _ZN12_GLOBAL__N_127rocblas_gemm_batched_kernelIDF16_Li16ELi16ELi64ELi64ELi4ELi64ELi4ELi4ELi64ELc78ELc67EKDF16_S1_DF16_EEvlllT_PT11_llS4_llS2_PT12_llPT13_lli
		.amdhsa_group_segment_fixed_size 1024
		.amdhsa_private_segment_fixed_size 0
		.amdhsa_kernarg_size 140
		.amdhsa_user_sgpr_count 2
		.amdhsa_user_sgpr_dispatch_ptr 0
		.amdhsa_user_sgpr_queue_ptr 0
		.amdhsa_user_sgpr_kernarg_segment_ptr 1
		.amdhsa_user_sgpr_dispatch_id 0
		.amdhsa_user_sgpr_private_segment_size 0
		.amdhsa_wavefront_size32 1
		.amdhsa_uses_dynamic_stack 0
		.amdhsa_enable_private_segment 0
		.amdhsa_system_sgpr_workgroup_id_x 1
		.amdhsa_system_sgpr_workgroup_id_y 1
		.amdhsa_system_sgpr_workgroup_id_z 1
		.amdhsa_system_sgpr_workgroup_info 0
		.amdhsa_system_vgpr_workitem_id 1
		.amdhsa_next_free_vgpr 44
		.amdhsa_next_free_sgpr 37
		.amdhsa_reserve_vcc 1
		.amdhsa_float_round_mode_32 0
		.amdhsa_float_round_mode_16_64 0
		.amdhsa_float_denorm_mode_32 3
		.amdhsa_float_denorm_mode_16_64 3
		.amdhsa_fp16_overflow 0
		.amdhsa_workgroup_processor_mode 1
		.amdhsa_memory_ordered 1
		.amdhsa_forward_progress 1
		.amdhsa_inst_pref_size 22
		.amdhsa_round_robin_scheduling 0
		.amdhsa_exception_fp_ieee_invalid_op 0
		.amdhsa_exception_fp_denorm_src 0
		.amdhsa_exception_fp_ieee_div_zero 0
		.amdhsa_exception_fp_ieee_overflow 0
		.amdhsa_exception_fp_ieee_underflow 0
		.amdhsa_exception_fp_ieee_inexact 0
		.amdhsa_exception_int_div_zero 0
	.end_amdhsa_kernel
	.section	.text._ZN12_GLOBAL__N_127rocblas_gemm_batched_kernelIDF16_Li16ELi16ELi64ELi64ELi4ELi64ELi4ELi4ELi64ELc78ELc67EKDF16_S1_DF16_EEvlllT_PT11_llS4_llS2_PT12_llPT13_lli,"axG",@progbits,_ZN12_GLOBAL__N_127rocblas_gemm_batched_kernelIDF16_Li16ELi16ELi64ELi64ELi4ELi64ELi4ELi4ELi64ELc78ELc67EKDF16_S1_DF16_EEvlllT_PT11_llS4_llS2_PT12_llPT13_lli,comdat
.Lfunc_end9:
	.size	_ZN12_GLOBAL__N_127rocblas_gemm_batched_kernelIDF16_Li16ELi16ELi64ELi64ELi4ELi64ELi4ELi4ELi64ELc78ELc67EKDF16_S1_DF16_EEvlllT_PT11_llS4_llS2_PT12_llPT13_lli, .Lfunc_end9-_ZN12_GLOBAL__N_127rocblas_gemm_batched_kernelIDF16_Li16ELi16ELi64ELi64ELi4ELi64ELi4ELi4ELi64ELc78ELc67EKDF16_S1_DF16_EEvlllT_PT11_llS4_llS2_PT12_llPT13_lli
                                        ; -- End function
	.set _ZN12_GLOBAL__N_127rocblas_gemm_batched_kernelIDF16_Li16ELi16ELi64ELi64ELi4ELi64ELi4ELi4ELi64ELc78ELc67EKDF16_S1_DF16_EEvlllT_PT11_llS4_llS2_PT12_llPT13_lli.num_vgpr, 44
	.set _ZN12_GLOBAL__N_127rocblas_gemm_batched_kernelIDF16_Li16ELi16ELi64ELi64ELi4ELi64ELi4ELi4ELi64ELc78ELc67EKDF16_S1_DF16_EEvlllT_PT11_llS4_llS2_PT12_llPT13_lli.num_agpr, 0
	.set _ZN12_GLOBAL__N_127rocblas_gemm_batched_kernelIDF16_Li16ELi16ELi64ELi64ELi4ELi64ELi4ELi4ELi64ELc78ELc67EKDF16_S1_DF16_EEvlllT_PT11_llS4_llS2_PT12_llPT13_lli.numbered_sgpr, 37
	.set _ZN12_GLOBAL__N_127rocblas_gemm_batched_kernelIDF16_Li16ELi16ELi64ELi64ELi4ELi64ELi4ELi4ELi64ELc78ELc67EKDF16_S1_DF16_EEvlllT_PT11_llS4_llS2_PT12_llPT13_lli.num_named_barrier, 0
	.set _ZN12_GLOBAL__N_127rocblas_gemm_batched_kernelIDF16_Li16ELi16ELi64ELi64ELi4ELi64ELi4ELi4ELi64ELc78ELc67EKDF16_S1_DF16_EEvlllT_PT11_llS4_llS2_PT12_llPT13_lli.private_seg_size, 0
	.set _ZN12_GLOBAL__N_127rocblas_gemm_batched_kernelIDF16_Li16ELi16ELi64ELi64ELi4ELi64ELi4ELi4ELi64ELc78ELc67EKDF16_S1_DF16_EEvlllT_PT11_llS4_llS2_PT12_llPT13_lli.uses_vcc, 1
	.set _ZN12_GLOBAL__N_127rocblas_gemm_batched_kernelIDF16_Li16ELi16ELi64ELi64ELi4ELi64ELi4ELi4ELi64ELc78ELc67EKDF16_S1_DF16_EEvlllT_PT11_llS4_llS2_PT12_llPT13_lli.uses_flat_scratch, 0
	.set _ZN12_GLOBAL__N_127rocblas_gemm_batched_kernelIDF16_Li16ELi16ELi64ELi64ELi4ELi64ELi4ELi4ELi64ELc78ELc67EKDF16_S1_DF16_EEvlllT_PT11_llS4_llS2_PT12_llPT13_lli.has_dyn_sized_stack, 0
	.set _ZN12_GLOBAL__N_127rocblas_gemm_batched_kernelIDF16_Li16ELi16ELi64ELi64ELi4ELi64ELi4ELi4ELi64ELc78ELc67EKDF16_S1_DF16_EEvlllT_PT11_llS4_llS2_PT12_llPT13_lli.has_recursion, 0
	.set _ZN12_GLOBAL__N_127rocblas_gemm_batched_kernelIDF16_Li16ELi16ELi64ELi64ELi4ELi64ELi4ELi4ELi64ELc78ELc67EKDF16_S1_DF16_EEvlllT_PT11_llS4_llS2_PT12_llPT13_lli.has_indirect_call, 0
	.section	.AMDGPU.csdata,"",@progbits
; Kernel info:
; codeLenInByte = 2740
; TotalNumSgprs: 39
; NumVgprs: 44
; ScratchSize: 0
; MemoryBound: 0
; FloatMode: 240
; IeeeMode: 1
; LDSByteSize: 1024 bytes/workgroup (compile time only)
; SGPRBlocks: 0
; VGPRBlocks: 5
; NumSGPRsForWavesPerEU: 39
; NumVGPRsForWavesPerEU: 44
; Occupancy: 16
; WaveLimiterHint : 0
; COMPUTE_PGM_RSRC2:SCRATCH_EN: 0
; COMPUTE_PGM_RSRC2:USER_SGPR: 2
; COMPUTE_PGM_RSRC2:TRAP_HANDLER: 0
; COMPUTE_PGM_RSRC2:TGID_X_EN: 1
; COMPUTE_PGM_RSRC2:TGID_Y_EN: 1
; COMPUTE_PGM_RSRC2:TGID_Z_EN: 1
; COMPUTE_PGM_RSRC2:TIDIG_COMP_CNT: 1
	.section	.text._ZN12_GLOBAL__N_127rocblas_gemm_batched_kernelIDF16_Li16ELi16ELi64ELi64ELi4ELi64ELi4ELi4ELi64ELc84ELc67EKDF16_S1_DF16_EEvlllT_PT11_llS4_llS2_PT12_llPT13_lli,"axG",@progbits,_ZN12_GLOBAL__N_127rocblas_gemm_batched_kernelIDF16_Li16ELi16ELi64ELi64ELi4ELi64ELi4ELi4ELi64ELc84ELc67EKDF16_S1_DF16_EEvlllT_PT11_llS4_llS2_PT12_llPT13_lli,comdat
	.globl	_ZN12_GLOBAL__N_127rocblas_gemm_batched_kernelIDF16_Li16ELi16ELi64ELi64ELi4ELi64ELi4ELi4ELi64ELc84ELc67EKDF16_S1_DF16_EEvlllT_PT11_llS4_llS2_PT12_llPT13_lli ; -- Begin function _ZN12_GLOBAL__N_127rocblas_gemm_batched_kernelIDF16_Li16ELi16ELi64ELi64ELi4ELi64ELi4ELi4ELi64ELc84ELc67EKDF16_S1_DF16_EEvlllT_PT11_llS4_llS2_PT12_llPT13_lli
	.p2align	8
	.type	_ZN12_GLOBAL__N_127rocblas_gemm_batched_kernelIDF16_Li16ELi16ELi64ELi64ELi4ELi64ELi4ELi4ELi64ELc84ELc67EKDF16_S1_DF16_EEvlllT_PT11_llS4_llS2_PT12_llPT13_lli,@function
_ZN12_GLOBAL__N_127rocblas_gemm_batched_kernelIDF16_Li16ELi16ELi64ELi64ELi4ELi64ELi4ELi4ELi64ELc84ELc67EKDF16_S1_DF16_EEvlllT_PT11_llS4_llS2_PT12_llPT13_lli: ; @_ZN12_GLOBAL__N_127rocblas_gemm_batched_kernelIDF16_Li16ELi16ELi64ELi64ELi4ELi64ELi4ELi4ELi64ELc84ELc67EKDF16_S1_DF16_EEvlllT_PT11_llS4_llS2_PT12_llPT13_lli
; %bb.0:
	s_load_b32 s31, s[0:1], 0x88
	s_lshr_b32 s2, ttmp7, 16
	s_wait_kmcnt 0x0
	s_cmp_ge_i32 s2, s31
	s_cbranch_scc1 .LBB10_11
; %bb.1:
	v_dual_mov_b32 v1, 0 :: v_dual_and_b32 v8, 0x3ff, v0
	v_bfe_u32 v6, v0, 10, 10
	s_clause 0x5
	s_load_b96 s[28:30], s[0:1], 0x10
	s_load_b128 s[20:23], s[0:1], 0x78
	s_load_b256 s[12:19], s[0:1], 0x20
	s_load_b256 s[4:11], s[0:1], 0x58
	s_load_b128 s[24:27], s[0:1], 0x40
	s_load_b32 s1, s[0:1], 0x50
	v_and_b32_e32 v9, 3, v0
	s_lshl_b32 s0, ttmp7, 6
	v_lshl_add_u32 v2, v6, 4, v8
	s_and_b32 s0, s0, 0x3fffc0
	v_lshl_add_u32 v15, v6, 3, 0x200
	v_add_nc_u32_e32 v7, s0, v6
	v_lshlrev_b32_e32 v3, 1, v9
	v_and_b32_e32 v10, 63, v2
	v_lshrrev_b32_e32 v0, 2, v2
	v_lshrrev_b32_e32 v18, 6, v2
	s_mov_b32 s34, ttmp9
	s_ashr_i32 s35, ttmp9, 31
	v_lshlrev_b32_e32 v2, 1, v10
	v_lshl_or_b32 v11, v0, 3, v3
	s_lshl_b64 s[34:35], s[34:35], 6
	v_lshlrev_b32_e32 v14, 1, v8
	s_wait_kmcnt 0x0
	v_mad_co_u64_u32 v[4:5], null, v7, s20, 0
	v_lshl_or_b32 v12, v18, 7, v2
	v_mad_co_u64_u32 v[2:3], null, v7, s6, 0
	v_mad_co_u64_u32 v[0:1], null, s24, v9, v[0:1]
	v_add_nc_u32_e32 v13, 0x200, v11
	v_mad_co_u64_u32 v[5:6], null, v7, s21, v[5:6]
	s_cmp_eq_f16 s1, 0
	v_mad_co_u64_u32 v[6:7], null, v7, s7, v[3:4]
	v_add_co_u32 v0, vcc_lo, v0, s0
	s_mul_i32 s0, s14, s35
	v_add_co_u32 v7, s36, s34, v8
	s_delay_alu instid0(VALU_DEP_1) | instskip(SKIP_4) | instid1(VALU_DEP_4)
	v_add_co_ci_u32_e64 v8, null, s35, 0, s36
	v_mov_b32_e32 v3, v6
	v_or_b32_e32 v11, s34, v10
	v_mad_co_u64_u32 v[9:10], null, s25, v9, v[1:2]
	v_lshlrev_b64_e32 v[4:5], 1, v[4:5]
	v_lshlrev_b64_e32 v[2:3], 1, v[2:3]
	s_delay_alu instid0(VALU_DEP_4)
	v_mul_lo_u32 v6, s15, v11
	v_mad_co_u64_u32 v[10:11], null, s14, v11, 0
	s_cselect_b32 s33, -1, 0
	v_add_co_ci_u32_e64 v1, null, 0, v9, vcc_lo
	v_add_co_u32 v16, vcc_lo, s4, v2
	s_wait_alu 0xfffd
	v_add_co_ci_u32_e64 v17, null, s5, v3, vcc_lo
	s_wait_alu 0xfffe
	v_add3_u32 v11, v11, s0, v6
	v_lshlrev_b64_e32 v[0:1], 1, v[0:1]
	v_lshlrev_b32_e32 v6, 1, v18
	v_cmp_gt_i64_e64 s0, s[28:29], 0
	s_lshl_b64 s[20:21], s[20:21], 4
	v_lshlrev_b64_e32 v[2:3], 1, v[10:11]
	s_lshl_b64 s[36:37], s[6:7], 4
	v_add_co_u32 v0, vcc_lo, s18, v0
	s_wait_alu 0xfffd
	v_add_co_ci_u32_e64 v1, null, s19, v1, vcc_lo
	s_delay_alu instid0(VALU_DEP_3) | instskip(SKIP_3) | instid1(VALU_DEP_3)
	v_add_co_u32 v2, vcc_lo, v2, v6
	s_wait_alu 0xfffd
	v_add_co_ci_u32_e64 v3, null, 0, v3, vcc_lo
	v_cndmask_b32_e64 v9, 0, 1, s0
	v_add_co_u32 v2, vcc_lo, s12, v2
	v_lshlrev_b64_e32 v[6:7], 1, v[7:8]
	s_wait_alu 0xfffd
	v_add_co_ci_u32_e64 v3, null, s13, v3, vcc_lo
	v_cmp_ne_u32_e64 s0, 1, v9
	s_mov_b32 s3, 0
	s_lshl_b64 s[4:5], s[26:27], 1
	s_lshl_b64 s[6:7], s[24:25], 3
	s_lshl_b64 s[12:13], s[16:17], 1
	s_wait_alu 0xfffe
	s_lshl_b64 s[14:15], s[36:37], 1
	s_lshl_b64 s[16:17], s[20:21], 1
	s_branch .LBB10_3
.LBB10_2:                               ;   in Loop: Header=BB10_3 Depth=1
	s_add_co_i32 s2, s2, 0x10000
	s_wait_alu 0xfffe
	s_cmp_lt_i32 s2, s31
	s_cbranch_scc0 .LBB10_11
.LBB10_3:                               ; =>This Loop Header: Depth=1
                                        ;     Child Loop BB10_5 Depth 2
	s_and_b32 vcc_lo, exec_lo, s0
	s_wait_alu 0xfffe
	s_cbranch_vccnz .LBB10_6
; %bb.4:                                ;   in Loop: Header=BB10_3 Depth=1
	v_mad_co_u64_u32 v[8:9], null, s4, s2, v[0:1]
	v_mad_co_u64_u32 v[10:11], null, s12, s2, v[2:3]
	v_dual_mov_b32 v18, 0 :: v_dual_mov_b32 v19, 0
	v_dual_mov_b32 v20, 0 :: v_dual_mov_b32 v21, 0
	;; [unrolled: 1-line block ×3, first 2 shown]
	s_delay_alu instid0(VALU_DEP_4) | instskip(SKIP_3) | instid1(VALU_DEP_3)
	v_mad_co_u64_u32 v[25:26], null, s5, s2, v[9:10]
	v_mad_co_u64_u32 v[26:27], null, s13, s2, v[11:12]
	v_mov_b32_e32 v24, 0
	s_mov_b64 s[18:19], 0
	v_mov_b32_e32 v9, v25
	v_mov_b32_e32 v25, 0
	s_delay_alu instid0(VALU_DEP_4)
	v_mov_b32_e32 v11, v26
.LBB10_5:                               ;   Parent Loop BB10_3 Depth=1
                                        ; =>  This Inner Loop Header: Depth=2
	global_load_u16 v26, v[10:11], off
	global_load_u16 v27, v[8:9], off
	s_wait_alu 0xfffe
	s_add_nc_u64 s[18:19], s[18:19], 4
	v_add_co_u32 v8, vcc_lo, v8, s6
	s_wait_alu 0xfffe
	v_cmp_lt_i64_e64 s20, s[18:19], s[28:29]
	s_wait_alu 0xfffd
	v_add_co_ci_u32_e64 v9, null, s7, v9, vcc_lo
	v_add_co_u32 v10, vcc_lo, v10, 8
	s_wait_alu 0xfffd
	v_add_co_ci_u32_e64 v11, null, 0, v11, vcc_lo
	s_and_b32 vcc_lo, exec_lo, s20
	s_wait_loadcnt 0x1
	ds_store_b16 v12, v26
	s_wait_loadcnt 0x0
	ds_store_b16 v13, v27
	s_wait_dscnt 0x0
	s_barrier_signal -1
	s_barrier_wait -1
	global_inv scope:SCOPE_SE
	ds_load_u16 v34, v14 offset:32
	ds_load_u16 v35, v14 offset:96
	;; [unrolled: 1-line block ×8, first 2 shown]
	ds_load_2addr_b64 v[26:29], v15 offset1:16
	ds_load_2addr_b64 v[30:33], v15 offset0:32 offset1:48
	s_wait_dscnt 0x9
	ds_load_u16_d16_hi v34, v14
	s_wait_dscnt 0x9
	ds_load_u16_d16_hi v35, v14 offset:64
	s_wait_dscnt 0x9
	ds_load_u16_d16_hi v36, v14 offset:128
	;; [unrolled: 2-line block ×7, first 2 shown]
	s_wait_loadcnt_dscnt 0x0
	s_barrier_signal -1
	s_barrier_wait -1
	global_inv scope:SCOPE_SE
	v_pk_fma_f16 v25, v34, v26, v25 op_sel_hi:[1,0,1]
	v_pk_fma_f16 v24, v35, v26, v24 op_sel_hi:[1,0,1]
	;; [unrolled: 1-line block ×8, first 2 shown]
	v_pk_fma_f16 v25, v36, v26, v25 op_sel:[0,1,0]
	v_pk_fma_f16 v24, v37, v26, v24 op_sel:[0,1,0]
	;; [unrolled: 1-line block ×8, first 2 shown]
	v_pk_fma_f16 v25, v38, v27, v25 op_sel_hi:[1,0,1]
	v_pk_fma_f16 v24, v39, v27, v24 op_sel_hi:[1,0,1]
	;; [unrolled: 1-line block ×8, first 2 shown]
	v_pk_fma_f16 v25, v40, v27, v25 op_sel:[0,1,0]
	v_pk_fma_f16 v24, v41, v27, v24 op_sel:[0,1,0]
	;; [unrolled: 1-line block ×8, first 2 shown]
	s_wait_alu 0xfffe
	s_cbranch_vccnz .LBB10_5
	s_branch .LBB10_7
.LBB10_6:                               ;   in Loop: Header=BB10_3 Depth=1
	v_dual_mov_b32 v25, 0 :: v_dual_mov_b32 v24, 0
	v_dual_mov_b32 v23, 0 :: v_dual_mov_b32 v22, 0
	;; [unrolled: 1-line block ×4, first 2 shown]
.LBB10_7:                               ;   in Loop: Header=BB10_3 Depth=1
	s_mul_u64 s[18:19], s[22:23], s[2:3]
	v_lshrrev_b32_e32 v29, 16, v25
	v_lshrrev_b32_e32 v28, 16, v24
	;; [unrolled: 1-line block ×8, first 2 shown]
	s_wait_alu 0xfffe
	s_lshl_b64 s[18:19], s[18:19], 1
	s_and_not1_b32 vcc_lo, exec_lo, s33
	s_wait_alu 0xfffe
	s_add_nc_u64 s[18:19], s[10:11], s[18:19]
	s_cbranch_vccnz .LBB10_9
; %bb.8:                                ;   in Loop: Header=BB10_3 Depth=1
	s_wait_alu 0xfffe
	v_add_co_u32 v32, vcc_lo, s18, v4
	s_wait_alu 0xfffd
	v_add_co_ci_u32_e64 v33, null, s19, v5, vcc_lo
	v_mul_f16_e32 v34, s30, v29
	s_delay_alu instid0(VALU_DEP_3) | instskip(SKIP_1) | instid1(VALU_DEP_3)
	v_add_co_u32 v30, vcc_lo, v32, v6
	s_wait_alu 0xfffd
	v_add_co_ci_u32_e64 v31, null, v33, v7, vcc_lo
	v_add_co_u32 v32, vcc_lo, v32, s16
	v_mul_f16_e32 v35, s30, v25
	v_mul_f16_e32 v36, s30, v28
	s_wait_alu 0xfffd
	v_add_co_ci_u32_e64 v33, null, s17, v33, vcc_lo
	v_mul_f16_e32 v37, s30, v24
	s_clause 0x3
	global_store_b16 v[30:31], v34, off
	global_store_b16 v[30:31], v35, off offset:32
	global_store_b16 v[30:31], v36, off offset:64
	;; [unrolled: 1-line block ×3, first 2 shown]
	v_add_co_u32 v30, vcc_lo, v32, v6
	s_wait_alu 0xfffd
	v_add_co_ci_u32_e64 v31, null, v33, v7, vcc_lo
	v_add_co_u32 v38, vcc_lo, v32, s16
	s_wait_alu 0xfffd
	v_add_co_ci_u32_e64 v39, null, s17, v33, vcc_lo
	v_mul_f16_e32 v34, s30, v27
	v_mul_f16_e32 v35, s30, v23
	;; [unrolled: 1-line block ×3, first 2 shown]
	v_add_co_u32 v32, vcc_lo, v38, v6
	v_mul_f16_e32 v37, s30, v22
	v_mul_f16_e32 v40, s30, v11
	s_wait_alu 0xfffd
	v_add_co_ci_u32_e64 v33, null, v39, v7, vcc_lo
	v_mul_f16_e32 v41, s30, v21
	v_mul_f16_e32 v42, s30, v10
	;; [unrolled: 1-line block ×3, first 2 shown]
	s_clause 0x7
	global_store_b16 v[30:31], v34, off
	global_store_b16 v[30:31], v35, off offset:32
	global_store_b16 v[30:31], v36, off offset:64
	;; [unrolled: 1-line block ×3, first 2 shown]
	global_store_b16 v[32:33], v40, off
	global_store_b16 v[32:33], v41, off offset:32
	global_store_b16 v[32:33], v42, off offset:64
	global_store_b16 v[32:33], v43, off offset:96
	v_add_co_u32 v30, vcc_lo, v38, s16
	s_wait_alu 0xfffd
	v_add_co_ci_u32_e64 v31, null, s17, v39, vcc_lo
	v_mul_f16_e32 v32, s30, v9
	s_delay_alu instid0(VALU_DEP_3) | instskip(SKIP_1) | instid1(VALU_DEP_3)
	v_add_co_u32 v30, vcc_lo, v30, v6
	s_wait_alu 0xfffd
	v_add_co_ci_u32_e64 v31, null, v31, v7, vcc_lo
	v_mul_f16_e32 v33, s30, v19
	v_mul_f16_e32 v34, s30, v8
	;; [unrolled: 1-line block ×3, first 2 shown]
	s_clause 0x3
	global_store_b16 v[30:31], v32, off
	global_store_b16 v[30:31], v33, off offset:32
	global_store_b16 v[30:31], v34, off offset:64
	;; [unrolled: 1-line block ×3, first 2 shown]
	s_cbranch_execnz .LBB10_2
	s_branch .LBB10_10
.LBB10_9:                               ;   in Loop: Header=BB10_3 Depth=1
.LBB10_10:                              ;   in Loop: Header=BB10_3 Depth=1
	s_mul_u64 s[20:21], s[8:9], s[2:3]
	s_wait_alu 0xfffe
	s_lshl_b64 s[20:21], s[20:21], 1
	s_wait_alu 0xfffe
	v_add_co_u32 v34, vcc_lo, v16, s20
	s_wait_alu 0xfffd
	v_add_co_ci_u32_e64 v35, null, s21, v17, vcc_lo
	s_delay_alu instid0(VALU_DEP_2) | instskip(SKIP_1) | instid1(VALU_DEP_2)
	v_add_co_u32 v30, vcc_lo, v34, v6
	s_wait_alu 0xfffd
	v_add_co_ci_u32_e64 v31, null, v35, v7, vcc_lo
	v_add_co_u32 v36, vcc_lo, s18, v4
	s_wait_alu 0xfffd
	v_add_co_ci_u32_e64 v37, null, s19, v5, vcc_lo
	global_load_u16 v32, v[30:31], off
	s_wait_loadcnt 0x0
	v_mul_f16_e32 v38, s1, v32
	v_add_co_u32 v32, vcc_lo, v36, v6
	s_wait_alu 0xfffd
	v_add_co_ci_u32_e64 v33, null, v37, v7, vcc_lo
	s_delay_alu instid0(VALU_DEP_3) | instskip(SKIP_4) | instid1(VALU_DEP_1)
	v_fmac_f16_e32 v38, s30, v29
	global_store_b16 v[32:33], v38, off
	global_load_u16 v29, v[30:31], off offset:32
	s_wait_loadcnt 0x0
	v_mul_f16_e32 v29, s1, v29
	v_fmac_f16_e32 v29, s30, v25
	global_store_b16 v[32:33], v29, off offset:32
	global_load_u16 v25, v[30:31], off offset:64
	s_wait_loadcnt 0x0
	v_mul_f16_e32 v25, s1, v25
	s_delay_alu instid0(VALU_DEP_1)
	v_fmac_f16_e32 v25, s30, v28
	global_store_b16 v[32:33], v25, off offset:64
	global_load_u16 v25, v[30:31], off offset:96
	v_add_co_u32 v30, vcc_lo, v34, s14
	s_wait_alu 0xfffd
	v_add_co_ci_u32_e64 v31, null, s15, v35, vcc_lo
	s_wait_loadcnt 0x0
	v_mul_f16_e32 v28, s1, v25
	s_delay_alu instid0(VALU_DEP_1)
	v_fmac_f16_e32 v28, s30, v24
	v_add_co_u32 v24, vcc_lo, v30, v6
	s_wait_alu 0xfffd
	v_add_co_ci_u32_e64 v25, null, v31, v7, vcc_lo
	global_store_b16 v[32:33], v28, off offset:96
	v_add_co_u32 v32, vcc_lo, v36, s16
	global_load_u16 v28, v[24:25], off
	s_wait_alu 0xfffd
	v_add_co_ci_u32_e64 v33, null, s17, v37, vcc_lo
	s_wait_loadcnt 0x0
	v_mul_f16_e32 v34, s1, v28
	v_add_co_u32 v28, vcc_lo, v32, v6
	s_wait_alu 0xfffd
	v_add_co_ci_u32_e64 v29, null, v33, v7, vcc_lo
	s_delay_alu instid0(VALU_DEP_3) | instskip(SKIP_4) | instid1(VALU_DEP_1)
	v_fmac_f16_e32 v34, s30, v27
	global_store_b16 v[28:29], v34, off
	global_load_u16 v27, v[24:25], off offset:32
	s_wait_loadcnt 0x0
	v_mul_f16_e32 v27, s1, v27
	v_fmac_f16_e32 v27, s30, v23
	global_store_b16 v[28:29], v27, off offset:32
	global_load_u16 v23, v[24:25], off offset:64
	s_wait_loadcnt 0x0
	v_mul_f16_e32 v23, s1, v23
	s_delay_alu instid0(VALU_DEP_1)
	v_fmac_f16_e32 v23, s30, v26
	v_add_co_u32 v26, vcc_lo, v30, s14
	s_wait_alu 0xfffd
	v_add_co_ci_u32_e64 v27, null, s15, v31, vcc_lo
	global_store_b16 v[28:29], v23, off offset:64
	global_load_u16 v23, v[24:25], off offset:96
	s_wait_loadcnt 0x0
	v_mul_f16_e32 v24, s1, v23
	s_delay_alu instid0(VALU_DEP_1)
	v_fmac_f16_e32 v24, s30, v22
	v_add_co_u32 v22, vcc_lo, v26, v6
	s_wait_alu 0xfffd
	v_add_co_ci_u32_e64 v23, null, v27, v7, vcc_lo
	global_store_b16 v[28:29], v24, off offset:96
	v_add_co_u32 v28, vcc_lo, v32, s16
	global_load_u16 v24, v[22:23], off
	s_wait_alu 0xfffd
	v_add_co_ci_u32_e64 v29, null, s17, v33, vcc_lo
	s_wait_loadcnt 0x0
	v_mul_f16_e32 v30, s1, v24
	v_add_co_u32 v24, vcc_lo, v28, v6
	s_wait_alu 0xfffd
	v_add_co_ci_u32_e64 v25, null, v29, v7, vcc_lo
	s_delay_alu instid0(VALU_DEP_3) | instskip(SKIP_4) | instid1(VALU_DEP_1)
	v_fmac_f16_e32 v30, s30, v11
	global_store_b16 v[24:25], v30, off
	global_load_u16 v11, v[22:23], off offset:32
	s_wait_loadcnt 0x0
	v_mul_f16_e32 v11, s1, v11
	v_fmac_f16_e32 v11, s30, v21
	global_store_b16 v[24:25], v11, off offset:32
	global_load_u16 v11, v[22:23], off offset:64
	s_wait_loadcnt 0x0
	v_mul_f16_e32 v11, s1, v11
	s_delay_alu instid0(VALU_DEP_1)
	v_fmac_f16_e32 v11, s30, v10
	global_store_b16 v[24:25], v11, off offset:64
	global_load_u16 v10, v[22:23], off offset:96
	s_wait_loadcnt 0x0
	v_mul_f16_e32 v21, s1, v10
	v_add_co_u32 v10, vcc_lo, v26, s14
	s_wait_alu 0xfffd
	v_add_co_ci_u32_e64 v11, null, s15, v27, vcc_lo
	s_delay_alu instid0(VALU_DEP_3) | instskip(NEXT) | instid1(VALU_DEP_3)
	v_fmac_f16_e32 v21, s30, v20
	v_add_co_u32 v10, vcc_lo, v10, v6
	s_wait_alu 0xfffd
	s_delay_alu instid0(VALU_DEP_3)
	v_add_co_ci_u32_e64 v11, null, v11, v7, vcc_lo
	global_store_b16 v[24:25], v21, off offset:96
	global_load_u16 v20, v[10:11], off
	s_wait_loadcnt 0x0
	v_mul_f16_e32 v22, s1, v20
	v_add_co_u32 v20, vcc_lo, v28, s16
	s_wait_alu 0xfffd
	v_add_co_ci_u32_e64 v21, null, s17, v29, vcc_lo
	s_delay_alu instid0(VALU_DEP_3) | instskip(NEXT) | instid1(VALU_DEP_3)
	v_fmac_f16_e32 v22, s30, v9
	v_add_co_u32 v20, vcc_lo, v20, v6
	s_wait_alu 0xfffd
	s_delay_alu instid0(VALU_DEP_3) | instskip(SKIP_4) | instid1(VALU_DEP_1)
	v_add_co_ci_u32_e64 v21, null, v21, v7, vcc_lo
	global_store_b16 v[20:21], v22, off
	global_load_u16 v9, v[10:11], off offset:32
	s_wait_loadcnt 0x0
	v_mul_f16_e32 v9, s1, v9
	v_fmac_f16_e32 v9, s30, v19
	global_store_b16 v[20:21], v9, off offset:32
	global_load_u16 v9, v[10:11], off offset:64
	s_wait_loadcnt 0x0
	v_mul_f16_e32 v9, s1, v9
	s_delay_alu instid0(VALU_DEP_1) | instskip(SKIP_4) | instid1(VALU_DEP_1)
	v_fmac_f16_e32 v9, s30, v8
	global_store_b16 v[20:21], v9, off offset:64
	global_load_u16 v8, v[10:11], off offset:96
	s_wait_loadcnt 0x0
	v_mul_f16_e32 v8, s1, v8
	v_fmac_f16_e32 v8, s30, v18
	global_store_b16 v[20:21], v8, off offset:96
	s_branch .LBB10_2
.LBB10_11:
	s_endpgm
	.section	.rodata,"a",@progbits
	.p2align	6, 0x0
	.amdhsa_kernel _ZN12_GLOBAL__N_127rocblas_gemm_batched_kernelIDF16_Li16ELi16ELi64ELi64ELi4ELi64ELi4ELi4ELi64ELc84ELc67EKDF16_S1_DF16_EEvlllT_PT11_llS4_llS2_PT12_llPT13_lli
		.amdhsa_group_segment_fixed_size 1024
		.amdhsa_private_segment_fixed_size 0
		.amdhsa_kernarg_size 140
		.amdhsa_user_sgpr_count 2
		.amdhsa_user_sgpr_dispatch_ptr 0
		.amdhsa_user_sgpr_queue_ptr 0
		.amdhsa_user_sgpr_kernarg_segment_ptr 1
		.amdhsa_user_sgpr_dispatch_id 0
		.amdhsa_user_sgpr_private_segment_size 0
		.amdhsa_wavefront_size32 1
		.amdhsa_uses_dynamic_stack 0
		.amdhsa_enable_private_segment 0
		.amdhsa_system_sgpr_workgroup_id_x 1
		.amdhsa_system_sgpr_workgroup_id_y 1
		.amdhsa_system_sgpr_workgroup_id_z 1
		.amdhsa_system_sgpr_workgroup_info 0
		.amdhsa_system_vgpr_workitem_id 1
		.amdhsa_next_free_vgpr 44
		.amdhsa_next_free_sgpr 38
		.amdhsa_reserve_vcc 1
		.amdhsa_float_round_mode_32 0
		.amdhsa_float_round_mode_16_64 0
		.amdhsa_float_denorm_mode_32 3
		.amdhsa_float_denorm_mode_16_64 3
		.amdhsa_fp16_overflow 0
		.amdhsa_workgroup_processor_mode 1
		.amdhsa_memory_ordered 1
		.amdhsa_forward_progress 1
		.amdhsa_inst_pref_size 22
		.amdhsa_round_robin_scheduling 0
		.amdhsa_exception_fp_ieee_invalid_op 0
		.amdhsa_exception_fp_denorm_src 0
		.amdhsa_exception_fp_ieee_div_zero 0
		.amdhsa_exception_fp_ieee_overflow 0
		.amdhsa_exception_fp_ieee_underflow 0
		.amdhsa_exception_fp_ieee_inexact 0
		.amdhsa_exception_int_div_zero 0
	.end_amdhsa_kernel
	.section	.text._ZN12_GLOBAL__N_127rocblas_gemm_batched_kernelIDF16_Li16ELi16ELi64ELi64ELi4ELi64ELi4ELi4ELi64ELc84ELc67EKDF16_S1_DF16_EEvlllT_PT11_llS4_llS2_PT12_llPT13_lli,"axG",@progbits,_ZN12_GLOBAL__N_127rocblas_gemm_batched_kernelIDF16_Li16ELi16ELi64ELi64ELi4ELi64ELi4ELi4ELi64ELc84ELc67EKDF16_S1_DF16_EEvlllT_PT11_llS4_llS2_PT12_llPT13_lli,comdat
.Lfunc_end10:
	.size	_ZN12_GLOBAL__N_127rocblas_gemm_batched_kernelIDF16_Li16ELi16ELi64ELi64ELi4ELi64ELi4ELi4ELi64ELc84ELc67EKDF16_S1_DF16_EEvlllT_PT11_llS4_llS2_PT12_llPT13_lli, .Lfunc_end10-_ZN12_GLOBAL__N_127rocblas_gemm_batched_kernelIDF16_Li16ELi16ELi64ELi64ELi4ELi64ELi4ELi4ELi64ELc84ELc67EKDF16_S1_DF16_EEvlllT_PT11_llS4_llS2_PT12_llPT13_lli
                                        ; -- End function
	.set _ZN12_GLOBAL__N_127rocblas_gemm_batched_kernelIDF16_Li16ELi16ELi64ELi64ELi4ELi64ELi4ELi4ELi64ELc84ELc67EKDF16_S1_DF16_EEvlllT_PT11_llS4_llS2_PT12_llPT13_lli.num_vgpr, 44
	.set _ZN12_GLOBAL__N_127rocblas_gemm_batched_kernelIDF16_Li16ELi16ELi64ELi64ELi4ELi64ELi4ELi4ELi64ELc84ELc67EKDF16_S1_DF16_EEvlllT_PT11_llS4_llS2_PT12_llPT13_lli.num_agpr, 0
	.set _ZN12_GLOBAL__N_127rocblas_gemm_batched_kernelIDF16_Li16ELi16ELi64ELi64ELi4ELi64ELi4ELi4ELi64ELc84ELc67EKDF16_S1_DF16_EEvlllT_PT11_llS4_llS2_PT12_llPT13_lli.numbered_sgpr, 38
	.set _ZN12_GLOBAL__N_127rocblas_gemm_batched_kernelIDF16_Li16ELi16ELi64ELi64ELi4ELi64ELi4ELi4ELi64ELc84ELc67EKDF16_S1_DF16_EEvlllT_PT11_llS4_llS2_PT12_llPT13_lli.num_named_barrier, 0
	.set _ZN12_GLOBAL__N_127rocblas_gemm_batched_kernelIDF16_Li16ELi16ELi64ELi64ELi4ELi64ELi4ELi4ELi64ELc84ELc67EKDF16_S1_DF16_EEvlllT_PT11_llS4_llS2_PT12_llPT13_lli.private_seg_size, 0
	.set _ZN12_GLOBAL__N_127rocblas_gemm_batched_kernelIDF16_Li16ELi16ELi64ELi64ELi4ELi64ELi4ELi4ELi64ELc84ELc67EKDF16_S1_DF16_EEvlllT_PT11_llS4_llS2_PT12_llPT13_lli.uses_vcc, 1
	.set _ZN12_GLOBAL__N_127rocblas_gemm_batched_kernelIDF16_Li16ELi16ELi64ELi64ELi4ELi64ELi4ELi4ELi64ELc84ELc67EKDF16_S1_DF16_EEvlllT_PT11_llS4_llS2_PT12_llPT13_lli.uses_flat_scratch, 0
	.set _ZN12_GLOBAL__N_127rocblas_gemm_batched_kernelIDF16_Li16ELi16ELi64ELi64ELi4ELi64ELi4ELi4ELi64ELc84ELc67EKDF16_S1_DF16_EEvlllT_PT11_llS4_llS2_PT12_llPT13_lli.has_dyn_sized_stack, 0
	.set _ZN12_GLOBAL__N_127rocblas_gemm_batched_kernelIDF16_Li16ELi16ELi64ELi64ELi4ELi64ELi4ELi4ELi64ELc84ELc67EKDF16_S1_DF16_EEvlllT_PT11_llS4_llS2_PT12_llPT13_lli.has_recursion, 0
	.set _ZN12_GLOBAL__N_127rocblas_gemm_batched_kernelIDF16_Li16ELi16ELi64ELi64ELi4ELi64ELi4ELi4ELi64ELc84ELc67EKDF16_S1_DF16_EEvlllT_PT11_llS4_llS2_PT12_llPT13_lli.has_indirect_call, 0
	.section	.AMDGPU.csdata,"",@progbits
; Kernel info:
; codeLenInByte = 2744
; TotalNumSgprs: 40
; NumVgprs: 44
; ScratchSize: 0
; MemoryBound: 0
; FloatMode: 240
; IeeeMode: 1
; LDSByteSize: 1024 bytes/workgroup (compile time only)
; SGPRBlocks: 0
; VGPRBlocks: 5
; NumSGPRsForWavesPerEU: 40
; NumVGPRsForWavesPerEU: 44
; Occupancy: 16
; WaveLimiterHint : 0
; COMPUTE_PGM_RSRC2:SCRATCH_EN: 0
; COMPUTE_PGM_RSRC2:USER_SGPR: 2
; COMPUTE_PGM_RSRC2:TRAP_HANDLER: 0
; COMPUTE_PGM_RSRC2:TGID_X_EN: 1
; COMPUTE_PGM_RSRC2:TGID_Y_EN: 1
; COMPUTE_PGM_RSRC2:TGID_Z_EN: 1
; COMPUTE_PGM_RSRC2:TIDIG_COMP_CNT: 1
	.section	.text._ZN12_GLOBAL__N_127rocblas_gemm_batched_kernelIDF16_Li16ELi16ELi32ELi32ELi8ELi32ELi8ELi8ELi32ELc78ELc78EKDF16_S1_DF16_EEvlllT_PT11_llS4_llS2_PT12_llPT13_lli,"axG",@progbits,_ZN12_GLOBAL__N_127rocblas_gemm_batched_kernelIDF16_Li16ELi16ELi32ELi32ELi8ELi32ELi8ELi8ELi32ELc78ELc78EKDF16_S1_DF16_EEvlllT_PT11_llS4_llS2_PT12_llPT13_lli,comdat
	.globl	_ZN12_GLOBAL__N_127rocblas_gemm_batched_kernelIDF16_Li16ELi16ELi32ELi32ELi8ELi32ELi8ELi8ELi32ELc78ELc78EKDF16_S1_DF16_EEvlllT_PT11_llS4_llS2_PT12_llPT13_lli ; -- Begin function _ZN12_GLOBAL__N_127rocblas_gemm_batched_kernelIDF16_Li16ELi16ELi32ELi32ELi8ELi32ELi8ELi8ELi32ELc78ELc78EKDF16_S1_DF16_EEvlllT_PT11_llS4_llS2_PT12_llPT13_lli
	.p2align	8
	.type	_ZN12_GLOBAL__N_127rocblas_gemm_batched_kernelIDF16_Li16ELi16ELi32ELi32ELi8ELi32ELi8ELi8ELi32ELc78ELc78EKDF16_S1_DF16_EEvlllT_PT11_llS4_llS2_PT12_llPT13_lli,@function
_ZN12_GLOBAL__N_127rocblas_gemm_batched_kernelIDF16_Li16ELi16ELi32ELi32ELi8ELi32ELi8ELi8ELi32ELc78ELc78EKDF16_S1_DF16_EEvlllT_PT11_llS4_llS2_PT12_llPT13_lli: ; @_ZN12_GLOBAL__N_127rocblas_gemm_batched_kernelIDF16_Li16ELi16ELi32ELi32ELi8ELi32ELi8ELi8ELi32ELc78ELc78EKDF16_S1_DF16_EEvlllT_PT11_llS4_llS2_PT12_llPT13_lli
; %bb.0:
	s_load_b32 s31, s[0:1], 0x88
	s_lshr_b32 s2, ttmp7, 16
	s_wait_kmcnt 0x0
	s_cmp_ge_i32 s2, s31
	s_cbranch_scc1 .LBB11_11
; %bb.1:
	v_bfe_u32 v1, v0, 10, 10
	s_clause 0x1
	s_load_b96 s[28:30], s[0:1], 0x10
	s_load_b256 s[4:11], s[0:1], 0x58
	v_and_b32_e32 v16, 0x3ff, v0
	s_clause 0x3
	s_load_b256 s[12:19], s[0:1], 0x20
	s_load_b128 s[20:23], s[0:1], 0x78
	s_load_b128 s[24:27], s[0:1], 0x40
	s_load_b32 s33, s[0:1], 0x50
	v_lshlrev_b32_e32 v8, 4, v1
	v_lshlrev_b32_e32 v0, 1, v0
	s_lshl_b32 s3, ttmp7, 5
	s_mov_b32 s34, ttmp9
	s_and_b32 s3, s3, 0x1fffe0
	v_add_nc_u32_e32 v2, v8, v16
	v_and_b32_e32 v20, 14, v0
	v_add_nc_u32_e32 v9, s3, v1
	s_ashr_i32 s35, ttmp9, 31
	v_add_nc_u32_e32 v15, 0x200, v8
	v_and_b32_e32 v21, 31, v2
	v_lshrrev_b32_e32 v3, 3, v2
	v_lshrrev_b32_e32 v17, 5, v2
	s_lshl_b64 s[0:1], s[34:35], 5
	s_delay_alu instid0(VALU_DEP_3) | instskip(NEXT) | instid1(VALU_DEP_3)
	v_lshlrev_b32_e32 v2, 1, v21
	v_lshl_or_b32 v4, v3, 4, v20
	v_add_nc_u32_e32 v10, s3, v3
	s_wait_kmcnt 0x0
	v_mad_co_u64_u32 v[0:1], null, v9, s6, 0
	v_lshl_or_b32 v12, v17, 6, v2
	v_add_nc_u32_e32 v13, 0x200, v4
	v_mad_co_u64_u32 v[4:5], null, v9, s20, 0
	v_mad_co_u64_u32 v[2:3], null, s24, v10, 0
	s_cmp_eq_f16 s33, 0
	s_mov_b32 s3, 0
	s_cselect_b32 s34, -1, 0
	v_mad_co_u64_u32 v[6:7], null, v9, s7, v[1:2]
	v_mov_b32_e32 v1, v5
	v_mad_co_u64_u32 v[10:11], null, s25, v10, v[3:4]
	v_lshlrev_b32_e32 v14, 1, v16
	s_lshl_b64 s[24:25], s[6:7], 4
	s_delay_alu instid0(VALU_DEP_3)
	v_mad_co_u64_u32 v[7:8], null, v9, s21, v[1:2]
	v_mad_co_u64_u32 v[8:9], null, s14, v17, s[0:1]
	v_mov_b32_e32 v1, v6
	v_mov_b32_e32 v3, v10
	v_add_co_u32 v18, s0, s0, v16
	v_mov_b32_e32 v5, v7
	s_delay_alu instid0(VALU_DEP_4)
	v_lshlrev_b64_e32 v[0:1], 1, v[0:1]
	v_mov_b32_e32 v6, v9
	s_wait_alu 0xf1ff
	v_add_co_ci_u32_e64 v19, null, s1, 0, s0
	v_cmp_gt_i64_e64 s0, s[28:29], 0
	v_lshlrev_b64_e32 v[4:5], 1, v[4:5]
	v_mad_co_u64_u32 v[6:7], null, s15, v17, v[6:7]
	v_add_co_u32 v16, vcc_lo, s4, v0
	s_delay_alu instid0(VALU_DEP_1)
	v_add_co_ci_u32_e64 v17, null, s5, v1, vcc_lo
	v_lshlrev_b64_e32 v[0:1], 1, v[2:3]
	v_add_co_u32 v2, vcc_lo, v8, v21
	s_wait_alu 0xfffd
	v_add_co_ci_u32_e64 v3, null, 0, v6, vcc_lo
	s_wait_alu 0xf1ff
	v_cndmask_b32_e64 v6, 0, 1, s0
	v_add_co_u32 v0, vcc_lo, v0, v20
	s_delay_alu instid0(VALU_DEP_3)
	v_lshlrev_b64_e32 v[2:3], 1, v[2:3]
	s_wait_alu 0xfffd
	v_add_co_ci_u32_e64 v1, null, 0, v1, vcc_lo
	v_cndmask_b32_e64 v8, 0, 1, s34
	v_add_co_u32 v0, vcc_lo, s18, v0
	s_wait_alu 0xfffd
	s_delay_alu instid0(VALU_DEP_3)
	v_add_co_ci_u32_e64 v1, null, s19, v1, vcc_lo
	v_add_co_u32 v2, vcc_lo, s12, v2
	v_cmp_ne_u32_e64 s0, 1, v6
	v_lshlrev_b64_e32 v[6:7], 1, v[18:19]
	s_wait_alu 0xfffd
	v_add_co_ci_u32_e64 v3, null, s13, v3, vcc_lo
	v_cmp_ne_u32_e64 s1, 1, v8
	s_lshl_b64 s[20:21], s[20:21], 4
	s_lshl_b64 s[4:5], s[26:27], 1
	;; [unrolled: 1-line block ×4, first 2 shown]
	s_wait_alu 0xfffe
	s_lshl_b64 s[14:15], s[24:25], 1
	s_lshl_b64 s[16:17], s[20:21], 1
	s_branch .LBB11_3
.LBB11_2:                               ;   in Loop: Header=BB11_3 Depth=1
	s_add_co_i32 s2, s2, 0x10000
	s_wait_alu 0xfffe
	s_cmp_lt_i32 s2, s31
	s_cbranch_scc0 .LBB11_11
.LBB11_3:                               ; =>This Loop Header: Depth=1
                                        ;     Child Loop BB11_5 Depth 2
	s_and_b32 vcc_lo, exec_lo, s0
	s_wait_alu 0xfffe
	s_cbranch_vccnz .LBB11_6
; %bb.4:                                ;   in Loop: Header=BB11_3 Depth=1
	v_mad_co_u64_u32 v[8:9], null, s4, s2, v[0:1]
	v_mad_co_u64_u32 v[10:11], null, s6, s2, v[2:3]
	s_mov_b64 s[18:19], 0
	v_mad_co_u64_u32 v[19:20], null, s5, s2, v[9:10]
	v_mad_co_u64_u32 v[20:21], null, s7, s2, v[11:12]
	s_delay_alu instid0(VALU_DEP_2) | instskip(SKIP_1) | instid1(VALU_DEP_3)
	v_dual_mov_b32 v18, 0 :: v_dual_mov_b32 v9, v19
	v_mov_b32_e32 v19, 0
	v_mov_b32_e32 v11, v20
.LBB11_5:                               ;   Parent Loop BB11_3 Depth=1
                                        ; =>  This Inner Loop Header: Depth=2
	global_load_u16 v20, v[10:11], off
	global_load_u16 v21, v[8:9], off
	s_wait_alu 0xfffe
	s_add_nc_u64 s[18:19], s[18:19], 8
	v_add_co_u32 v8, vcc_lo, v8, 16
	s_wait_alu 0xfffe
	v_cmp_lt_i64_e64 s20, s[18:19], s[28:29]
	s_wait_alu 0xfffd
	v_add_co_ci_u32_e64 v9, null, 0, v9, vcc_lo
	v_add_co_u32 v10, vcc_lo, v10, s12
	s_wait_alu 0xfffd
	v_add_co_ci_u32_e64 v11, null, s13, v11, vcc_lo
	s_and_b32 vcc_lo, exec_lo, s20
	s_wait_loadcnt 0x1
	ds_store_b16 v12, v20
	s_wait_loadcnt 0x0
	ds_store_b16 v13, v21
	s_wait_dscnt 0x0
	s_barrier_signal -1
	s_barrier_wait -1
	global_inv scope:SCOPE_SE
	ds_load_u16 v28, v14 offset:32
	ds_load_u16 v29, v14 offset:96
	;; [unrolled: 1-line block ×3, first 2 shown]
	ds_load_b128 v[20:23], v15
	ds_load_b128 v[24:27], v15 offset:256
	ds_load_u16 v31, v14 offset:224
	ds_load_u16 v32, v14 offset:288
	;; [unrolled: 1-line block ×5, first 2 shown]
	s_wait_dscnt 0x9
	ds_load_u16_d16_hi v28, v14
	s_wait_dscnt 0x9
	ds_load_u16_d16_hi v29, v14 offset:64
	s_wait_dscnt 0x9
	ds_load_u16_d16_hi v30, v14 offset:128
	;; [unrolled: 2-line block ×7, first 2 shown]
	s_wait_loadcnt_dscnt 0x0
	s_barrier_signal -1
	s_barrier_wait -1
	global_inv scope:SCOPE_SE
	v_pk_fma_f16 v19, v28, v20, v19 op_sel_hi:[1,0,1]
	v_pk_fma_f16 v18, v28, v24, v18 op_sel_hi:[1,0,1]
	s_delay_alu instid0(VALU_DEP_2) | instskip(NEXT) | instid1(VALU_DEP_2)
	v_pk_fma_f16 v19, v29, v20, v19 op_sel:[0,1,0]
	v_pk_fma_f16 v18, v29, v24, v18 op_sel:[0,1,0]
	s_delay_alu instid0(VALU_DEP_2) | instskip(NEXT) | instid1(VALU_DEP_2)
	v_pk_fma_f16 v19, v30, v21, v19 op_sel_hi:[1,0,1]
	v_pk_fma_f16 v18, v30, v25, v18 op_sel_hi:[1,0,1]
	s_delay_alu instid0(VALU_DEP_2) | instskip(NEXT) | instid1(VALU_DEP_2)
	v_pk_fma_f16 v19, v31, v21, v19 op_sel:[0,1,0]
	v_pk_fma_f16 v18, v31, v25, v18 op_sel:[0,1,0]
	s_delay_alu instid0(VALU_DEP_2) | instskip(NEXT) | instid1(VALU_DEP_2)
	;; [unrolled: 6-line block ×3, first 2 shown]
	v_pk_fma_f16 v19, v34, v23, v19 op_sel_hi:[1,0,1]
	v_pk_fma_f16 v18, v34, v27, v18 op_sel_hi:[1,0,1]
	s_delay_alu instid0(VALU_DEP_2) | instskip(NEXT) | instid1(VALU_DEP_2)
	v_pk_fma_f16 v19, v35, v23, v19 op_sel:[0,1,0]
	v_pk_fma_f16 v18, v35, v27, v18 op_sel:[0,1,0]
	s_wait_alu 0xfffe
	s_cbranch_vccnz .LBB11_5
	s_branch .LBB11_7
.LBB11_6:                               ;   in Loop: Header=BB11_3 Depth=1
	v_dual_mov_b32 v19, 0 :: v_dual_mov_b32 v18, 0
.LBB11_7:                               ;   in Loop: Header=BB11_3 Depth=1
	s_mul_u64 s[18:19], s[22:23], s[2:3]
	s_delay_alu instid0(VALU_DEP_1) | instskip(NEXT) | instid1(VALU_DEP_2)
	v_lshrrev_b32_e32 v9, 16, v19
	v_lshrrev_b32_e32 v8, 16, v18
	s_wait_alu 0xfffe
	s_lshl_b64 s[18:19], s[18:19], 1
	s_and_b32 vcc_lo, exec_lo, s1
	s_wait_alu 0xfffe
	s_add_nc_u64 s[18:19], s[10:11], s[18:19]
	s_cbranch_vccnz .LBB11_9
; %bb.8:                                ;   in Loop: Header=BB11_3 Depth=1
	s_wait_alu 0xfffe
	v_add_co_u32 v20, vcc_lo, s18, v4
	s_wait_alu 0xfffd
	v_add_co_ci_u32_e64 v21, null, s19, v5, vcc_lo
	v_mul_f16_e32 v22, s30, v9
	s_delay_alu instid0(VALU_DEP_3) | instskip(SKIP_1) | instid1(VALU_DEP_3)
	v_add_co_u32 v10, vcc_lo, v20, v6
	s_wait_alu 0xfffd
	v_add_co_ci_u32_e64 v11, null, v21, v7, vcc_lo
	v_add_co_u32 v20, vcc_lo, v20, s16
	s_wait_alu 0xfffd
	v_add_co_ci_u32_e64 v21, null, s17, v21, vcc_lo
	v_mul_f16_e32 v24, s30, v8
	s_delay_alu instid0(VALU_DEP_3) | instskip(SKIP_1) | instid1(VALU_DEP_3)
	v_add_co_u32 v20, vcc_lo, v20, v6
	s_wait_alu 0xfffd
	v_add_co_ci_u32_e64 v21, null, v21, v7, vcc_lo
	v_mul_f16_e32 v23, s30, v19
	v_mul_f16_e32 v25, s30, v18
	s_clause 0x3
	global_store_b16 v[10:11], v22, off
	global_store_b16 v[10:11], v23, off offset:32
	global_store_b16 v[20:21], v24, off
	global_store_b16 v[20:21], v25, off offset:32
	s_cbranch_execnz .LBB11_2
	s_branch .LBB11_10
.LBB11_9:                               ;   in Loop: Header=BB11_3 Depth=1
.LBB11_10:                              ;   in Loop: Header=BB11_3 Depth=1
	s_mul_u64 s[20:21], s[8:9], s[2:3]
	s_wait_alu 0xfffe
	s_lshl_b64 s[20:21], s[20:21], 1
	s_wait_alu 0xfffe
	v_add_co_u32 v22, vcc_lo, v16, s20
	s_wait_alu 0xfffd
	v_add_co_ci_u32_e64 v23, null, s21, v17, vcc_lo
	s_delay_alu instid0(VALU_DEP_2) | instskip(SKIP_1) | instid1(VALU_DEP_2)
	v_add_co_u32 v10, vcc_lo, v22, v6
	s_wait_alu 0xfffd
	v_add_co_ci_u32_e64 v11, null, v23, v7, vcc_lo
	v_add_co_u32 v24, vcc_lo, s18, v4
	s_wait_alu 0xfffd
	v_add_co_ci_u32_e64 v25, null, s19, v5, vcc_lo
	global_load_u16 v20, v[10:11], off
	s_wait_loadcnt 0x0
	v_mul_f16_e32 v26, s33, v20
	v_add_co_u32 v20, vcc_lo, v24, v6
	s_wait_alu 0xfffd
	v_add_co_ci_u32_e64 v21, null, v25, v7, vcc_lo
	s_delay_alu instid0(VALU_DEP_3)
	v_fmac_f16_e32 v26, s30, v9
	global_store_b16 v[20:21], v26, off
	global_load_u16 v9, v[10:11], off offset:32
	s_wait_loadcnt 0x0
	v_mul_f16_e32 v11, s33, v9
	v_add_co_u32 v9, vcc_lo, v22, s14
	s_wait_alu 0xfffd
	v_add_co_ci_u32_e64 v10, null, s15, v23, vcc_lo
	s_delay_alu instid0(VALU_DEP_3) | instskip(NEXT) | instid1(VALU_DEP_3)
	v_fmac_f16_e32 v11, s30, v19
	v_add_co_u32 v9, vcc_lo, v9, v6
	s_wait_alu 0xfffd
	s_delay_alu instid0(VALU_DEP_3)
	v_add_co_ci_u32_e64 v10, null, v10, v7, vcc_lo
	global_store_b16 v[20:21], v11, off offset:32
	v_add_co_u32 v19, vcc_lo, v24, s16
	global_load_u16 v11, v[9:10], off
	s_wait_alu 0xfffd
	v_add_co_ci_u32_e64 v20, null, s17, v25, vcc_lo
	v_add_co_u32 v19, vcc_lo, v19, v6
	s_wait_alu 0xfffd
	s_delay_alu instid0(VALU_DEP_2) | instskip(SKIP_2) | instid1(VALU_DEP_1)
	v_add_co_ci_u32_e64 v20, null, v20, v7, vcc_lo
	s_wait_loadcnt 0x0
	v_mul_f16_e32 v11, s33, v11
	v_fmac_f16_e32 v11, s30, v8
	global_store_b16 v[19:20], v11, off
	global_load_u16 v8, v[9:10], off offset:32
	s_wait_loadcnt 0x0
	v_mul_f16_e32 v8, s33, v8
	s_delay_alu instid0(VALU_DEP_1)
	v_fmac_f16_e32 v8, s30, v18
	global_store_b16 v[19:20], v8, off offset:32
	s_branch .LBB11_2
.LBB11_11:
	s_endpgm
	.section	.rodata,"a",@progbits
	.p2align	6, 0x0
	.amdhsa_kernel _ZN12_GLOBAL__N_127rocblas_gemm_batched_kernelIDF16_Li16ELi16ELi32ELi32ELi8ELi32ELi8ELi8ELi32ELc78ELc78EKDF16_S1_DF16_EEvlllT_PT11_llS4_llS2_PT12_llPT13_lli
		.amdhsa_group_segment_fixed_size 1024
		.amdhsa_private_segment_fixed_size 0
		.amdhsa_kernarg_size 140
		.amdhsa_user_sgpr_count 2
		.amdhsa_user_sgpr_dispatch_ptr 0
		.amdhsa_user_sgpr_queue_ptr 0
		.amdhsa_user_sgpr_kernarg_segment_ptr 1
		.amdhsa_user_sgpr_dispatch_id 0
		.amdhsa_user_sgpr_private_segment_size 0
		.amdhsa_wavefront_size32 1
		.amdhsa_uses_dynamic_stack 0
		.amdhsa_enable_private_segment 0
		.amdhsa_system_sgpr_workgroup_id_x 1
		.amdhsa_system_sgpr_workgroup_id_y 1
		.amdhsa_system_sgpr_workgroup_id_z 1
		.amdhsa_system_sgpr_workgroup_info 0
		.amdhsa_system_vgpr_workitem_id 1
		.amdhsa_next_free_vgpr 36
		.amdhsa_next_free_sgpr 36
		.amdhsa_reserve_vcc 1
		.amdhsa_float_round_mode_32 0
		.amdhsa_float_round_mode_16_64 0
		.amdhsa_float_denorm_mode_32 3
		.amdhsa_float_denorm_mode_16_64 3
		.amdhsa_fp16_overflow 0
		.amdhsa_workgroup_processor_mode 1
		.amdhsa_memory_ordered 1
		.amdhsa_forward_progress 1
		.amdhsa_inst_pref_size 14
		.amdhsa_round_robin_scheduling 0
		.amdhsa_exception_fp_ieee_invalid_op 0
		.amdhsa_exception_fp_denorm_src 0
		.amdhsa_exception_fp_ieee_div_zero 0
		.amdhsa_exception_fp_ieee_overflow 0
		.amdhsa_exception_fp_ieee_underflow 0
		.amdhsa_exception_fp_ieee_inexact 0
		.amdhsa_exception_int_div_zero 0
	.end_amdhsa_kernel
	.section	.text._ZN12_GLOBAL__N_127rocblas_gemm_batched_kernelIDF16_Li16ELi16ELi32ELi32ELi8ELi32ELi8ELi8ELi32ELc78ELc78EKDF16_S1_DF16_EEvlllT_PT11_llS4_llS2_PT12_llPT13_lli,"axG",@progbits,_ZN12_GLOBAL__N_127rocblas_gemm_batched_kernelIDF16_Li16ELi16ELi32ELi32ELi8ELi32ELi8ELi8ELi32ELc78ELc78EKDF16_S1_DF16_EEvlllT_PT11_llS4_llS2_PT12_llPT13_lli,comdat
.Lfunc_end11:
	.size	_ZN12_GLOBAL__N_127rocblas_gemm_batched_kernelIDF16_Li16ELi16ELi32ELi32ELi8ELi32ELi8ELi8ELi32ELc78ELc78EKDF16_S1_DF16_EEvlllT_PT11_llS4_llS2_PT12_llPT13_lli, .Lfunc_end11-_ZN12_GLOBAL__N_127rocblas_gemm_batched_kernelIDF16_Li16ELi16ELi32ELi32ELi8ELi32ELi8ELi8ELi32ELc78ELc78EKDF16_S1_DF16_EEvlllT_PT11_llS4_llS2_PT12_llPT13_lli
                                        ; -- End function
	.set _ZN12_GLOBAL__N_127rocblas_gemm_batched_kernelIDF16_Li16ELi16ELi32ELi32ELi8ELi32ELi8ELi8ELi32ELc78ELc78EKDF16_S1_DF16_EEvlllT_PT11_llS4_llS2_PT12_llPT13_lli.num_vgpr, 36
	.set _ZN12_GLOBAL__N_127rocblas_gemm_batched_kernelIDF16_Li16ELi16ELi32ELi32ELi8ELi32ELi8ELi8ELi32ELc78ELc78EKDF16_S1_DF16_EEvlllT_PT11_llS4_llS2_PT12_llPT13_lli.num_agpr, 0
	.set _ZN12_GLOBAL__N_127rocblas_gemm_batched_kernelIDF16_Li16ELi16ELi32ELi32ELi8ELi32ELi8ELi8ELi32ELc78ELc78EKDF16_S1_DF16_EEvlllT_PT11_llS4_llS2_PT12_llPT13_lli.numbered_sgpr, 36
	.set _ZN12_GLOBAL__N_127rocblas_gemm_batched_kernelIDF16_Li16ELi16ELi32ELi32ELi8ELi32ELi8ELi8ELi32ELc78ELc78EKDF16_S1_DF16_EEvlllT_PT11_llS4_llS2_PT12_llPT13_lli.num_named_barrier, 0
	.set _ZN12_GLOBAL__N_127rocblas_gemm_batched_kernelIDF16_Li16ELi16ELi32ELi32ELi8ELi32ELi8ELi8ELi32ELc78ELc78EKDF16_S1_DF16_EEvlllT_PT11_llS4_llS2_PT12_llPT13_lli.private_seg_size, 0
	.set _ZN12_GLOBAL__N_127rocblas_gemm_batched_kernelIDF16_Li16ELi16ELi32ELi32ELi8ELi32ELi8ELi8ELi32ELc78ELc78EKDF16_S1_DF16_EEvlllT_PT11_llS4_llS2_PT12_llPT13_lli.uses_vcc, 1
	.set _ZN12_GLOBAL__N_127rocblas_gemm_batched_kernelIDF16_Li16ELi16ELi32ELi32ELi8ELi32ELi8ELi8ELi32ELc78ELc78EKDF16_S1_DF16_EEvlllT_PT11_llS4_llS2_PT12_llPT13_lli.uses_flat_scratch, 0
	.set _ZN12_GLOBAL__N_127rocblas_gemm_batched_kernelIDF16_Li16ELi16ELi32ELi32ELi8ELi32ELi8ELi8ELi32ELc78ELc78EKDF16_S1_DF16_EEvlllT_PT11_llS4_llS2_PT12_llPT13_lli.has_dyn_sized_stack, 0
	.set _ZN12_GLOBAL__N_127rocblas_gemm_batched_kernelIDF16_Li16ELi16ELi32ELi32ELi8ELi32ELi8ELi8ELi32ELc78ELc78EKDF16_S1_DF16_EEvlllT_PT11_llS4_llS2_PT12_llPT13_lli.has_recursion, 0
	.set _ZN12_GLOBAL__N_127rocblas_gemm_batched_kernelIDF16_Li16ELi16ELi32ELi32ELi8ELi32ELi8ELi8ELi32ELc78ELc78EKDF16_S1_DF16_EEvlllT_PT11_llS4_llS2_PT12_llPT13_lli.has_indirect_call, 0
	.section	.AMDGPU.csdata,"",@progbits
; Kernel info:
; codeLenInByte = 1696
; TotalNumSgprs: 38
; NumVgprs: 36
; ScratchSize: 0
; MemoryBound: 0
; FloatMode: 240
; IeeeMode: 1
; LDSByteSize: 1024 bytes/workgroup (compile time only)
; SGPRBlocks: 0
; VGPRBlocks: 4
; NumSGPRsForWavesPerEU: 38
; NumVGPRsForWavesPerEU: 36
; Occupancy: 16
; WaveLimiterHint : 0
; COMPUTE_PGM_RSRC2:SCRATCH_EN: 0
; COMPUTE_PGM_RSRC2:USER_SGPR: 2
; COMPUTE_PGM_RSRC2:TRAP_HANDLER: 0
; COMPUTE_PGM_RSRC2:TGID_X_EN: 1
; COMPUTE_PGM_RSRC2:TGID_Y_EN: 1
; COMPUTE_PGM_RSRC2:TGID_Z_EN: 1
; COMPUTE_PGM_RSRC2:TIDIG_COMP_CNT: 1
	.section	.text._ZN12_GLOBAL__N_127rocblas_gemm_batched_kernelIDF16_Li16ELi16ELi32ELi32ELi8ELi32ELi8ELi8ELi32ELc84ELc78EKDF16_S1_DF16_EEvlllT_PT11_llS4_llS2_PT12_llPT13_lli,"axG",@progbits,_ZN12_GLOBAL__N_127rocblas_gemm_batched_kernelIDF16_Li16ELi16ELi32ELi32ELi8ELi32ELi8ELi8ELi32ELc84ELc78EKDF16_S1_DF16_EEvlllT_PT11_llS4_llS2_PT12_llPT13_lli,comdat
	.globl	_ZN12_GLOBAL__N_127rocblas_gemm_batched_kernelIDF16_Li16ELi16ELi32ELi32ELi8ELi32ELi8ELi8ELi32ELc84ELc78EKDF16_S1_DF16_EEvlllT_PT11_llS4_llS2_PT12_llPT13_lli ; -- Begin function _ZN12_GLOBAL__N_127rocblas_gemm_batched_kernelIDF16_Li16ELi16ELi32ELi32ELi8ELi32ELi8ELi8ELi32ELc84ELc78EKDF16_S1_DF16_EEvlllT_PT11_llS4_llS2_PT12_llPT13_lli
	.p2align	8
	.type	_ZN12_GLOBAL__N_127rocblas_gemm_batched_kernelIDF16_Li16ELi16ELi32ELi32ELi8ELi32ELi8ELi8ELi32ELc84ELc78EKDF16_S1_DF16_EEvlllT_PT11_llS4_llS2_PT12_llPT13_lli,@function
_ZN12_GLOBAL__N_127rocblas_gemm_batched_kernelIDF16_Li16ELi16ELi32ELi32ELi8ELi32ELi8ELi8ELi32ELc84ELc78EKDF16_S1_DF16_EEvlllT_PT11_llS4_llS2_PT12_llPT13_lli: ; @_ZN12_GLOBAL__N_127rocblas_gemm_batched_kernelIDF16_Li16ELi16ELi32ELi32ELi8ELi32ELi8ELi8ELi32ELc84ELc78EKDF16_S1_DF16_EEvlllT_PT11_llS4_llS2_PT12_llPT13_lli
; %bb.0:
	s_load_b32 s31, s[0:1], 0x88
	s_lshr_b32 s2, ttmp7, 16
	s_wait_kmcnt 0x0
	s_cmp_ge_i32 s2, s31
	s_cbranch_scc1 .LBB12_11
; %bb.1:
	v_bfe_u32 v1, v0, 10, 10
	s_clause 0x1
	s_load_b96 s[28:30], s[0:1], 0x10
	s_load_b256 s[4:11], s[0:1], 0x58
	v_and_b32_e32 v10, 0x3ff, v0
	s_clause 0x3
	s_load_b256 s[12:19], s[0:1], 0x20
	s_load_b128 s[20:23], s[0:1], 0x78
	s_load_b128 s[24:27], s[0:1], 0x40
	s_load_b32 s33, s[0:1], 0x50
	v_lshlrev_b32_e32 v8, 4, v1
	v_lshlrev_b32_e32 v0, 1, v0
	s_lshl_b32 s3, ttmp7, 5
	s_mov_b32 s34, ttmp9
	s_and_b32 s3, s3, 0x1fffe0
	v_add_nc_u32_e32 v2, v8, v10
	v_and_b32_e32 v11, 14, v0
	v_add_nc_u32_e32 v9, s3, v1
	v_add_nc_u32_e32 v15, 0x200, v8
	s_ashr_i32 s35, ttmp9, 31
	v_and_b32_e32 v16, 31, v2
	v_lshrrev_b32_e32 v3, 3, v2
	v_lshrrev_b32_e32 v18, 5, v2
	s_lshl_b64 s[0:1], s[34:35], 5
	s_delay_alu instid0(VALU_DEP_3) | instskip(NEXT) | instid1(VALU_DEP_3)
	v_lshlrev_b32_e32 v2, 1, v16
	v_lshl_or_b32 v4, v3, 4, v11
	v_add_nc_u32_e32 v17, s3, v3
	s_wait_kmcnt 0x0
	v_mad_co_u64_u32 v[0:1], null, v9, s6, 0
	v_lshl_or_b32 v12, v18, 6, v2
	v_add_nc_u32_e32 v13, 0x200, v4
	v_mad_co_u64_u32 v[4:5], null, v9, s20, 0
	v_mad_co_u64_u32 v[2:3], null, s24, v17, 0
	s_cmp_eq_f16 s33, 0
	s_mov_b32 s3, 0
	s_cselect_b32 s34, -1, 0
	v_mad_co_u64_u32 v[6:7], null, v9, s7, v[1:2]
	v_dual_mov_b32 v1, v5 :: v_dual_lshlrev_b32 v14, 1, v10
	s_delay_alu instid0(VALU_DEP_1) | instskip(SKIP_1) | instid1(VALU_DEP_4)
	v_mad_co_u64_u32 v[7:8], null, v9, s21, v[1:2]
	v_mad_co_u64_u32 v[8:9], null, s25, v17, v[3:4]
	v_mov_b32_e32 v1, v6
	v_add_co_u32 v9, s24, s0, v10
	s_wait_alu 0xf1ff
	v_add_co_ci_u32_e64 v10, null, s1, 0, s24
	v_mov_b32_e32 v5, v7
	v_mov_b32_e32 v3, v8
	v_or_b32_e32 v6, s0, v16
	v_lshlrev_b64_e32 v[0:1], 1, v[0:1]
	s_mul_i32 s0, s14, s1
	v_lshlrev_b64_e32 v[4:5], 1, v[4:5]
	v_lshlrev_b64_e32 v[2:3], 1, v[2:3]
	v_mul_lo_u32 v8, s15, v6
	v_mad_co_u64_u32 v[6:7], null, s14, v6, 0
	v_add_co_u32 v16, vcc_lo, s4, v0
	s_delay_alu instid0(VALU_DEP_1) | instskip(SKIP_2) | instid1(VALU_DEP_4)
	v_add_co_ci_u32_e64 v17, null, s5, v1, vcc_lo
	v_add_co_u32 v0, vcc_lo, v2, v11
	s_wait_alu 0xfffe
	v_add3_u32 v7, v7, s0, v8
	s_wait_alu 0xfffd
	v_add_co_ci_u32_e64 v1, null, 0, v3, vcc_lo
	v_cmp_gt_i64_e64 s0, s[28:29], 0
	v_add_co_u32 v0, vcc_lo, s18, v0
	v_lshlrev_b64_e32 v[2:3], 1, v[6:7]
	v_lshlrev_b32_e32 v6, 1, v18
	s_wait_alu 0xfffd
	v_add_co_ci_u32_e64 v1, null, s19, v1, vcc_lo
	v_cndmask_b32_e64 v8, 0, 1, s34
	s_lshl_b64 s[20:21], s[20:21], 4
	v_add_co_u32 v2, vcc_lo, v2, v6
	v_cndmask_b32_e64 v6, 0, 1, s0
	s_wait_alu 0xfffd
	v_add_co_ci_u32_e64 v3, null, 0, v3, vcc_lo
	s_delay_alu instid0(VALU_DEP_3) | instskip(NEXT) | instid1(VALU_DEP_3)
	v_add_co_u32 v2, vcc_lo, s12, v2
	v_cmp_ne_u32_e64 s0, 1, v6
	v_lshlrev_b64_e32 v[6:7], 1, v[9:10]
	s_wait_alu 0xfffd
	v_add_co_ci_u32_e64 v3, null, s13, v3, vcc_lo
	v_cmp_ne_u32_e64 s1, 1, v8
	s_lshl_b64 s[24:25], s[6:7], 4
	s_lshl_b64 s[4:5], s[26:27], 1
	;; [unrolled: 1-line block ×3, first 2 shown]
	s_wait_alu 0xfffe
	s_lshl_b64 s[12:13], s[24:25], 1
	s_lshl_b64 s[14:15], s[20:21], 1
	s_branch .LBB12_3
.LBB12_2:                               ;   in Loop: Header=BB12_3 Depth=1
	s_add_co_i32 s2, s2, 0x10000
	s_wait_alu 0xfffe
	s_cmp_lt_i32 s2, s31
	s_cbranch_scc0 .LBB12_11
.LBB12_3:                               ; =>This Loop Header: Depth=1
                                        ;     Child Loop BB12_5 Depth 2
	s_and_b32 vcc_lo, exec_lo, s0
	s_wait_alu 0xfffe
	s_cbranch_vccnz .LBB12_6
; %bb.4:                                ;   in Loop: Header=BB12_3 Depth=1
	v_mad_co_u64_u32 v[8:9], null, s4, s2, v[0:1]
	v_mad_co_u64_u32 v[10:11], null, s6, s2, v[2:3]
	s_mov_b64 s[16:17], 0
	v_mad_co_u64_u32 v[19:20], null, s5, s2, v[9:10]
	v_mad_co_u64_u32 v[20:21], null, s7, s2, v[11:12]
	s_delay_alu instid0(VALU_DEP_2) | instskip(SKIP_1) | instid1(VALU_DEP_3)
	v_dual_mov_b32 v18, 0 :: v_dual_mov_b32 v9, v19
	v_mov_b32_e32 v19, 0
	v_mov_b32_e32 v11, v20
.LBB12_5:                               ;   Parent Loop BB12_3 Depth=1
                                        ; =>  This Inner Loop Header: Depth=2
	global_load_u16 v20, v[10:11], off
	global_load_u16 v21, v[8:9], off
	s_wait_alu 0xfffe
	s_add_nc_u64 s[16:17], s[16:17], 8
	v_add_co_u32 v8, vcc_lo, v8, 16
	s_wait_alu 0xfffe
	v_cmp_lt_i64_e64 s18, s[16:17], s[28:29]
	s_wait_alu 0xfffd
	v_add_co_ci_u32_e64 v9, null, 0, v9, vcc_lo
	v_add_co_u32 v10, vcc_lo, v10, 16
	s_wait_alu 0xfffd
	v_add_co_ci_u32_e64 v11, null, 0, v11, vcc_lo
	s_and_b32 vcc_lo, exec_lo, s18
	s_wait_loadcnt 0x1
	ds_store_b16 v12, v20
	s_wait_loadcnt 0x0
	ds_store_b16 v13, v21
	s_wait_dscnt 0x0
	s_barrier_signal -1
	s_barrier_wait -1
	global_inv scope:SCOPE_SE
	ds_load_u16 v28, v14 offset:32
	ds_load_u16 v29, v14 offset:96
	;; [unrolled: 1-line block ×3, first 2 shown]
	ds_load_b128 v[20:23], v15
	ds_load_b128 v[24:27], v15 offset:256
	ds_load_u16 v31, v14 offset:224
	ds_load_u16 v32, v14 offset:288
	;; [unrolled: 1-line block ×5, first 2 shown]
	s_wait_dscnt 0x9
	ds_load_u16_d16_hi v28, v14
	s_wait_dscnt 0x9
	ds_load_u16_d16_hi v29, v14 offset:64
	s_wait_dscnt 0x9
	ds_load_u16_d16_hi v30, v14 offset:128
	;; [unrolled: 2-line block ×7, first 2 shown]
	s_wait_loadcnt_dscnt 0x0
	s_barrier_signal -1
	s_barrier_wait -1
	global_inv scope:SCOPE_SE
	v_pk_fma_f16 v19, v28, v20, v19 op_sel_hi:[1,0,1]
	v_pk_fma_f16 v18, v28, v24, v18 op_sel_hi:[1,0,1]
	s_delay_alu instid0(VALU_DEP_2) | instskip(NEXT) | instid1(VALU_DEP_2)
	v_pk_fma_f16 v19, v29, v20, v19 op_sel:[0,1,0]
	v_pk_fma_f16 v18, v29, v24, v18 op_sel:[0,1,0]
	s_delay_alu instid0(VALU_DEP_2) | instskip(NEXT) | instid1(VALU_DEP_2)
	v_pk_fma_f16 v19, v30, v21, v19 op_sel_hi:[1,0,1]
	v_pk_fma_f16 v18, v30, v25, v18 op_sel_hi:[1,0,1]
	s_delay_alu instid0(VALU_DEP_2) | instskip(NEXT) | instid1(VALU_DEP_2)
	v_pk_fma_f16 v19, v31, v21, v19 op_sel:[0,1,0]
	v_pk_fma_f16 v18, v31, v25, v18 op_sel:[0,1,0]
	s_delay_alu instid0(VALU_DEP_2) | instskip(NEXT) | instid1(VALU_DEP_2)
	;; [unrolled: 6-line block ×3, first 2 shown]
	v_pk_fma_f16 v19, v34, v23, v19 op_sel_hi:[1,0,1]
	v_pk_fma_f16 v18, v34, v27, v18 op_sel_hi:[1,0,1]
	s_delay_alu instid0(VALU_DEP_2) | instskip(NEXT) | instid1(VALU_DEP_2)
	v_pk_fma_f16 v19, v35, v23, v19 op_sel:[0,1,0]
	v_pk_fma_f16 v18, v35, v27, v18 op_sel:[0,1,0]
	s_wait_alu 0xfffe
	s_cbranch_vccnz .LBB12_5
	s_branch .LBB12_7
.LBB12_6:                               ;   in Loop: Header=BB12_3 Depth=1
	v_dual_mov_b32 v19, 0 :: v_dual_mov_b32 v18, 0
.LBB12_7:                               ;   in Loop: Header=BB12_3 Depth=1
	s_mul_u64 s[16:17], s[22:23], s[2:3]
	s_delay_alu instid0(VALU_DEP_1) | instskip(NEXT) | instid1(VALU_DEP_2)
	v_lshrrev_b32_e32 v9, 16, v19
	v_lshrrev_b32_e32 v8, 16, v18
	s_wait_alu 0xfffe
	s_lshl_b64 s[16:17], s[16:17], 1
	s_and_b32 vcc_lo, exec_lo, s1
	s_wait_alu 0xfffe
	s_add_nc_u64 s[16:17], s[10:11], s[16:17]
	s_cbranch_vccnz .LBB12_9
; %bb.8:                                ;   in Loop: Header=BB12_3 Depth=1
	s_wait_alu 0xfffe
	v_add_co_u32 v20, vcc_lo, s16, v4
	s_wait_alu 0xfffd
	v_add_co_ci_u32_e64 v21, null, s17, v5, vcc_lo
	v_mul_f16_e32 v22, s30, v9
	s_delay_alu instid0(VALU_DEP_3) | instskip(SKIP_1) | instid1(VALU_DEP_3)
	v_add_co_u32 v10, vcc_lo, v20, v6
	s_wait_alu 0xfffd
	v_add_co_ci_u32_e64 v11, null, v21, v7, vcc_lo
	v_add_co_u32 v20, vcc_lo, v20, s14
	s_wait_alu 0xfffd
	v_add_co_ci_u32_e64 v21, null, s15, v21, vcc_lo
	v_mul_f16_e32 v24, s30, v8
	s_delay_alu instid0(VALU_DEP_3) | instskip(SKIP_1) | instid1(VALU_DEP_3)
	v_add_co_u32 v20, vcc_lo, v20, v6
	s_wait_alu 0xfffd
	v_add_co_ci_u32_e64 v21, null, v21, v7, vcc_lo
	v_mul_f16_e32 v23, s30, v19
	v_mul_f16_e32 v25, s30, v18
	s_clause 0x3
	global_store_b16 v[10:11], v22, off
	global_store_b16 v[10:11], v23, off offset:32
	global_store_b16 v[20:21], v24, off
	global_store_b16 v[20:21], v25, off offset:32
	s_cbranch_execnz .LBB12_2
	s_branch .LBB12_10
.LBB12_9:                               ;   in Loop: Header=BB12_3 Depth=1
.LBB12_10:                              ;   in Loop: Header=BB12_3 Depth=1
	s_mul_u64 s[18:19], s[8:9], s[2:3]
	s_wait_alu 0xfffe
	s_lshl_b64 s[18:19], s[18:19], 1
	s_wait_alu 0xfffe
	v_add_co_u32 v22, vcc_lo, v16, s18
	s_wait_alu 0xfffd
	v_add_co_ci_u32_e64 v23, null, s19, v17, vcc_lo
	s_delay_alu instid0(VALU_DEP_2) | instskip(SKIP_1) | instid1(VALU_DEP_2)
	v_add_co_u32 v10, vcc_lo, v22, v6
	s_wait_alu 0xfffd
	v_add_co_ci_u32_e64 v11, null, v23, v7, vcc_lo
	v_add_co_u32 v24, vcc_lo, s16, v4
	s_wait_alu 0xfffd
	v_add_co_ci_u32_e64 v25, null, s17, v5, vcc_lo
	global_load_u16 v20, v[10:11], off
	s_wait_loadcnt 0x0
	v_mul_f16_e32 v26, s33, v20
	v_add_co_u32 v20, vcc_lo, v24, v6
	s_wait_alu 0xfffd
	v_add_co_ci_u32_e64 v21, null, v25, v7, vcc_lo
	s_delay_alu instid0(VALU_DEP_3)
	v_fmac_f16_e32 v26, s30, v9
	global_store_b16 v[20:21], v26, off
	global_load_u16 v9, v[10:11], off offset:32
	s_wait_loadcnt 0x0
	v_mul_f16_e32 v11, s33, v9
	v_add_co_u32 v9, vcc_lo, v22, s12
	s_wait_alu 0xfffd
	v_add_co_ci_u32_e64 v10, null, s13, v23, vcc_lo
	s_delay_alu instid0(VALU_DEP_3) | instskip(NEXT) | instid1(VALU_DEP_3)
	v_fmac_f16_e32 v11, s30, v19
	v_add_co_u32 v9, vcc_lo, v9, v6
	s_wait_alu 0xfffd
	s_delay_alu instid0(VALU_DEP_3)
	v_add_co_ci_u32_e64 v10, null, v10, v7, vcc_lo
	global_store_b16 v[20:21], v11, off offset:32
	v_add_co_u32 v19, vcc_lo, v24, s14
	global_load_u16 v11, v[9:10], off
	s_wait_alu 0xfffd
	v_add_co_ci_u32_e64 v20, null, s15, v25, vcc_lo
	v_add_co_u32 v19, vcc_lo, v19, v6
	s_wait_alu 0xfffd
	s_delay_alu instid0(VALU_DEP_2) | instskip(SKIP_2) | instid1(VALU_DEP_1)
	v_add_co_ci_u32_e64 v20, null, v20, v7, vcc_lo
	s_wait_loadcnt 0x0
	v_mul_f16_e32 v11, s33, v11
	v_fmac_f16_e32 v11, s30, v8
	global_store_b16 v[19:20], v11, off
	global_load_u16 v8, v[9:10], off offset:32
	s_wait_loadcnt 0x0
	v_mul_f16_e32 v8, s33, v8
	s_delay_alu instid0(VALU_DEP_1)
	v_fmac_f16_e32 v8, s30, v18
	global_store_b16 v[19:20], v8, off offset:32
	s_branch .LBB12_2
.LBB12_11:
	s_endpgm
	.section	.rodata,"a",@progbits
	.p2align	6, 0x0
	.amdhsa_kernel _ZN12_GLOBAL__N_127rocblas_gemm_batched_kernelIDF16_Li16ELi16ELi32ELi32ELi8ELi32ELi8ELi8ELi32ELc84ELc78EKDF16_S1_DF16_EEvlllT_PT11_llS4_llS2_PT12_llPT13_lli
		.amdhsa_group_segment_fixed_size 1024
		.amdhsa_private_segment_fixed_size 0
		.amdhsa_kernarg_size 140
		.amdhsa_user_sgpr_count 2
		.amdhsa_user_sgpr_dispatch_ptr 0
		.amdhsa_user_sgpr_queue_ptr 0
		.amdhsa_user_sgpr_kernarg_segment_ptr 1
		.amdhsa_user_sgpr_dispatch_id 0
		.amdhsa_user_sgpr_private_segment_size 0
		.amdhsa_wavefront_size32 1
		.amdhsa_uses_dynamic_stack 0
		.amdhsa_enable_private_segment 0
		.amdhsa_system_sgpr_workgroup_id_x 1
		.amdhsa_system_sgpr_workgroup_id_y 1
		.amdhsa_system_sgpr_workgroup_id_z 1
		.amdhsa_system_sgpr_workgroup_info 0
		.amdhsa_system_vgpr_workitem_id 1
		.amdhsa_next_free_vgpr 36
		.amdhsa_next_free_sgpr 36
		.amdhsa_reserve_vcc 1
		.amdhsa_float_round_mode_32 0
		.amdhsa_float_round_mode_16_64 0
		.amdhsa_float_denorm_mode_32 3
		.amdhsa_float_denorm_mode_16_64 3
		.amdhsa_fp16_overflow 0
		.amdhsa_workgroup_processor_mode 1
		.amdhsa_memory_ordered 1
		.amdhsa_forward_progress 1
		.amdhsa_inst_pref_size 14
		.amdhsa_round_robin_scheduling 0
		.amdhsa_exception_fp_ieee_invalid_op 0
		.amdhsa_exception_fp_denorm_src 0
		.amdhsa_exception_fp_ieee_div_zero 0
		.amdhsa_exception_fp_ieee_overflow 0
		.amdhsa_exception_fp_ieee_underflow 0
		.amdhsa_exception_fp_ieee_inexact 0
		.amdhsa_exception_int_div_zero 0
	.end_amdhsa_kernel
	.section	.text._ZN12_GLOBAL__N_127rocblas_gemm_batched_kernelIDF16_Li16ELi16ELi32ELi32ELi8ELi32ELi8ELi8ELi32ELc84ELc78EKDF16_S1_DF16_EEvlllT_PT11_llS4_llS2_PT12_llPT13_lli,"axG",@progbits,_ZN12_GLOBAL__N_127rocblas_gemm_batched_kernelIDF16_Li16ELi16ELi32ELi32ELi8ELi32ELi8ELi8ELi32ELc84ELc78EKDF16_S1_DF16_EEvlllT_PT11_llS4_llS2_PT12_llPT13_lli,comdat
.Lfunc_end12:
	.size	_ZN12_GLOBAL__N_127rocblas_gemm_batched_kernelIDF16_Li16ELi16ELi32ELi32ELi8ELi32ELi8ELi8ELi32ELc84ELc78EKDF16_S1_DF16_EEvlllT_PT11_llS4_llS2_PT12_llPT13_lli, .Lfunc_end12-_ZN12_GLOBAL__N_127rocblas_gemm_batched_kernelIDF16_Li16ELi16ELi32ELi32ELi8ELi32ELi8ELi8ELi32ELc84ELc78EKDF16_S1_DF16_EEvlllT_PT11_llS4_llS2_PT12_llPT13_lli
                                        ; -- End function
	.set _ZN12_GLOBAL__N_127rocblas_gemm_batched_kernelIDF16_Li16ELi16ELi32ELi32ELi8ELi32ELi8ELi8ELi32ELc84ELc78EKDF16_S1_DF16_EEvlllT_PT11_llS4_llS2_PT12_llPT13_lli.num_vgpr, 36
	.set _ZN12_GLOBAL__N_127rocblas_gemm_batched_kernelIDF16_Li16ELi16ELi32ELi32ELi8ELi32ELi8ELi8ELi32ELc84ELc78EKDF16_S1_DF16_EEvlllT_PT11_llS4_llS2_PT12_llPT13_lli.num_agpr, 0
	.set _ZN12_GLOBAL__N_127rocblas_gemm_batched_kernelIDF16_Li16ELi16ELi32ELi32ELi8ELi32ELi8ELi8ELi32ELc84ELc78EKDF16_S1_DF16_EEvlllT_PT11_llS4_llS2_PT12_llPT13_lli.numbered_sgpr, 36
	.set _ZN12_GLOBAL__N_127rocblas_gemm_batched_kernelIDF16_Li16ELi16ELi32ELi32ELi8ELi32ELi8ELi8ELi32ELc84ELc78EKDF16_S1_DF16_EEvlllT_PT11_llS4_llS2_PT12_llPT13_lli.num_named_barrier, 0
	.set _ZN12_GLOBAL__N_127rocblas_gemm_batched_kernelIDF16_Li16ELi16ELi32ELi32ELi8ELi32ELi8ELi8ELi32ELc84ELc78EKDF16_S1_DF16_EEvlllT_PT11_llS4_llS2_PT12_llPT13_lli.private_seg_size, 0
	.set _ZN12_GLOBAL__N_127rocblas_gemm_batched_kernelIDF16_Li16ELi16ELi32ELi32ELi8ELi32ELi8ELi8ELi32ELc84ELc78EKDF16_S1_DF16_EEvlllT_PT11_llS4_llS2_PT12_llPT13_lli.uses_vcc, 1
	.set _ZN12_GLOBAL__N_127rocblas_gemm_batched_kernelIDF16_Li16ELi16ELi32ELi32ELi8ELi32ELi8ELi8ELi32ELc84ELc78EKDF16_S1_DF16_EEvlllT_PT11_llS4_llS2_PT12_llPT13_lli.uses_flat_scratch, 0
	.set _ZN12_GLOBAL__N_127rocblas_gemm_batched_kernelIDF16_Li16ELi16ELi32ELi32ELi8ELi32ELi8ELi8ELi32ELc84ELc78EKDF16_S1_DF16_EEvlllT_PT11_llS4_llS2_PT12_llPT13_lli.has_dyn_sized_stack, 0
	.set _ZN12_GLOBAL__N_127rocblas_gemm_batched_kernelIDF16_Li16ELi16ELi32ELi32ELi8ELi32ELi8ELi8ELi32ELc84ELc78EKDF16_S1_DF16_EEvlllT_PT11_llS4_llS2_PT12_llPT13_lli.has_recursion, 0
	.set _ZN12_GLOBAL__N_127rocblas_gemm_batched_kernelIDF16_Li16ELi16ELi32ELi32ELi8ELi32ELi8ELi8ELi32ELc84ELc78EKDF16_S1_DF16_EEvlllT_PT11_llS4_llS2_PT12_llPT13_lli.has_indirect_call, 0
	.section	.AMDGPU.csdata,"",@progbits
; Kernel info:
; codeLenInByte = 1700
; TotalNumSgprs: 38
; NumVgprs: 36
; ScratchSize: 0
; MemoryBound: 0
; FloatMode: 240
; IeeeMode: 1
; LDSByteSize: 1024 bytes/workgroup (compile time only)
; SGPRBlocks: 0
; VGPRBlocks: 4
; NumSGPRsForWavesPerEU: 38
; NumVGPRsForWavesPerEU: 36
; Occupancy: 16
; WaveLimiterHint : 0
; COMPUTE_PGM_RSRC2:SCRATCH_EN: 0
; COMPUTE_PGM_RSRC2:USER_SGPR: 2
; COMPUTE_PGM_RSRC2:TRAP_HANDLER: 0
; COMPUTE_PGM_RSRC2:TGID_X_EN: 1
; COMPUTE_PGM_RSRC2:TGID_Y_EN: 1
; COMPUTE_PGM_RSRC2:TGID_Z_EN: 1
; COMPUTE_PGM_RSRC2:TIDIG_COMP_CNT: 1
	.section	.text._ZN12_GLOBAL__N_127rocblas_gemm_batched_kernelIDF16_Li16ELi16ELi32ELi32ELi8ELi32ELi8ELi8ELi32ELc78ELc84EKDF16_S1_DF16_EEvlllT_PT11_llS4_llS2_PT12_llPT13_lli,"axG",@progbits,_ZN12_GLOBAL__N_127rocblas_gemm_batched_kernelIDF16_Li16ELi16ELi32ELi32ELi8ELi32ELi8ELi8ELi32ELc78ELc84EKDF16_S1_DF16_EEvlllT_PT11_llS4_llS2_PT12_llPT13_lli,comdat
	.globl	_ZN12_GLOBAL__N_127rocblas_gemm_batched_kernelIDF16_Li16ELi16ELi32ELi32ELi8ELi32ELi8ELi8ELi32ELc78ELc84EKDF16_S1_DF16_EEvlllT_PT11_llS4_llS2_PT12_llPT13_lli ; -- Begin function _ZN12_GLOBAL__N_127rocblas_gemm_batched_kernelIDF16_Li16ELi16ELi32ELi32ELi8ELi32ELi8ELi8ELi32ELc78ELc84EKDF16_S1_DF16_EEvlllT_PT11_llS4_llS2_PT12_llPT13_lli
	.p2align	8
	.type	_ZN12_GLOBAL__N_127rocblas_gemm_batched_kernelIDF16_Li16ELi16ELi32ELi32ELi8ELi32ELi8ELi8ELi32ELc78ELc84EKDF16_S1_DF16_EEvlllT_PT11_llS4_llS2_PT12_llPT13_lli,@function
_ZN12_GLOBAL__N_127rocblas_gemm_batched_kernelIDF16_Li16ELi16ELi32ELi32ELi8ELi32ELi8ELi8ELi32ELc78ELc84EKDF16_S1_DF16_EEvlllT_PT11_llS4_llS2_PT12_llPT13_lli: ; @_ZN12_GLOBAL__N_127rocblas_gemm_batched_kernelIDF16_Li16ELi16ELi32ELi32ELi8ELi32ELi8ELi8ELi32ELc78ELc84EKDF16_S1_DF16_EEvlllT_PT11_llS4_llS2_PT12_llPT13_lli
; %bb.0:
	s_load_b32 s31, s[0:1], 0x88
	s_lshr_b32 s2, ttmp7, 16
	s_wait_kmcnt 0x0
	s_cmp_ge_i32 s2, s31
	s_cbranch_scc1 .LBB13_11
; %bb.1:
	v_bfe_u32 v2, v0, 10, 10
	s_clause 0x3
	s_load_b96 s[28:30], s[0:1], 0x10
	s_load_b256 s[12:19], s[0:1], 0x20
	s_load_b128 s[20:23], s[0:1], 0x78
	s_load_b256 s[4:11], s[0:1], 0x58
	v_dual_mov_b32 v1, 0 :: v_dual_and_b32 v8, 0x3ff, v0
	s_clause 0x1
	s_load_b128 s[24:27], s[0:1], 0x40
	s_load_b32 s33, s[0:1], 0x50
	v_lshlrev_b32_e32 v6, 4, v2
	v_and_b32_e32 v11, 7, v0
	s_lshl_b32 s0, ttmp7, 5
	s_mov_b32 s34, ttmp9
	s_and_b32 s36, s0, 0x1fffe0
	v_add_nc_u32_e32 v3, v6, v8
	v_add_nc_u32_e32 v7, s36, v2
	;; [unrolled: 1-line block ×3, first 2 shown]
	s_ashr_i32 s35, ttmp9, 31
	v_lshlrev_b32_e32 v14, 1, v8
	v_and_b32_e32 v20, 31, v3
	v_lshrrev_b32_e32 v18, 5, v3
	v_lshrrev_b32_e32 v0, 3, v3
	v_lshlrev_b32_e32 v3, 1, v11
	s_lshl_b64 s[0:1], s[34:35], 5
	s_wait_kmcnt 0x0
	v_mad_co_u64_u32 v[4:5], null, v7, s20, 0
	s_mov_b32 s3, 0
	v_lshl_or_b32 v10, v0, 4, v3
	v_mad_co_u64_u32 v[2:3], null, v7, s6, 0
	v_mad_co_u64_u32 v[0:1], null, s24, v11, v[0:1]
	;; [unrolled: 1-line block ×3, first 2 shown]
	s_delay_alu instid0(VALU_DEP_4) | instskip(SKIP_1) | instid1(VALU_DEP_4)
	v_add_nc_u32_e32 v13, 0x200, v10
	s_cmp_eq_f16 s33, 0
	v_mad_co_u64_u32 v[6:7], null, v7, s7, v[3:4]
	s_delay_alu instid0(VALU_DEP_4)
	v_mad_co_u64_u32 v[16:17], null, s25, v11, v[1:2]
	v_add_co_u32 v7, s34, s0, v8
	s_cselect_b32 s37, -1, 0
	v_add_co_ci_u32_e64 v8, null, s1, 0, s34
	v_mov_b32_e32 v3, v6
	v_lshlrev_b32_e32 v9, 1, v20
	s_lshl_b64 s[20:21], s[20:21], 4
	s_lshl_b64 s[34:35], s[6:7], 4
	;; [unrolled: 1-line block ×3, first 2 shown]
	v_lshlrev_b64_e32 v[1:2], 1, v[2:3]
	v_lshl_or_b32 v12, v18, 6, v9
	v_mad_co_u64_u32 v[9:10], null, s14, v18, s[0:1]
	v_cmp_gt_i64_e64 s0, s[28:29], 0
	s_delay_alu instid0(VALU_DEP_2) | instskip(SKIP_1) | instid1(VALU_DEP_1)
	v_mov_b32_e32 v3, v10
	v_add_co_u32 v10, vcc_lo, v0, s36
	v_add_co_ci_u32_e64 v11, null, 0, v16, vcc_lo
	s_delay_alu instid0(VALU_DEP_3)
	v_mad_co_u64_u32 v[18:19], null, s15, v18, v[3:4]
	v_add_co_u32 v16, vcc_lo, s4, v1
	s_wait_alu 0xfffd
	v_add_co_ci_u32_e64 v17, null, s5, v2, vcc_lo
	v_add_co_u32 v2, vcc_lo, v9, v20
	s_wait_alu 0xfffd
	s_delay_alu instid0(VALU_DEP_4)
	v_add_co_ci_u32_e64 v3, null, 0, v18, vcc_lo
	v_lshlrev_b64_e32 v[0:1], 1, v[10:11]
	s_wait_alu 0xf1ff
	v_cndmask_b32_e64 v6, 0, 1, s0
	s_wait_alu 0xfffe
	v_cndmask_b32_e64 v9, 0, 1, s37
	v_lshlrev_b64_e32 v[2:3], 1, v[2:3]
	v_lshlrev_b64_e32 v[4:5], 1, v[4:5]
	s_lshl_b64 s[4:5], s[26:27], 1
	v_add_co_u32 v0, vcc_lo, s18, v0
	s_wait_alu 0xfffd
	v_add_co_ci_u32_e64 v1, null, s19, v1, vcc_lo
	v_add_co_u32 v2, vcc_lo, s12, v2
	v_cmp_ne_u32_e64 s0, 1, v6
	v_lshlrev_b64_e32 v[6:7], 1, v[7:8]
	s_wait_alu 0xfffd
	v_add_co_ci_u32_e64 v3, null, s13, v3, vcc_lo
	v_cmp_ne_u32_e64 s1, 1, v9
	s_lshl_b64 s[12:13], s[16:17], 1
	s_lshl_b64 s[14:15], s[14:15], 4
	s_lshl_b64 s[16:17], s[34:35], 1
	s_lshl_b64 s[18:19], s[20:21], 1
	s_branch .LBB13_3
.LBB13_2:                               ;   in Loop: Header=BB13_3 Depth=1
	s_add_co_i32 s2, s2, 0x10000
	s_wait_alu 0xfffe
	s_cmp_lt_i32 s2, s31
	s_cbranch_scc0 .LBB13_11
.LBB13_3:                               ; =>This Loop Header: Depth=1
                                        ;     Child Loop BB13_5 Depth 2
	s_and_b32 vcc_lo, exec_lo, s0
	s_wait_alu 0xfffe
	s_cbranch_vccnz .LBB13_6
; %bb.4:                                ;   in Loop: Header=BB13_3 Depth=1
	v_mad_co_u64_u32 v[8:9], null, s4, s2, v[0:1]
	v_mad_co_u64_u32 v[10:11], null, s12, s2, v[2:3]
	s_mov_b64 s[20:21], 0
	v_mad_co_u64_u32 v[19:20], null, s5, s2, v[9:10]
	v_mad_co_u64_u32 v[20:21], null, s13, s2, v[11:12]
	s_delay_alu instid0(VALU_DEP_2) | instskip(SKIP_1) | instid1(VALU_DEP_3)
	v_dual_mov_b32 v18, 0 :: v_dual_mov_b32 v9, v19
	v_mov_b32_e32 v19, 0
	v_mov_b32_e32 v11, v20
.LBB13_5:                               ;   Parent Loop BB13_3 Depth=1
                                        ; =>  This Inner Loop Header: Depth=2
	global_load_u16 v20, v[10:11], off
	global_load_u16 v21, v[8:9], off
	s_wait_alu 0xfffe
	s_add_nc_u64 s[20:21], s[20:21], 8
	v_add_co_u32 v8, vcc_lo, v8, s6
	s_wait_alu 0xfffe
	v_cmp_lt_i64_e64 s24, s[20:21], s[28:29]
	s_wait_alu 0xfffd
	v_add_co_ci_u32_e64 v9, null, s7, v9, vcc_lo
	v_add_co_u32 v10, vcc_lo, v10, s14
	s_wait_alu 0xfffd
	v_add_co_ci_u32_e64 v11, null, s15, v11, vcc_lo
	s_and_b32 vcc_lo, exec_lo, s24
	s_wait_loadcnt 0x1
	ds_store_b16 v12, v20
	s_wait_loadcnt 0x0
	ds_store_b16 v13, v21
	s_wait_dscnt 0x0
	s_barrier_signal -1
	s_barrier_wait -1
	global_inv scope:SCOPE_SE
	ds_load_u16 v28, v14 offset:32
	ds_load_u16 v29, v14 offset:96
	;; [unrolled: 1-line block ×3, first 2 shown]
	ds_load_b128 v[20:23], v15
	ds_load_b128 v[24:27], v15 offset:256
	ds_load_u16 v31, v14 offset:224
	ds_load_u16 v32, v14 offset:288
	;; [unrolled: 1-line block ×5, first 2 shown]
	s_wait_dscnt 0x9
	ds_load_u16_d16_hi v28, v14
	s_wait_dscnt 0x9
	ds_load_u16_d16_hi v29, v14 offset:64
	s_wait_dscnt 0x9
	ds_load_u16_d16_hi v30, v14 offset:128
	;; [unrolled: 2-line block ×7, first 2 shown]
	s_wait_loadcnt_dscnt 0x0
	s_barrier_signal -1
	s_barrier_wait -1
	global_inv scope:SCOPE_SE
	v_pk_fma_f16 v19, v28, v20, v19 op_sel_hi:[1,0,1]
	v_pk_fma_f16 v18, v28, v24, v18 op_sel_hi:[1,0,1]
	s_delay_alu instid0(VALU_DEP_2) | instskip(NEXT) | instid1(VALU_DEP_2)
	v_pk_fma_f16 v19, v29, v20, v19 op_sel:[0,1,0]
	v_pk_fma_f16 v18, v29, v24, v18 op_sel:[0,1,0]
	s_delay_alu instid0(VALU_DEP_2) | instskip(NEXT) | instid1(VALU_DEP_2)
	v_pk_fma_f16 v19, v30, v21, v19 op_sel_hi:[1,0,1]
	v_pk_fma_f16 v18, v30, v25, v18 op_sel_hi:[1,0,1]
	s_delay_alu instid0(VALU_DEP_2) | instskip(NEXT) | instid1(VALU_DEP_2)
	v_pk_fma_f16 v19, v31, v21, v19 op_sel:[0,1,0]
	v_pk_fma_f16 v18, v31, v25, v18 op_sel:[0,1,0]
	s_delay_alu instid0(VALU_DEP_2) | instskip(NEXT) | instid1(VALU_DEP_2)
	;; [unrolled: 6-line block ×3, first 2 shown]
	v_pk_fma_f16 v19, v34, v23, v19 op_sel_hi:[1,0,1]
	v_pk_fma_f16 v18, v34, v27, v18 op_sel_hi:[1,0,1]
	s_delay_alu instid0(VALU_DEP_2) | instskip(NEXT) | instid1(VALU_DEP_2)
	v_pk_fma_f16 v19, v35, v23, v19 op_sel:[0,1,0]
	v_pk_fma_f16 v18, v35, v27, v18 op_sel:[0,1,0]
	s_wait_alu 0xfffe
	s_cbranch_vccnz .LBB13_5
	s_branch .LBB13_7
.LBB13_6:                               ;   in Loop: Header=BB13_3 Depth=1
	v_dual_mov_b32 v19, 0 :: v_dual_mov_b32 v18, 0
.LBB13_7:                               ;   in Loop: Header=BB13_3 Depth=1
	s_mul_u64 s[20:21], s[22:23], s[2:3]
	s_delay_alu instid0(VALU_DEP_1) | instskip(NEXT) | instid1(VALU_DEP_2)
	v_lshrrev_b32_e32 v9, 16, v19
	v_lshrrev_b32_e32 v8, 16, v18
	s_wait_alu 0xfffe
	s_lshl_b64 s[20:21], s[20:21], 1
	s_and_b32 vcc_lo, exec_lo, s1
	s_wait_alu 0xfffe
	s_add_nc_u64 s[20:21], s[10:11], s[20:21]
	s_cbranch_vccnz .LBB13_9
; %bb.8:                                ;   in Loop: Header=BB13_3 Depth=1
	s_wait_alu 0xfffe
	v_add_co_u32 v20, vcc_lo, s20, v4
	s_wait_alu 0xfffd
	v_add_co_ci_u32_e64 v21, null, s21, v5, vcc_lo
	v_mul_f16_e32 v22, s30, v9
	s_delay_alu instid0(VALU_DEP_3) | instskip(SKIP_1) | instid1(VALU_DEP_3)
	v_add_co_u32 v10, vcc_lo, v20, v6
	s_wait_alu 0xfffd
	v_add_co_ci_u32_e64 v11, null, v21, v7, vcc_lo
	v_add_co_u32 v20, vcc_lo, v20, s18
	s_wait_alu 0xfffd
	v_add_co_ci_u32_e64 v21, null, s19, v21, vcc_lo
	v_mul_f16_e32 v24, s30, v8
	s_delay_alu instid0(VALU_DEP_3) | instskip(SKIP_1) | instid1(VALU_DEP_3)
	v_add_co_u32 v20, vcc_lo, v20, v6
	s_wait_alu 0xfffd
	v_add_co_ci_u32_e64 v21, null, v21, v7, vcc_lo
	v_mul_f16_e32 v23, s30, v19
	v_mul_f16_e32 v25, s30, v18
	s_clause 0x3
	global_store_b16 v[10:11], v22, off
	global_store_b16 v[10:11], v23, off offset:32
	global_store_b16 v[20:21], v24, off
	global_store_b16 v[20:21], v25, off offset:32
	s_cbranch_execnz .LBB13_2
	s_branch .LBB13_10
.LBB13_9:                               ;   in Loop: Header=BB13_3 Depth=1
.LBB13_10:                              ;   in Loop: Header=BB13_3 Depth=1
	s_mul_u64 s[24:25], s[8:9], s[2:3]
	s_wait_alu 0xfffe
	s_lshl_b64 s[24:25], s[24:25], 1
	s_wait_alu 0xfffe
	v_add_co_u32 v22, vcc_lo, v16, s24
	s_wait_alu 0xfffd
	v_add_co_ci_u32_e64 v23, null, s25, v17, vcc_lo
	s_delay_alu instid0(VALU_DEP_2) | instskip(SKIP_1) | instid1(VALU_DEP_2)
	v_add_co_u32 v10, vcc_lo, v22, v6
	s_wait_alu 0xfffd
	v_add_co_ci_u32_e64 v11, null, v23, v7, vcc_lo
	v_add_co_u32 v24, vcc_lo, s20, v4
	s_wait_alu 0xfffd
	v_add_co_ci_u32_e64 v25, null, s21, v5, vcc_lo
	global_load_u16 v20, v[10:11], off
	s_wait_loadcnt 0x0
	v_mul_f16_e32 v26, s33, v20
	v_add_co_u32 v20, vcc_lo, v24, v6
	s_wait_alu 0xfffd
	v_add_co_ci_u32_e64 v21, null, v25, v7, vcc_lo
	s_delay_alu instid0(VALU_DEP_3)
	v_fmac_f16_e32 v26, s30, v9
	global_store_b16 v[20:21], v26, off
	global_load_u16 v9, v[10:11], off offset:32
	s_wait_loadcnt 0x0
	v_mul_f16_e32 v11, s33, v9
	v_add_co_u32 v9, vcc_lo, v22, s16
	s_wait_alu 0xfffd
	v_add_co_ci_u32_e64 v10, null, s17, v23, vcc_lo
	s_delay_alu instid0(VALU_DEP_3) | instskip(NEXT) | instid1(VALU_DEP_3)
	v_fmac_f16_e32 v11, s30, v19
	v_add_co_u32 v9, vcc_lo, v9, v6
	s_wait_alu 0xfffd
	s_delay_alu instid0(VALU_DEP_3)
	v_add_co_ci_u32_e64 v10, null, v10, v7, vcc_lo
	global_store_b16 v[20:21], v11, off offset:32
	v_add_co_u32 v19, vcc_lo, v24, s18
	global_load_u16 v11, v[9:10], off
	s_wait_alu 0xfffd
	v_add_co_ci_u32_e64 v20, null, s19, v25, vcc_lo
	v_add_co_u32 v19, vcc_lo, v19, v6
	s_wait_alu 0xfffd
	s_delay_alu instid0(VALU_DEP_2) | instskip(SKIP_2) | instid1(VALU_DEP_1)
	v_add_co_ci_u32_e64 v20, null, v20, v7, vcc_lo
	s_wait_loadcnt 0x0
	v_mul_f16_e32 v11, s33, v11
	v_fmac_f16_e32 v11, s30, v8
	global_store_b16 v[19:20], v11, off
	global_load_u16 v8, v[9:10], off offset:32
	s_wait_loadcnt 0x0
	v_mul_f16_e32 v8, s33, v8
	s_delay_alu instid0(VALU_DEP_1)
	v_fmac_f16_e32 v8, s30, v18
	global_store_b16 v[19:20], v8, off offset:32
	s_branch .LBB13_2
.LBB13_11:
	s_endpgm
	.section	.rodata,"a",@progbits
	.p2align	6, 0x0
	.amdhsa_kernel _ZN12_GLOBAL__N_127rocblas_gemm_batched_kernelIDF16_Li16ELi16ELi32ELi32ELi8ELi32ELi8ELi8ELi32ELc78ELc84EKDF16_S1_DF16_EEvlllT_PT11_llS4_llS2_PT12_llPT13_lli
		.amdhsa_group_segment_fixed_size 1024
		.amdhsa_private_segment_fixed_size 0
		.amdhsa_kernarg_size 140
		.amdhsa_user_sgpr_count 2
		.amdhsa_user_sgpr_dispatch_ptr 0
		.amdhsa_user_sgpr_queue_ptr 0
		.amdhsa_user_sgpr_kernarg_segment_ptr 1
		.amdhsa_user_sgpr_dispatch_id 0
		.amdhsa_user_sgpr_private_segment_size 0
		.amdhsa_wavefront_size32 1
		.amdhsa_uses_dynamic_stack 0
		.amdhsa_enable_private_segment 0
		.amdhsa_system_sgpr_workgroup_id_x 1
		.amdhsa_system_sgpr_workgroup_id_y 1
		.amdhsa_system_sgpr_workgroup_id_z 1
		.amdhsa_system_sgpr_workgroup_info 0
		.amdhsa_system_vgpr_workitem_id 1
		.amdhsa_next_free_vgpr 36
		.amdhsa_next_free_sgpr 38
		.amdhsa_reserve_vcc 1
		.amdhsa_float_round_mode_32 0
		.amdhsa_float_round_mode_16_64 0
		.amdhsa_float_denorm_mode_32 3
		.amdhsa_float_denorm_mode_16_64 3
		.amdhsa_fp16_overflow 0
		.amdhsa_workgroup_processor_mode 1
		.amdhsa_memory_ordered 1
		.amdhsa_forward_progress 1
		.amdhsa_inst_pref_size 14
		.amdhsa_round_robin_scheduling 0
		.amdhsa_exception_fp_ieee_invalid_op 0
		.amdhsa_exception_fp_denorm_src 0
		.amdhsa_exception_fp_ieee_div_zero 0
		.amdhsa_exception_fp_ieee_overflow 0
		.amdhsa_exception_fp_ieee_underflow 0
		.amdhsa_exception_fp_ieee_inexact 0
		.amdhsa_exception_int_div_zero 0
	.end_amdhsa_kernel
	.section	.text._ZN12_GLOBAL__N_127rocblas_gemm_batched_kernelIDF16_Li16ELi16ELi32ELi32ELi8ELi32ELi8ELi8ELi32ELc78ELc84EKDF16_S1_DF16_EEvlllT_PT11_llS4_llS2_PT12_llPT13_lli,"axG",@progbits,_ZN12_GLOBAL__N_127rocblas_gemm_batched_kernelIDF16_Li16ELi16ELi32ELi32ELi8ELi32ELi8ELi8ELi32ELc78ELc84EKDF16_S1_DF16_EEvlllT_PT11_llS4_llS2_PT12_llPT13_lli,comdat
.Lfunc_end13:
	.size	_ZN12_GLOBAL__N_127rocblas_gemm_batched_kernelIDF16_Li16ELi16ELi32ELi32ELi8ELi32ELi8ELi8ELi32ELc78ELc84EKDF16_S1_DF16_EEvlllT_PT11_llS4_llS2_PT12_llPT13_lli, .Lfunc_end13-_ZN12_GLOBAL__N_127rocblas_gemm_batched_kernelIDF16_Li16ELi16ELi32ELi32ELi8ELi32ELi8ELi8ELi32ELc78ELc84EKDF16_S1_DF16_EEvlllT_PT11_llS4_llS2_PT12_llPT13_lli
                                        ; -- End function
	.set _ZN12_GLOBAL__N_127rocblas_gemm_batched_kernelIDF16_Li16ELi16ELi32ELi32ELi8ELi32ELi8ELi8ELi32ELc78ELc84EKDF16_S1_DF16_EEvlllT_PT11_llS4_llS2_PT12_llPT13_lli.num_vgpr, 36
	.set _ZN12_GLOBAL__N_127rocblas_gemm_batched_kernelIDF16_Li16ELi16ELi32ELi32ELi8ELi32ELi8ELi8ELi32ELc78ELc84EKDF16_S1_DF16_EEvlllT_PT11_llS4_llS2_PT12_llPT13_lli.num_agpr, 0
	.set _ZN12_GLOBAL__N_127rocblas_gemm_batched_kernelIDF16_Li16ELi16ELi32ELi32ELi8ELi32ELi8ELi8ELi32ELc78ELc84EKDF16_S1_DF16_EEvlllT_PT11_llS4_llS2_PT12_llPT13_lli.numbered_sgpr, 38
	.set _ZN12_GLOBAL__N_127rocblas_gemm_batched_kernelIDF16_Li16ELi16ELi32ELi32ELi8ELi32ELi8ELi8ELi32ELc78ELc84EKDF16_S1_DF16_EEvlllT_PT11_llS4_llS2_PT12_llPT13_lli.num_named_barrier, 0
	.set _ZN12_GLOBAL__N_127rocblas_gemm_batched_kernelIDF16_Li16ELi16ELi32ELi32ELi8ELi32ELi8ELi8ELi32ELc78ELc84EKDF16_S1_DF16_EEvlllT_PT11_llS4_llS2_PT12_llPT13_lli.private_seg_size, 0
	.set _ZN12_GLOBAL__N_127rocblas_gemm_batched_kernelIDF16_Li16ELi16ELi32ELi32ELi8ELi32ELi8ELi8ELi32ELc78ELc84EKDF16_S1_DF16_EEvlllT_PT11_llS4_llS2_PT12_llPT13_lli.uses_vcc, 1
	.set _ZN12_GLOBAL__N_127rocblas_gemm_batched_kernelIDF16_Li16ELi16ELi32ELi32ELi8ELi32ELi8ELi8ELi32ELc78ELc84EKDF16_S1_DF16_EEvlllT_PT11_llS4_llS2_PT12_llPT13_lli.uses_flat_scratch, 0
	.set _ZN12_GLOBAL__N_127rocblas_gemm_batched_kernelIDF16_Li16ELi16ELi32ELi32ELi8ELi32ELi8ELi8ELi32ELc78ELc84EKDF16_S1_DF16_EEvlllT_PT11_llS4_llS2_PT12_llPT13_lli.has_dyn_sized_stack, 0
	.set _ZN12_GLOBAL__N_127rocblas_gemm_batched_kernelIDF16_Li16ELi16ELi32ELi32ELi8ELi32ELi8ELi8ELi32ELc78ELc84EKDF16_S1_DF16_EEvlllT_PT11_llS4_llS2_PT12_llPT13_lli.has_recursion, 0
	.set _ZN12_GLOBAL__N_127rocblas_gemm_batched_kernelIDF16_Li16ELi16ELi32ELi32ELi8ELi32ELi8ELi8ELi32ELc78ELc84EKDF16_S1_DF16_EEvlllT_PT11_llS4_llS2_PT12_llPT13_lli.has_indirect_call, 0
	.section	.AMDGPU.csdata,"",@progbits
; Kernel info:
; codeLenInByte = 1680
; TotalNumSgprs: 40
; NumVgprs: 36
; ScratchSize: 0
; MemoryBound: 0
; FloatMode: 240
; IeeeMode: 1
; LDSByteSize: 1024 bytes/workgroup (compile time only)
; SGPRBlocks: 0
; VGPRBlocks: 4
; NumSGPRsForWavesPerEU: 40
; NumVGPRsForWavesPerEU: 36
; Occupancy: 16
; WaveLimiterHint : 0
; COMPUTE_PGM_RSRC2:SCRATCH_EN: 0
; COMPUTE_PGM_RSRC2:USER_SGPR: 2
; COMPUTE_PGM_RSRC2:TRAP_HANDLER: 0
; COMPUTE_PGM_RSRC2:TGID_X_EN: 1
; COMPUTE_PGM_RSRC2:TGID_Y_EN: 1
; COMPUTE_PGM_RSRC2:TGID_Z_EN: 1
; COMPUTE_PGM_RSRC2:TIDIG_COMP_CNT: 1
	.section	.text._ZN12_GLOBAL__N_127rocblas_gemm_batched_kernelIDF16_Li16ELi16ELi32ELi32ELi8ELi32ELi8ELi8ELi32ELc84ELc84EKDF16_S1_DF16_EEvlllT_PT11_llS4_llS2_PT12_llPT13_lli,"axG",@progbits,_ZN12_GLOBAL__N_127rocblas_gemm_batched_kernelIDF16_Li16ELi16ELi32ELi32ELi8ELi32ELi8ELi8ELi32ELc84ELc84EKDF16_S1_DF16_EEvlllT_PT11_llS4_llS2_PT12_llPT13_lli,comdat
	.globl	_ZN12_GLOBAL__N_127rocblas_gemm_batched_kernelIDF16_Li16ELi16ELi32ELi32ELi8ELi32ELi8ELi8ELi32ELc84ELc84EKDF16_S1_DF16_EEvlllT_PT11_llS4_llS2_PT12_llPT13_lli ; -- Begin function _ZN12_GLOBAL__N_127rocblas_gemm_batched_kernelIDF16_Li16ELi16ELi32ELi32ELi8ELi32ELi8ELi8ELi32ELc84ELc84EKDF16_S1_DF16_EEvlllT_PT11_llS4_llS2_PT12_llPT13_lli
	.p2align	8
	.type	_ZN12_GLOBAL__N_127rocblas_gemm_batched_kernelIDF16_Li16ELi16ELi32ELi32ELi8ELi32ELi8ELi8ELi32ELc84ELc84EKDF16_S1_DF16_EEvlllT_PT11_llS4_llS2_PT12_llPT13_lli,@function
_ZN12_GLOBAL__N_127rocblas_gemm_batched_kernelIDF16_Li16ELi16ELi32ELi32ELi8ELi32ELi8ELi8ELi32ELc84ELc84EKDF16_S1_DF16_EEvlllT_PT11_llS4_llS2_PT12_llPT13_lli: ; @_ZN12_GLOBAL__N_127rocblas_gemm_batched_kernelIDF16_Li16ELi16ELi32ELi32ELi8ELi32ELi8ELi8ELi32ELc84ELc84EKDF16_S1_DF16_EEvlllT_PT11_llS4_llS2_PT12_llPT13_lli
; %bb.0:
	s_load_b32 s27, s[0:1], 0x88
	s_lshr_b32 s28, ttmp7, 16
	s_wait_kmcnt 0x0
	s_cmp_ge_i32 s28, s27
	s_cbranch_scc1 .LBB14_11
; %bb.1:
	v_bfe_u32 v2, v0, 10, 10
	s_clause 0x1
	s_load_b96 s[24:26], s[0:1], 0x10
	s_load_b128 s[16:19], s[0:1], 0x78
	v_dual_mov_b32 v1, 0 :: v_dual_and_b32 v8, 0x3ff, v0
	s_clause 0x3
	s_load_b256 s[8:15], s[0:1], 0x20
	s_load_b128 s[20:23], s[0:1], 0x40
	s_load_b32 s30, s[0:1], 0x50
	s_load_b256 s[0:7], s[0:1], 0x58
	v_lshlrev_b32_e32 v6, 4, v2
	v_and_b32_e32 v9, 7, v0
	s_lshl_b32 s31, ttmp7, 5
	s_mov_b32 s34, ttmp9
	s_and_b32 s31, s31, 0x1fffe0
	v_add_nc_u32_e32 v3, v6, v8
	v_lshlrev_b32_e32 v4, 1, v9
	v_add_nc_u32_e32 v7, s31, v2
	v_add_nc_u32_e32 v15, 0x200, v6
	s_ashr_i32 s35, ttmp9, 31
	v_and_b32_e32 v10, 31, v3
	v_lshrrev_b32_e32 v0, 3, v3
	v_lshrrev_b32_e32 v18, 5, v3
	s_lshl_b64 s[34:35], s[34:35], 5
	v_lshlrev_b32_e32 v14, 1, v8
	v_lshlrev_b32_e32 v2, 1, v10
	v_lshl_or_b32 v11, v0, 4, v4
	s_wait_kmcnt 0x0
	v_mad_co_u64_u32 v[4:5], null, v7, s16, 0
	v_mad_co_u64_u32 v[0:1], null, s20, v9, v[0:1]
	v_lshl_or_b32 v12, v18, 6, v2
	v_mad_co_u64_u32 v[2:3], null, v7, s2, 0
	v_add_nc_u32_e32 v13, 0x200, v11
	v_mad_co_u64_u32 v[5:6], null, v7, s17, v[5:6]
	s_cmp_eq_f16 s30, 0
	v_add_co_u32 v0, vcc_lo, v0, s31
	v_mad_co_u64_u32 v[6:7], null, v7, s3, v[3:4]
	v_add_co_u32 v7, s36, s34, v8
	s_cselect_b32 s33, -1, 0
	v_add_co_ci_u32_e64 v8, null, s35, 0, s36
	s_lshl_b64 s[36:37], s[2:3], 4
	v_mov_b32_e32 v3, v6
	v_or_b32_e32 v11, s34, v10
	v_mad_co_u64_u32 v[9:10], null, s21, v9, v[1:2]
	s_mul_i32 s2, s10, s35
	v_lshlrev_b64_e32 v[2:3], 1, v[2:3]
	v_mul_lo_u32 v6, s11, v11
	v_mad_co_u64_u32 v[10:11], null, s10, v11, 0
	v_lshlrev_b64_e32 v[4:5], 1, v[4:5]
	v_add_co_ci_u32_e64 v1, null, 0, v9, vcc_lo
	v_add_co_u32 v16, vcc_lo, s0, v2
	s_wait_alu 0xfffd
	v_add_co_ci_u32_e64 v17, null, s1, v3, vcc_lo
	s_wait_alu 0xfffe
	v_add3_u32 v11, v11, s2, v6
	v_lshlrev_b64_e32 v[0:1], 1, v[0:1]
	v_lshlrev_b32_e32 v6, 1, v18
	v_cmp_gt_i64_e64 s0, s[24:25], 0
	v_cndmask_b32_e64 v9, 0, 1, s33
	v_lshlrev_b64_e32 v[2:3], 1, v[10:11]
	s_lshl_b64 s[16:17], s[16:17], 4
	v_add_co_u32 v0, vcc_lo, s14, v0
	s_wait_alu 0xfffd
	v_add_co_ci_u32_e64 v1, null, s15, v1, vcc_lo
	s_delay_alu instid0(VALU_DEP_3) | instskip(SKIP_3) | instid1(VALU_DEP_3)
	v_add_co_u32 v2, vcc_lo, v2, v6
	v_cndmask_b32_e64 v6, 0, 1, s0
	s_wait_alu 0xfffd
	v_add_co_ci_u32_e64 v3, null, 0, v3, vcc_lo
	v_add_co_u32 v2, vcc_lo, s8, v2
	s_delay_alu instid0(VALU_DEP_3)
	v_cmp_ne_u32_e64 s0, 1, v6
	v_lshlrev_b64_e32 v[6:7], 1, v[7:8]
	s_wait_alu 0xfffd
	v_add_co_ci_u32_e64 v3, null, s9, v3, vcc_lo
	v_cmp_ne_u32_e64 s1, 1, v9
	s_mov_b32 s29, 0
	s_lshl_b64 s[2:3], s[22:23], 1
	s_lshl_b64 s[10:11], s[20:21], 4
	;; [unrolled: 1-line block ×4, first 2 shown]
	s_wait_alu 0xfffe
	s_lshl_b64 s[14:15], s[16:17], 1
	s_branch .LBB14_3
.LBB14_2:                               ;   in Loop: Header=BB14_3 Depth=1
	s_add_co_i32 s28, s28, 0x10000
	s_wait_alu 0xfffe
	s_cmp_lt_i32 s28, s27
	s_cbranch_scc0 .LBB14_11
.LBB14_3:                               ; =>This Loop Header: Depth=1
                                        ;     Child Loop BB14_5 Depth 2
	s_and_b32 vcc_lo, exec_lo, s0
	s_wait_alu 0xfffe
	s_cbranch_vccnz .LBB14_6
; %bb.4:                                ;   in Loop: Header=BB14_3 Depth=1
	v_mad_co_u64_u32 v[8:9], null, s2, s28, v[0:1]
	v_mad_co_u64_u32 v[10:11], null, s8, s28, v[2:3]
	s_mov_b64 s[16:17], 0
	v_mad_co_u64_u32 v[19:20], null, s3, s28, v[9:10]
	v_mad_co_u64_u32 v[20:21], null, s9, s28, v[11:12]
	s_delay_alu instid0(VALU_DEP_2) | instskip(SKIP_1) | instid1(VALU_DEP_3)
	v_dual_mov_b32 v18, 0 :: v_dual_mov_b32 v9, v19
	v_mov_b32_e32 v19, 0
	v_mov_b32_e32 v11, v20
.LBB14_5:                               ;   Parent Loop BB14_3 Depth=1
                                        ; =>  This Inner Loop Header: Depth=2
	global_load_u16 v20, v[10:11], off
	global_load_u16 v21, v[8:9], off
	s_wait_alu 0xfffe
	s_add_nc_u64 s[16:17], s[16:17], 8
	v_add_co_u32 v8, vcc_lo, v8, s10
	s_wait_alu 0xfffe
	v_cmp_lt_i64_e64 s20, s[16:17], s[24:25]
	s_wait_alu 0xfffd
	v_add_co_ci_u32_e64 v9, null, s11, v9, vcc_lo
	v_add_co_u32 v10, vcc_lo, v10, 16
	s_wait_alu 0xfffd
	v_add_co_ci_u32_e64 v11, null, 0, v11, vcc_lo
	s_and_b32 vcc_lo, exec_lo, s20
	s_wait_loadcnt 0x1
	ds_store_b16 v12, v20
	s_wait_loadcnt 0x0
	ds_store_b16 v13, v21
	s_wait_dscnt 0x0
	s_barrier_signal -1
	s_barrier_wait -1
	global_inv scope:SCOPE_SE
	ds_load_u16 v28, v14 offset:32
	ds_load_u16 v29, v14 offset:96
	;; [unrolled: 1-line block ×3, first 2 shown]
	ds_load_b128 v[20:23], v15
	ds_load_b128 v[24:27], v15 offset:256
	ds_load_u16 v31, v14 offset:224
	ds_load_u16 v32, v14 offset:288
	;; [unrolled: 1-line block ×5, first 2 shown]
	s_wait_dscnt 0x9
	ds_load_u16_d16_hi v28, v14
	s_wait_dscnt 0x9
	ds_load_u16_d16_hi v29, v14 offset:64
	s_wait_dscnt 0x9
	ds_load_u16_d16_hi v30, v14 offset:128
	;; [unrolled: 2-line block ×7, first 2 shown]
	s_wait_loadcnt_dscnt 0x0
	s_barrier_signal -1
	s_barrier_wait -1
	global_inv scope:SCOPE_SE
	v_pk_fma_f16 v19, v28, v20, v19 op_sel_hi:[1,0,1]
	v_pk_fma_f16 v18, v28, v24, v18 op_sel_hi:[1,0,1]
	s_delay_alu instid0(VALU_DEP_2) | instskip(NEXT) | instid1(VALU_DEP_2)
	v_pk_fma_f16 v19, v29, v20, v19 op_sel:[0,1,0]
	v_pk_fma_f16 v18, v29, v24, v18 op_sel:[0,1,0]
	s_delay_alu instid0(VALU_DEP_2) | instskip(NEXT) | instid1(VALU_DEP_2)
	v_pk_fma_f16 v19, v30, v21, v19 op_sel_hi:[1,0,1]
	v_pk_fma_f16 v18, v30, v25, v18 op_sel_hi:[1,0,1]
	s_delay_alu instid0(VALU_DEP_2) | instskip(NEXT) | instid1(VALU_DEP_2)
	v_pk_fma_f16 v19, v31, v21, v19 op_sel:[0,1,0]
	v_pk_fma_f16 v18, v31, v25, v18 op_sel:[0,1,0]
	s_delay_alu instid0(VALU_DEP_2) | instskip(NEXT) | instid1(VALU_DEP_2)
	;; [unrolled: 6-line block ×3, first 2 shown]
	v_pk_fma_f16 v19, v34, v23, v19 op_sel_hi:[1,0,1]
	v_pk_fma_f16 v18, v34, v27, v18 op_sel_hi:[1,0,1]
	s_delay_alu instid0(VALU_DEP_2) | instskip(NEXT) | instid1(VALU_DEP_2)
	v_pk_fma_f16 v19, v35, v23, v19 op_sel:[0,1,0]
	v_pk_fma_f16 v18, v35, v27, v18 op_sel:[0,1,0]
	s_wait_alu 0xfffe
	s_cbranch_vccnz .LBB14_5
	s_branch .LBB14_7
.LBB14_6:                               ;   in Loop: Header=BB14_3 Depth=1
	v_dual_mov_b32 v19, 0 :: v_dual_mov_b32 v18, 0
.LBB14_7:                               ;   in Loop: Header=BB14_3 Depth=1
	s_mul_u64 s[16:17], s[18:19], s[28:29]
	s_delay_alu instid0(VALU_DEP_1) | instskip(NEXT) | instid1(VALU_DEP_2)
	v_lshrrev_b32_e32 v9, 16, v19
	v_lshrrev_b32_e32 v8, 16, v18
	s_wait_alu 0xfffe
	s_lshl_b64 s[16:17], s[16:17], 1
	s_and_b32 vcc_lo, exec_lo, s1
	s_wait_alu 0xfffe
	s_add_nc_u64 s[16:17], s[6:7], s[16:17]
	s_cbranch_vccnz .LBB14_9
; %bb.8:                                ;   in Loop: Header=BB14_3 Depth=1
	s_wait_alu 0xfffe
	v_add_co_u32 v20, vcc_lo, s16, v4
	s_wait_alu 0xfffd
	v_add_co_ci_u32_e64 v21, null, s17, v5, vcc_lo
	v_mul_f16_e32 v22, s26, v9
	s_delay_alu instid0(VALU_DEP_3) | instskip(SKIP_1) | instid1(VALU_DEP_3)
	v_add_co_u32 v10, vcc_lo, v20, v6
	s_wait_alu 0xfffd
	v_add_co_ci_u32_e64 v11, null, v21, v7, vcc_lo
	v_add_co_u32 v20, vcc_lo, v20, s14
	s_wait_alu 0xfffd
	v_add_co_ci_u32_e64 v21, null, s15, v21, vcc_lo
	v_mul_f16_e32 v24, s26, v8
	s_delay_alu instid0(VALU_DEP_3) | instskip(SKIP_1) | instid1(VALU_DEP_3)
	v_add_co_u32 v20, vcc_lo, v20, v6
	s_wait_alu 0xfffd
	v_add_co_ci_u32_e64 v21, null, v21, v7, vcc_lo
	v_mul_f16_e32 v23, s26, v19
	v_mul_f16_e32 v25, s26, v18
	s_clause 0x3
	global_store_b16 v[10:11], v22, off
	global_store_b16 v[10:11], v23, off offset:32
	global_store_b16 v[20:21], v24, off
	global_store_b16 v[20:21], v25, off offset:32
	s_cbranch_execnz .LBB14_2
	s_branch .LBB14_10
.LBB14_9:                               ;   in Loop: Header=BB14_3 Depth=1
.LBB14_10:                              ;   in Loop: Header=BB14_3 Depth=1
	s_mul_u64 s[20:21], s[4:5], s[28:29]
	s_wait_alu 0xfffe
	s_lshl_b64 s[20:21], s[20:21], 1
	s_wait_alu 0xfffe
	v_add_co_u32 v22, vcc_lo, v16, s20
	s_wait_alu 0xfffd
	v_add_co_ci_u32_e64 v23, null, s21, v17, vcc_lo
	s_delay_alu instid0(VALU_DEP_2) | instskip(SKIP_1) | instid1(VALU_DEP_2)
	v_add_co_u32 v10, vcc_lo, v22, v6
	s_wait_alu 0xfffd
	v_add_co_ci_u32_e64 v11, null, v23, v7, vcc_lo
	v_add_co_u32 v24, vcc_lo, s16, v4
	s_wait_alu 0xfffd
	v_add_co_ci_u32_e64 v25, null, s17, v5, vcc_lo
	global_load_u16 v20, v[10:11], off
	s_wait_loadcnt 0x0
	v_mul_f16_e32 v26, s30, v20
	v_add_co_u32 v20, vcc_lo, v24, v6
	s_wait_alu 0xfffd
	v_add_co_ci_u32_e64 v21, null, v25, v7, vcc_lo
	s_delay_alu instid0(VALU_DEP_3)
	v_fmac_f16_e32 v26, s26, v9
	global_store_b16 v[20:21], v26, off
	global_load_u16 v9, v[10:11], off offset:32
	s_wait_loadcnt 0x0
	v_mul_f16_e32 v11, s30, v9
	v_add_co_u32 v9, vcc_lo, v22, s12
	s_wait_alu 0xfffd
	v_add_co_ci_u32_e64 v10, null, s13, v23, vcc_lo
	s_delay_alu instid0(VALU_DEP_3) | instskip(NEXT) | instid1(VALU_DEP_3)
	v_fmac_f16_e32 v11, s26, v19
	v_add_co_u32 v9, vcc_lo, v9, v6
	s_wait_alu 0xfffd
	s_delay_alu instid0(VALU_DEP_3)
	v_add_co_ci_u32_e64 v10, null, v10, v7, vcc_lo
	global_store_b16 v[20:21], v11, off offset:32
	v_add_co_u32 v19, vcc_lo, v24, s14
	global_load_u16 v11, v[9:10], off
	s_wait_alu 0xfffd
	v_add_co_ci_u32_e64 v20, null, s15, v25, vcc_lo
	v_add_co_u32 v19, vcc_lo, v19, v6
	s_wait_alu 0xfffd
	s_delay_alu instid0(VALU_DEP_2) | instskip(SKIP_2) | instid1(VALU_DEP_1)
	v_add_co_ci_u32_e64 v20, null, v20, v7, vcc_lo
	s_wait_loadcnt 0x0
	v_mul_f16_e32 v11, s30, v11
	v_fmac_f16_e32 v11, s26, v8
	global_store_b16 v[19:20], v11, off
	global_load_u16 v8, v[9:10], off offset:32
	s_wait_loadcnt 0x0
	v_mul_f16_e32 v8, s30, v8
	s_delay_alu instid0(VALU_DEP_1)
	v_fmac_f16_e32 v8, s26, v18
	global_store_b16 v[19:20], v8, off offset:32
	s_branch .LBB14_2
.LBB14_11:
	s_endpgm
	.section	.rodata,"a",@progbits
	.p2align	6, 0x0
	.amdhsa_kernel _ZN12_GLOBAL__N_127rocblas_gemm_batched_kernelIDF16_Li16ELi16ELi32ELi32ELi8ELi32ELi8ELi8ELi32ELc84ELc84EKDF16_S1_DF16_EEvlllT_PT11_llS4_llS2_PT12_llPT13_lli
		.amdhsa_group_segment_fixed_size 1024
		.amdhsa_private_segment_fixed_size 0
		.amdhsa_kernarg_size 140
		.amdhsa_user_sgpr_count 2
		.amdhsa_user_sgpr_dispatch_ptr 0
		.amdhsa_user_sgpr_queue_ptr 0
		.amdhsa_user_sgpr_kernarg_segment_ptr 1
		.amdhsa_user_sgpr_dispatch_id 0
		.amdhsa_user_sgpr_private_segment_size 0
		.amdhsa_wavefront_size32 1
		.amdhsa_uses_dynamic_stack 0
		.amdhsa_enable_private_segment 0
		.amdhsa_system_sgpr_workgroup_id_x 1
		.amdhsa_system_sgpr_workgroup_id_y 1
		.amdhsa_system_sgpr_workgroup_id_z 1
		.amdhsa_system_sgpr_workgroup_info 0
		.amdhsa_system_vgpr_workitem_id 1
		.amdhsa_next_free_vgpr 36
		.amdhsa_next_free_sgpr 38
		.amdhsa_reserve_vcc 1
		.amdhsa_float_round_mode_32 0
		.amdhsa_float_round_mode_16_64 0
		.amdhsa_float_denorm_mode_32 3
		.amdhsa_float_denorm_mode_16_64 3
		.amdhsa_fp16_overflow 0
		.amdhsa_workgroup_processor_mode 1
		.amdhsa_memory_ordered 1
		.amdhsa_forward_progress 1
		.amdhsa_inst_pref_size 14
		.amdhsa_round_robin_scheduling 0
		.amdhsa_exception_fp_ieee_invalid_op 0
		.amdhsa_exception_fp_denorm_src 0
		.amdhsa_exception_fp_ieee_div_zero 0
		.amdhsa_exception_fp_ieee_overflow 0
		.amdhsa_exception_fp_ieee_underflow 0
		.amdhsa_exception_fp_ieee_inexact 0
		.amdhsa_exception_int_div_zero 0
	.end_amdhsa_kernel
	.section	.text._ZN12_GLOBAL__N_127rocblas_gemm_batched_kernelIDF16_Li16ELi16ELi32ELi32ELi8ELi32ELi8ELi8ELi32ELc84ELc84EKDF16_S1_DF16_EEvlllT_PT11_llS4_llS2_PT12_llPT13_lli,"axG",@progbits,_ZN12_GLOBAL__N_127rocblas_gemm_batched_kernelIDF16_Li16ELi16ELi32ELi32ELi8ELi32ELi8ELi8ELi32ELc84ELc84EKDF16_S1_DF16_EEvlllT_PT11_llS4_llS2_PT12_llPT13_lli,comdat
.Lfunc_end14:
	.size	_ZN12_GLOBAL__N_127rocblas_gemm_batched_kernelIDF16_Li16ELi16ELi32ELi32ELi8ELi32ELi8ELi8ELi32ELc84ELc84EKDF16_S1_DF16_EEvlllT_PT11_llS4_llS2_PT12_llPT13_lli, .Lfunc_end14-_ZN12_GLOBAL__N_127rocblas_gemm_batched_kernelIDF16_Li16ELi16ELi32ELi32ELi8ELi32ELi8ELi8ELi32ELc84ELc84EKDF16_S1_DF16_EEvlllT_PT11_llS4_llS2_PT12_llPT13_lli
                                        ; -- End function
	.set _ZN12_GLOBAL__N_127rocblas_gemm_batched_kernelIDF16_Li16ELi16ELi32ELi32ELi8ELi32ELi8ELi8ELi32ELc84ELc84EKDF16_S1_DF16_EEvlllT_PT11_llS4_llS2_PT12_llPT13_lli.num_vgpr, 36
	.set _ZN12_GLOBAL__N_127rocblas_gemm_batched_kernelIDF16_Li16ELi16ELi32ELi32ELi8ELi32ELi8ELi8ELi32ELc84ELc84EKDF16_S1_DF16_EEvlllT_PT11_llS4_llS2_PT12_llPT13_lli.num_agpr, 0
	.set _ZN12_GLOBAL__N_127rocblas_gemm_batched_kernelIDF16_Li16ELi16ELi32ELi32ELi8ELi32ELi8ELi8ELi32ELc84ELc84EKDF16_S1_DF16_EEvlllT_PT11_llS4_llS2_PT12_llPT13_lli.numbered_sgpr, 38
	.set _ZN12_GLOBAL__N_127rocblas_gemm_batched_kernelIDF16_Li16ELi16ELi32ELi32ELi8ELi32ELi8ELi8ELi32ELc84ELc84EKDF16_S1_DF16_EEvlllT_PT11_llS4_llS2_PT12_llPT13_lli.num_named_barrier, 0
	.set _ZN12_GLOBAL__N_127rocblas_gemm_batched_kernelIDF16_Li16ELi16ELi32ELi32ELi8ELi32ELi8ELi8ELi32ELc84ELc84EKDF16_S1_DF16_EEvlllT_PT11_llS4_llS2_PT12_llPT13_lli.private_seg_size, 0
	.set _ZN12_GLOBAL__N_127rocblas_gemm_batched_kernelIDF16_Li16ELi16ELi32ELi32ELi8ELi32ELi8ELi8ELi32ELc84ELc84EKDF16_S1_DF16_EEvlllT_PT11_llS4_llS2_PT12_llPT13_lli.uses_vcc, 1
	.set _ZN12_GLOBAL__N_127rocblas_gemm_batched_kernelIDF16_Li16ELi16ELi32ELi32ELi8ELi32ELi8ELi8ELi32ELc84ELc84EKDF16_S1_DF16_EEvlllT_PT11_llS4_llS2_PT12_llPT13_lli.uses_flat_scratch, 0
	.set _ZN12_GLOBAL__N_127rocblas_gemm_batched_kernelIDF16_Li16ELi16ELi32ELi32ELi8ELi32ELi8ELi8ELi32ELc84ELc84EKDF16_S1_DF16_EEvlllT_PT11_llS4_llS2_PT12_llPT13_lli.has_dyn_sized_stack, 0
	.set _ZN12_GLOBAL__N_127rocblas_gemm_batched_kernelIDF16_Li16ELi16ELi32ELi32ELi8ELi32ELi8ELi8ELi32ELc84ELc84EKDF16_S1_DF16_EEvlllT_PT11_llS4_llS2_PT12_llPT13_lli.has_recursion, 0
	.set _ZN12_GLOBAL__N_127rocblas_gemm_batched_kernelIDF16_Li16ELi16ELi32ELi32ELi8ELi32ELi8ELi8ELi32ELc84ELc84EKDF16_S1_DF16_EEvlllT_PT11_llS4_llS2_PT12_llPT13_lli.has_indirect_call, 0
	.section	.AMDGPU.csdata,"",@progbits
; Kernel info:
; codeLenInByte = 1680
; TotalNumSgprs: 40
; NumVgprs: 36
; ScratchSize: 0
; MemoryBound: 0
; FloatMode: 240
; IeeeMode: 1
; LDSByteSize: 1024 bytes/workgroup (compile time only)
; SGPRBlocks: 0
; VGPRBlocks: 4
; NumSGPRsForWavesPerEU: 40
; NumVGPRsForWavesPerEU: 36
; Occupancy: 16
; WaveLimiterHint : 0
; COMPUTE_PGM_RSRC2:SCRATCH_EN: 0
; COMPUTE_PGM_RSRC2:USER_SGPR: 2
; COMPUTE_PGM_RSRC2:TRAP_HANDLER: 0
; COMPUTE_PGM_RSRC2:TGID_X_EN: 1
; COMPUTE_PGM_RSRC2:TGID_Y_EN: 1
; COMPUTE_PGM_RSRC2:TGID_Z_EN: 1
; COMPUTE_PGM_RSRC2:TIDIG_COMP_CNT: 1
	.section	.text._ZN12_GLOBAL__N_127rocblas_gemm_batched_kernelIDF16_Li16ELi16ELi32ELi32ELi8ELi32ELi8ELi8ELi32ELc67ELc67EKDF16_S1_DF16_EEvlllT_PT11_llS4_llS2_PT12_llPT13_lli,"axG",@progbits,_ZN12_GLOBAL__N_127rocblas_gemm_batched_kernelIDF16_Li16ELi16ELi32ELi32ELi8ELi32ELi8ELi8ELi32ELc67ELc67EKDF16_S1_DF16_EEvlllT_PT11_llS4_llS2_PT12_llPT13_lli,comdat
	.globl	_ZN12_GLOBAL__N_127rocblas_gemm_batched_kernelIDF16_Li16ELi16ELi32ELi32ELi8ELi32ELi8ELi8ELi32ELc67ELc67EKDF16_S1_DF16_EEvlllT_PT11_llS4_llS2_PT12_llPT13_lli ; -- Begin function _ZN12_GLOBAL__N_127rocblas_gemm_batched_kernelIDF16_Li16ELi16ELi32ELi32ELi8ELi32ELi8ELi8ELi32ELc67ELc67EKDF16_S1_DF16_EEvlllT_PT11_llS4_llS2_PT12_llPT13_lli
	.p2align	8
	.type	_ZN12_GLOBAL__N_127rocblas_gemm_batched_kernelIDF16_Li16ELi16ELi32ELi32ELi8ELi32ELi8ELi8ELi32ELc67ELc67EKDF16_S1_DF16_EEvlllT_PT11_llS4_llS2_PT12_llPT13_lli,@function
_ZN12_GLOBAL__N_127rocblas_gemm_batched_kernelIDF16_Li16ELi16ELi32ELi32ELi8ELi32ELi8ELi8ELi32ELc67ELc67EKDF16_S1_DF16_EEvlllT_PT11_llS4_llS2_PT12_llPT13_lli: ; @_ZN12_GLOBAL__N_127rocblas_gemm_batched_kernelIDF16_Li16ELi16ELi32ELi32ELi8ELi32ELi8ELi8ELi32ELc67ELc67EKDF16_S1_DF16_EEvlllT_PT11_llS4_llS2_PT12_llPT13_lli
; %bb.0:
	s_load_b32 s27, s[0:1], 0x88
	s_lshr_b32 s28, ttmp7, 16
	s_wait_kmcnt 0x0
	s_cmp_ge_i32 s28, s27
	s_cbranch_scc1 .LBB15_11
; %bb.1:
	v_bfe_u32 v2, v0, 10, 10
	s_clause 0x1
	s_load_b96 s[24:26], s[0:1], 0x10
	s_load_b128 s[16:19], s[0:1], 0x78
	v_dual_mov_b32 v1, 0 :: v_dual_and_b32 v8, 0x3ff, v0
	s_clause 0x3
	s_load_b256 s[8:15], s[0:1], 0x20
	s_load_b128 s[20:23], s[0:1], 0x40
	s_load_b32 s30, s[0:1], 0x50
	s_load_b256 s[0:7], s[0:1], 0x58
	v_lshlrev_b32_e32 v6, 4, v2
	v_and_b32_e32 v9, 7, v0
	s_lshl_b32 s31, ttmp7, 5
	s_mov_b32 s34, ttmp9
	s_and_b32 s31, s31, 0x1fffe0
	v_add_nc_u32_e32 v3, v6, v8
	v_lshlrev_b32_e32 v4, 1, v9
	v_add_nc_u32_e32 v7, s31, v2
	v_add_nc_u32_e32 v15, 0x200, v6
	s_ashr_i32 s35, ttmp9, 31
	v_and_b32_e32 v10, 31, v3
	v_lshrrev_b32_e32 v0, 3, v3
	v_lshrrev_b32_e32 v18, 5, v3
	s_lshl_b64 s[34:35], s[34:35], 5
	v_lshlrev_b32_e32 v14, 1, v8
	v_lshlrev_b32_e32 v2, 1, v10
	v_lshl_or_b32 v11, v0, 4, v4
	s_wait_kmcnt 0x0
	v_mad_co_u64_u32 v[4:5], null, v7, s16, 0
	v_mad_co_u64_u32 v[0:1], null, s20, v9, v[0:1]
	v_lshl_or_b32 v12, v18, 6, v2
	v_mad_co_u64_u32 v[2:3], null, v7, s2, 0
	v_add_nc_u32_e32 v13, 0x200, v11
	v_mad_co_u64_u32 v[5:6], null, v7, s17, v[5:6]
	s_cmp_eq_f16 s30, 0
	v_add_co_u32 v0, vcc_lo, v0, s31
	v_mad_co_u64_u32 v[6:7], null, v7, s3, v[3:4]
	v_add_co_u32 v7, s36, s34, v8
	s_cselect_b32 s33, -1, 0
	v_add_co_ci_u32_e64 v8, null, s35, 0, s36
	s_lshl_b64 s[36:37], s[2:3], 4
	v_mov_b32_e32 v3, v6
	v_or_b32_e32 v11, s34, v10
	v_mad_co_u64_u32 v[9:10], null, s21, v9, v[1:2]
	s_mul_i32 s2, s10, s35
	v_lshlrev_b64_e32 v[2:3], 1, v[2:3]
	v_mul_lo_u32 v6, s11, v11
	v_mad_co_u64_u32 v[10:11], null, s10, v11, 0
	v_lshlrev_b64_e32 v[4:5], 1, v[4:5]
	v_add_co_ci_u32_e64 v1, null, 0, v9, vcc_lo
	v_add_co_u32 v16, vcc_lo, s0, v2
	s_wait_alu 0xfffd
	v_add_co_ci_u32_e64 v17, null, s1, v3, vcc_lo
	s_wait_alu 0xfffe
	v_add3_u32 v11, v11, s2, v6
	v_lshlrev_b64_e32 v[0:1], 1, v[0:1]
	v_lshlrev_b32_e32 v6, 1, v18
	v_cmp_gt_i64_e64 s0, s[24:25], 0
	v_cndmask_b32_e64 v9, 0, 1, s33
	v_lshlrev_b64_e32 v[2:3], 1, v[10:11]
	s_lshl_b64 s[16:17], s[16:17], 4
	v_add_co_u32 v0, vcc_lo, s14, v0
	s_wait_alu 0xfffd
	v_add_co_ci_u32_e64 v1, null, s15, v1, vcc_lo
	s_delay_alu instid0(VALU_DEP_3) | instskip(SKIP_3) | instid1(VALU_DEP_3)
	v_add_co_u32 v2, vcc_lo, v2, v6
	v_cndmask_b32_e64 v6, 0, 1, s0
	s_wait_alu 0xfffd
	v_add_co_ci_u32_e64 v3, null, 0, v3, vcc_lo
	v_add_co_u32 v2, vcc_lo, s8, v2
	s_delay_alu instid0(VALU_DEP_3)
	v_cmp_ne_u32_e64 s0, 1, v6
	v_lshlrev_b64_e32 v[6:7], 1, v[7:8]
	s_wait_alu 0xfffd
	v_add_co_ci_u32_e64 v3, null, s9, v3, vcc_lo
	v_cmp_ne_u32_e64 s1, 1, v9
	s_mov_b32 s29, 0
	s_lshl_b64 s[2:3], s[22:23], 1
	s_lshl_b64 s[10:11], s[20:21], 4
	;; [unrolled: 1-line block ×4, first 2 shown]
	s_wait_alu 0xfffe
	s_lshl_b64 s[14:15], s[16:17], 1
	s_branch .LBB15_3
.LBB15_2:                               ;   in Loop: Header=BB15_3 Depth=1
	s_add_co_i32 s28, s28, 0x10000
	s_wait_alu 0xfffe
	s_cmp_lt_i32 s28, s27
	s_cbranch_scc0 .LBB15_11
.LBB15_3:                               ; =>This Loop Header: Depth=1
                                        ;     Child Loop BB15_5 Depth 2
	s_and_b32 vcc_lo, exec_lo, s0
	s_wait_alu 0xfffe
	s_cbranch_vccnz .LBB15_6
; %bb.4:                                ;   in Loop: Header=BB15_3 Depth=1
	v_mad_co_u64_u32 v[8:9], null, s2, s28, v[0:1]
	v_mad_co_u64_u32 v[10:11], null, s8, s28, v[2:3]
	s_mov_b64 s[16:17], 0
	v_mad_co_u64_u32 v[19:20], null, s3, s28, v[9:10]
	v_mad_co_u64_u32 v[20:21], null, s9, s28, v[11:12]
	s_delay_alu instid0(VALU_DEP_2) | instskip(SKIP_1) | instid1(VALU_DEP_3)
	v_dual_mov_b32 v18, 0 :: v_dual_mov_b32 v9, v19
	v_mov_b32_e32 v19, 0
	v_mov_b32_e32 v11, v20
.LBB15_5:                               ;   Parent Loop BB15_3 Depth=1
                                        ; =>  This Inner Loop Header: Depth=2
	global_load_u16 v20, v[10:11], off
	global_load_u16 v21, v[8:9], off
	s_wait_alu 0xfffe
	s_add_nc_u64 s[16:17], s[16:17], 8
	v_add_co_u32 v8, vcc_lo, v8, s10
	s_wait_alu 0xfffe
	v_cmp_lt_i64_e64 s20, s[16:17], s[24:25]
	s_wait_alu 0xfffd
	v_add_co_ci_u32_e64 v9, null, s11, v9, vcc_lo
	v_add_co_u32 v10, vcc_lo, v10, 16
	s_wait_alu 0xfffd
	v_add_co_ci_u32_e64 v11, null, 0, v11, vcc_lo
	s_and_b32 vcc_lo, exec_lo, s20
	s_wait_loadcnt 0x1
	ds_store_b16 v12, v20
	s_wait_loadcnt 0x0
	ds_store_b16 v13, v21
	s_wait_dscnt 0x0
	s_barrier_signal -1
	s_barrier_wait -1
	global_inv scope:SCOPE_SE
	ds_load_u16 v28, v14 offset:32
	ds_load_u16 v29, v14 offset:96
	;; [unrolled: 1-line block ×3, first 2 shown]
	ds_load_b128 v[20:23], v15
	ds_load_b128 v[24:27], v15 offset:256
	ds_load_u16 v31, v14 offset:224
	ds_load_u16 v32, v14 offset:288
	;; [unrolled: 1-line block ×5, first 2 shown]
	s_wait_dscnt 0x9
	ds_load_u16_d16_hi v28, v14
	s_wait_dscnt 0x9
	ds_load_u16_d16_hi v29, v14 offset:64
	s_wait_dscnt 0x9
	ds_load_u16_d16_hi v30, v14 offset:128
	;; [unrolled: 2-line block ×7, first 2 shown]
	s_wait_loadcnt_dscnt 0x0
	s_barrier_signal -1
	s_barrier_wait -1
	global_inv scope:SCOPE_SE
	v_pk_fma_f16 v19, v28, v20, v19 op_sel_hi:[1,0,1]
	v_pk_fma_f16 v18, v28, v24, v18 op_sel_hi:[1,0,1]
	s_delay_alu instid0(VALU_DEP_2) | instskip(NEXT) | instid1(VALU_DEP_2)
	v_pk_fma_f16 v19, v29, v20, v19 op_sel:[0,1,0]
	v_pk_fma_f16 v18, v29, v24, v18 op_sel:[0,1,0]
	s_delay_alu instid0(VALU_DEP_2) | instskip(NEXT) | instid1(VALU_DEP_2)
	v_pk_fma_f16 v19, v30, v21, v19 op_sel_hi:[1,0,1]
	v_pk_fma_f16 v18, v30, v25, v18 op_sel_hi:[1,0,1]
	s_delay_alu instid0(VALU_DEP_2) | instskip(NEXT) | instid1(VALU_DEP_2)
	v_pk_fma_f16 v19, v31, v21, v19 op_sel:[0,1,0]
	v_pk_fma_f16 v18, v31, v25, v18 op_sel:[0,1,0]
	s_delay_alu instid0(VALU_DEP_2) | instskip(NEXT) | instid1(VALU_DEP_2)
	;; [unrolled: 6-line block ×3, first 2 shown]
	v_pk_fma_f16 v19, v34, v23, v19 op_sel_hi:[1,0,1]
	v_pk_fma_f16 v18, v34, v27, v18 op_sel_hi:[1,0,1]
	s_delay_alu instid0(VALU_DEP_2) | instskip(NEXT) | instid1(VALU_DEP_2)
	v_pk_fma_f16 v19, v35, v23, v19 op_sel:[0,1,0]
	v_pk_fma_f16 v18, v35, v27, v18 op_sel:[0,1,0]
	s_wait_alu 0xfffe
	s_cbranch_vccnz .LBB15_5
	s_branch .LBB15_7
.LBB15_6:                               ;   in Loop: Header=BB15_3 Depth=1
	v_dual_mov_b32 v19, 0 :: v_dual_mov_b32 v18, 0
.LBB15_7:                               ;   in Loop: Header=BB15_3 Depth=1
	s_mul_u64 s[16:17], s[18:19], s[28:29]
	s_delay_alu instid0(VALU_DEP_1) | instskip(NEXT) | instid1(VALU_DEP_2)
	v_lshrrev_b32_e32 v9, 16, v19
	v_lshrrev_b32_e32 v8, 16, v18
	s_wait_alu 0xfffe
	s_lshl_b64 s[16:17], s[16:17], 1
	s_and_b32 vcc_lo, exec_lo, s1
	s_wait_alu 0xfffe
	s_add_nc_u64 s[16:17], s[6:7], s[16:17]
	s_cbranch_vccnz .LBB15_9
; %bb.8:                                ;   in Loop: Header=BB15_3 Depth=1
	s_wait_alu 0xfffe
	v_add_co_u32 v20, vcc_lo, s16, v4
	s_wait_alu 0xfffd
	v_add_co_ci_u32_e64 v21, null, s17, v5, vcc_lo
	v_mul_f16_e32 v22, s26, v9
	s_delay_alu instid0(VALU_DEP_3) | instskip(SKIP_1) | instid1(VALU_DEP_3)
	v_add_co_u32 v10, vcc_lo, v20, v6
	s_wait_alu 0xfffd
	v_add_co_ci_u32_e64 v11, null, v21, v7, vcc_lo
	v_add_co_u32 v20, vcc_lo, v20, s14
	s_wait_alu 0xfffd
	v_add_co_ci_u32_e64 v21, null, s15, v21, vcc_lo
	v_mul_f16_e32 v24, s26, v8
	s_delay_alu instid0(VALU_DEP_3) | instskip(SKIP_1) | instid1(VALU_DEP_3)
	v_add_co_u32 v20, vcc_lo, v20, v6
	s_wait_alu 0xfffd
	v_add_co_ci_u32_e64 v21, null, v21, v7, vcc_lo
	v_mul_f16_e32 v23, s26, v19
	v_mul_f16_e32 v25, s26, v18
	s_clause 0x3
	global_store_b16 v[10:11], v22, off
	global_store_b16 v[10:11], v23, off offset:32
	global_store_b16 v[20:21], v24, off
	global_store_b16 v[20:21], v25, off offset:32
	s_cbranch_execnz .LBB15_2
	s_branch .LBB15_10
.LBB15_9:                               ;   in Loop: Header=BB15_3 Depth=1
.LBB15_10:                              ;   in Loop: Header=BB15_3 Depth=1
	s_mul_u64 s[20:21], s[4:5], s[28:29]
	s_wait_alu 0xfffe
	s_lshl_b64 s[20:21], s[20:21], 1
	s_wait_alu 0xfffe
	v_add_co_u32 v22, vcc_lo, v16, s20
	s_wait_alu 0xfffd
	v_add_co_ci_u32_e64 v23, null, s21, v17, vcc_lo
	s_delay_alu instid0(VALU_DEP_2) | instskip(SKIP_1) | instid1(VALU_DEP_2)
	v_add_co_u32 v10, vcc_lo, v22, v6
	s_wait_alu 0xfffd
	v_add_co_ci_u32_e64 v11, null, v23, v7, vcc_lo
	v_add_co_u32 v24, vcc_lo, s16, v4
	s_wait_alu 0xfffd
	v_add_co_ci_u32_e64 v25, null, s17, v5, vcc_lo
	global_load_u16 v20, v[10:11], off
	s_wait_loadcnt 0x0
	v_mul_f16_e32 v26, s30, v20
	v_add_co_u32 v20, vcc_lo, v24, v6
	s_wait_alu 0xfffd
	v_add_co_ci_u32_e64 v21, null, v25, v7, vcc_lo
	s_delay_alu instid0(VALU_DEP_3)
	v_fmac_f16_e32 v26, s26, v9
	global_store_b16 v[20:21], v26, off
	global_load_u16 v9, v[10:11], off offset:32
	s_wait_loadcnt 0x0
	v_mul_f16_e32 v11, s30, v9
	v_add_co_u32 v9, vcc_lo, v22, s12
	s_wait_alu 0xfffd
	v_add_co_ci_u32_e64 v10, null, s13, v23, vcc_lo
	s_delay_alu instid0(VALU_DEP_3) | instskip(NEXT) | instid1(VALU_DEP_3)
	v_fmac_f16_e32 v11, s26, v19
	v_add_co_u32 v9, vcc_lo, v9, v6
	s_wait_alu 0xfffd
	s_delay_alu instid0(VALU_DEP_3)
	v_add_co_ci_u32_e64 v10, null, v10, v7, vcc_lo
	global_store_b16 v[20:21], v11, off offset:32
	v_add_co_u32 v19, vcc_lo, v24, s14
	global_load_u16 v11, v[9:10], off
	s_wait_alu 0xfffd
	v_add_co_ci_u32_e64 v20, null, s15, v25, vcc_lo
	v_add_co_u32 v19, vcc_lo, v19, v6
	s_wait_alu 0xfffd
	s_delay_alu instid0(VALU_DEP_2) | instskip(SKIP_2) | instid1(VALU_DEP_1)
	v_add_co_ci_u32_e64 v20, null, v20, v7, vcc_lo
	s_wait_loadcnt 0x0
	v_mul_f16_e32 v11, s30, v11
	v_fmac_f16_e32 v11, s26, v8
	global_store_b16 v[19:20], v11, off
	global_load_u16 v8, v[9:10], off offset:32
	s_wait_loadcnt 0x0
	v_mul_f16_e32 v8, s30, v8
	s_delay_alu instid0(VALU_DEP_1)
	v_fmac_f16_e32 v8, s26, v18
	global_store_b16 v[19:20], v8, off offset:32
	s_branch .LBB15_2
.LBB15_11:
	s_endpgm
	.section	.rodata,"a",@progbits
	.p2align	6, 0x0
	.amdhsa_kernel _ZN12_GLOBAL__N_127rocblas_gemm_batched_kernelIDF16_Li16ELi16ELi32ELi32ELi8ELi32ELi8ELi8ELi32ELc67ELc67EKDF16_S1_DF16_EEvlllT_PT11_llS4_llS2_PT12_llPT13_lli
		.amdhsa_group_segment_fixed_size 1024
		.amdhsa_private_segment_fixed_size 0
		.amdhsa_kernarg_size 140
		.amdhsa_user_sgpr_count 2
		.amdhsa_user_sgpr_dispatch_ptr 0
		.amdhsa_user_sgpr_queue_ptr 0
		.amdhsa_user_sgpr_kernarg_segment_ptr 1
		.amdhsa_user_sgpr_dispatch_id 0
		.amdhsa_user_sgpr_private_segment_size 0
		.amdhsa_wavefront_size32 1
		.amdhsa_uses_dynamic_stack 0
		.amdhsa_enable_private_segment 0
		.amdhsa_system_sgpr_workgroup_id_x 1
		.amdhsa_system_sgpr_workgroup_id_y 1
		.amdhsa_system_sgpr_workgroup_id_z 1
		.amdhsa_system_sgpr_workgroup_info 0
		.amdhsa_system_vgpr_workitem_id 1
		.amdhsa_next_free_vgpr 36
		.amdhsa_next_free_sgpr 38
		.amdhsa_reserve_vcc 1
		.amdhsa_float_round_mode_32 0
		.amdhsa_float_round_mode_16_64 0
		.amdhsa_float_denorm_mode_32 3
		.amdhsa_float_denorm_mode_16_64 3
		.amdhsa_fp16_overflow 0
		.amdhsa_workgroup_processor_mode 1
		.amdhsa_memory_ordered 1
		.amdhsa_forward_progress 1
		.amdhsa_inst_pref_size 14
		.amdhsa_round_robin_scheduling 0
		.amdhsa_exception_fp_ieee_invalid_op 0
		.amdhsa_exception_fp_denorm_src 0
		.amdhsa_exception_fp_ieee_div_zero 0
		.amdhsa_exception_fp_ieee_overflow 0
		.amdhsa_exception_fp_ieee_underflow 0
		.amdhsa_exception_fp_ieee_inexact 0
		.amdhsa_exception_int_div_zero 0
	.end_amdhsa_kernel
	.section	.text._ZN12_GLOBAL__N_127rocblas_gemm_batched_kernelIDF16_Li16ELi16ELi32ELi32ELi8ELi32ELi8ELi8ELi32ELc67ELc67EKDF16_S1_DF16_EEvlllT_PT11_llS4_llS2_PT12_llPT13_lli,"axG",@progbits,_ZN12_GLOBAL__N_127rocblas_gemm_batched_kernelIDF16_Li16ELi16ELi32ELi32ELi8ELi32ELi8ELi8ELi32ELc67ELc67EKDF16_S1_DF16_EEvlllT_PT11_llS4_llS2_PT12_llPT13_lli,comdat
.Lfunc_end15:
	.size	_ZN12_GLOBAL__N_127rocblas_gemm_batched_kernelIDF16_Li16ELi16ELi32ELi32ELi8ELi32ELi8ELi8ELi32ELc67ELc67EKDF16_S1_DF16_EEvlllT_PT11_llS4_llS2_PT12_llPT13_lli, .Lfunc_end15-_ZN12_GLOBAL__N_127rocblas_gemm_batched_kernelIDF16_Li16ELi16ELi32ELi32ELi8ELi32ELi8ELi8ELi32ELc67ELc67EKDF16_S1_DF16_EEvlllT_PT11_llS4_llS2_PT12_llPT13_lli
                                        ; -- End function
	.set _ZN12_GLOBAL__N_127rocblas_gemm_batched_kernelIDF16_Li16ELi16ELi32ELi32ELi8ELi32ELi8ELi8ELi32ELc67ELc67EKDF16_S1_DF16_EEvlllT_PT11_llS4_llS2_PT12_llPT13_lli.num_vgpr, 36
	.set _ZN12_GLOBAL__N_127rocblas_gemm_batched_kernelIDF16_Li16ELi16ELi32ELi32ELi8ELi32ELi8ELi8ELi32ELc67ELc67EKDF16_S1_DF16_EEvlllT_PT11_llS4_llS2_PT12_llPT13_lli.num_agpr, 0
	.set _ZN12_GLOBAL__N_127rocblas_gemm_batched_kernelIDF16_Li16ELi16ELi32ELi32ELi8ELi32ELi8ELi8ELi32ELc67ELc67EKDF16_S1_DF16_EEvlllT_PT11_llS4_llS2_PT12_llPT13_lli.numbered_sgpr, 38
	.set _ZN12_GLOBAL__N_127rocblas_gemm_batched_kernelIDF16_Li16ELi16ELi32ELi32ELi8ELi32ELi8ELi8ELi32ELc67ELc67EKDF16_S1_DF16_EEvlllT_PT11_llS4_llS2_PT12_llPT13_lli.num_named_barrier, 0
	.set _ZN12_GLOBAL__N_127rocblas_gemm_batched_kernelIDF16_Li16ELi16ELi32ELi32ELi8ELi32ELi8ELi8ELi32ELc67ELc67EKDF16_S1_DF16_EEvlllT_PT11_llS4_llS2_PT12_llPT13_lli.private_seg_size, 0
	.set _ZN12_GLOBAL__N_127rocblas_gemm_batched_kernelIDF16_Li16ELi16ELi32ELi32ELi8ELi32ELi8ELi8ELi32ELc67ELc67EKDF16_S1_DF16_EEvlllT_PT11_llS4_llS2_PT12_llPT13_lli.uses_vcc, 1
	.set _ZN12_GLOBAL__N_127rocblas_gemm_batched_kernelIDF16_Li16ELi16ELi32ELi32ELi8ELi32ELi8ELi8ELi32ELc67ELc67EKDF16_S1_DF16_EEvlllT_PT11_llS4_llS2_PT12_llPT13_lli.uses_flat_scratch, 0
	.set _ZN12_GLOBAL__N_127rocblas_gemm_batched_kernelIDF16_Li16ELi16ELi32ELi32ELi8ELi32ELi8ELi8ELi32ELc67ELc67EKDF16_S1_DF16_EEvlllT_PT11_llS4_llS2_PT12_llPT13_lli.has_dyn_sized_stack, 0
	.set _ZN12_GLOBAL__N_127rocblas_gemm_batched_kernelIDF16_Li16ELi16ELi32ELi32ELi8ELi32ELi8ELi8ELi32ELc67ELc67EKDF16_S1_DF16_EEvlllT_PT11_llS4_llS2_PT12_llPT13_lli.has_recursion, 0
	.set _ZN12_GLOBAL__N_127rocblas_gemm_batched_kernelIDF16_Li16ELi16ELi32ELi32ELi8ELi32ELi8ELi8ELi32ELc67ELc67EKDF16_S1_DF16_EEvlllT_PT11_llS4_llS2_PT12_llPT13_lli.has_indirect_call, 0
	.section	.AMDGPU.csdata,"",@progbits
; Kernel info:
; codeLenInByte = 1680
; TotalNumSgprs: 40
; NumVgprs: 36
; ScratchSize: 0
; MemoryBound: 0
; FloatMode: 240
; IeeeMode: 1
; LDSByteSize: 1024 bytes/workgroup (compile time only)
; SGPRBlocks: 0
; VGPRBlocks: 4
; NumSGPRsForWavesPerEU: 40
; NumVGPRsForWavesPerEU: 36
; Occupancy: 16
; WaveLimiterHint : 0
; COMPUTE_PGM_RSRC2:SCRATCH_EN: 0
; COMPUTE_PGM_RSRC2:USER_SGPR: 2
; COMPUTE_PGM_RSRC2:TRAP_HANDLER: 0
; COMPUTE_PGM_RSRC2:TGID_X_EN: 1
; COMPUTE_PGM_RSRC2:TGID_Y_EN: 1
; COMPUTE_PGM_RSRC2:TGID_Z_EN: 1
; COMPUTE_PGM_RSRC2:TIDIG_COMP_CNT: 1
	.section	.text._ZN12_GLOBAL__N_127rocblas_gemm_batched_kernelIDF16_Li16ELi16ELi32ELi32ELi8ELi32ELi8ELi8ELi32ELc67ELc78EKDF16_S1_DF16_EEvlllT_PT11_llS4_llS2_PT12_llPT13_lli,"axG",@progbits,_ZN12_GLOBAL__N_127rocblas_gemm_batched_kernelIDF16_Li16ELi16ELi32ELi32ELi8ELi32ELi8ELi8ELi32ELc67ELc78EKDF16_S1_DF16_EEvlllT_PT11_llS4_llS2_PT12_llPT13_lli,comdat
	.globl	_ZN12_GLOBAL__N_127rocblas_gemm_batched_kernelIDF16_Li16ELi16ELi32ELi32ELi8ELi32ELi8ELi8ELi32ELc67ELc78EKDF16_S1_DF16_EEvlllT_PT11_llS4_llS2_PT12_llPT13_lli ; -- Begin function _ZN12_GLOBAL__N_127rocblas_gemm_batched_kernelIDF16_Li16ELi16ELi32ELi32ELi8ELi32ELi8ELi8ELi32ELc67ELc78EKDF16_S1_DF16_EEvlllT_PT11_llS4_llS2_PT12_llPT13_lli
	.p2align	8
	.type	_ZN12_GLOBAL__N_127rocblas_gemm_batched_kernelIDF16_Li16ELi16ELi32ELi32ELi8ELi32ELi8ELi8ELi32ELc67ELc78EKDF16_S1_DF16_EEvlllT_PT11_llS4_llS2_PT12_llPT13_lli,@function
_ZN12_GLOBAL__N_127rocblas_gemm_batched_kernelIDF16_Li16ELi16ELi32ELi32ELi8ELi32ELi8ELi8ELi32ELc67ELc78EKDF16_S1_DF16_EEvlllT_PT11_llS4_llS2_PT12_llPT13_lli: ; @_ZN12_GLOBAL__N_127rocblas_gemm_batched_kernelIDF16_Li16ELi16ELi32ELi32ELi8ELi32ELi8ELi8ELi32ELc67ELc78EKDF16_S1_DF16_EEvlllT_PT11_llS4_llS2_PT12_llPT13_lli
; %bb.0:
	s_load_b32 s31, s[0:1], 0x88
	s_lshr_b32 s2, ttmp7, 16
	s_wait_kmcnt 0x0
	s_cmp_ge_i32 s2, s31
	s_cbranch_scc1 .LBB16_11
; %bb.1:
	v_bfe_u32 v1, v0, 10, 10
	s_clause 0x1
	s_load_b96 s[28:30], s[0:1], 0x10
	s_load_b256 s[4:11], s[0:1], 0x58
	v_and_b32_e32 v10, 0x3ff, v0
	s_clause 0x3
	s_load_b256 s[12:19], s[0:1], 0x20
	s_load_b128 s[20:23], s[0:1], 0x78
	s_load_b128 s[24:27], s[0:1], 0x40
	s_load_b32 s33, s[0:1], 0x50
	v_lshlrev_b32_e32 v8, 4, v1
	v_lshlrev_b32_e32 v0, 1, v0
	s_lshl_b32 s3, ttmp7, 5
	s_mov_b32 s34, ttmp9
	s_and_b32 s3, s3, 0x1fffe0
	v_add_nc_u32_e32 v2, v8, v10
	v_and_b32_e32 v11, 14, v0
	v_add_nc_u32_e32 v9, s3, v1
	v_add_nc_u32_e32 v15, 0x200, v8
	s_ashr_i32 s35, ttmp9, 31
	v_and_b32_e32 v16, 31, v2
	v_lshrrev_b32_e32 v3, 3, v2
	v_lshrrev_b32_e32 v18, 5, v2
	s_lshl_b64 s[0:1], s[34:35], 5
	s_delay_alu instid0(VALU_DEP_3) | instskip(NEXT) | instid1(VALU_DEP_3)
	v_lshlrev_b32_e32 v2, 1, v16
	v_lshl_or_b32 v4, v3, 4, v11
	v_add_nc_u32_e32 v17, s3, v3
	s_wait_kmcnt 0x0
	v_mad_co_u64_u32 v[0:1], null, v9, s6, 0
	v_lshl_or_b32 v12, v18, 6, v2
	v_add_nc_u32_e32 v13, 0x200, v4
	v_mad_co_u64_u32 v[4:5], null, v9, s20, 0
	v_mad_co_u64_u32 v[2:3], null, s24, v17, 0
	s_cmp_eq_f16 s33, 0
	s_mov_b32 s3, 0
	s_cselect_b32 s34, -1, 0
	v_mad_co_u64_u32 v[6:7], null, v9, s7, v[1:2]
	v_dual_mov_b32 v1, v5 :: v_dual_lshlrev_b32 v14, 1, v10
	s_delay_alu instid0(VALU_DEP_1) | instskip(SKIP_1) | instid1(VALU_DEP_4)
	v_mad_co_u64_u32 v[7:8], null, v9, s21, v[1:2]
	v_mad_co_u64_u32 v[8:9], null, s25, v17, v[3:4]
	v_mov_b32_e32 v1, v6
	v_add_co_u32 v9, s24, s0, v10
	s_wait_alu 0xf1ff
	v_add_co_ci_u32_e64 v10, null, s1, 0, s24
	v_mov_b32_e32 v5, v7
	v_mov_b32_e32 v3, v8
	v_or_b32_e32 v6, s0, v16
	v_lshlrev_b64_e32 v[0:1], 1, v[0:1]
	s_mul_i32 s0, s14, s1
	v_lshlrev_b64_e32 v[4:5], 1, v[4:5]
	v_lshlrev_b64_e32 v[2:3], 1, v[2:3]
	v_mul_lo_u32 v8, s15, v6
	v_mad_co_u64_u32 v[6:7], null, s14, v6, 0
	v_add_co_u32 v16, vcc_lo, s4, v0
	s_delay_alu instid0(VALU_DEP_1) | instskip(SKIP_2) | instid1(VALU_DEP_4)
	v_add_co_ci_u32_e64 v17, null, s5, v1, vcc_lo
	v_add_co_u32 v0, vcc_lo, v2, v11
	s_wait_alu 0xfffe
	v_add3_u32 v7, v7, s0, v8
	s_wait_alu 0xfffd
	v_add_co_ci_u32_e64 v1, null, 0, v3, vcc_lo
	v_cmp_gt_i64_e64 s0, s[28:29], 0
	v_add_co_u32 v0, vcc_lo, s18, v0
	v_lshlrev_b64_e32 v[2:3], 1, v[6:7]
	v_lshlrev_b32_e32 v6, 1, v18
	s_wait_alu 0xfffd
	v_add_co_ci_u32_e64 v1, null, s19, v1, vcc_lo
	v_cndmask_b32_e64 v8, 0, 1, s34
	s_lshl_b64 s[20:21], s[20:21], 4
	v_add_co_u32 v2, vcc_lo, v2, v6
	v_cndmask_b32_e64 v6, 0, 1, s0
	s_wait_alu 0xfffd
	v_add_co_ci_u32_e64 v3, null, 0, v3, vcc_lo
	s_delay_alu instid0(VALU_DEP_3) | instskip(NEXT) | instid1(VALU_DEP_3)
	v_add_co_u32 v2, vcc_lo, s12, v2
	v_cmp_ne_u32_e64 s0, 1, v6
	v_lshlrev_b64_e32 v[6:7], 1, v[9:10]
	s_wait_alu 0xfffd
	v_add_co_ci_u32_e64 v3, null, s13, v3, vcc_lo
	v_cmp_ne_u32_e64 s1, 1, v8
	s_lshl_b64 s[24:25], s[6:7], 4
	s_lshl_b64 s[4:5], s[26:27], 1
	;; [unrolled: 1-line block ×3, first 2 shown]
	s_wait_alu 0xfffe
	s_lshl_b64 s[12:13], s[24:25], 1
	s_lshl_b64 s[14:15], s[20:21], 1
	s_branch .LBB16_3
.LBB16_2:                               ;   in Loop: Header=BB16_3 Depth=1
	s_add_co_i32 s2, s2, 0x10000
	s_wait_alu 0xfffe
	s_cmp_lt_i32 s2, s31
	s_cbranch_scc0 .LBB16_11
.LBB16_3:                               ; =>This Loop Header: Depth=1
                                        ;     Child Loop BB16_5 Depth 2
	s_and_b32 vcc_lo, exec_lo, s0
	s_wait_alu 0xfffe
	s_cbranch_vccnz .LBB16_6
; %bb.4:                                ;   in Loop: Header=BB16_3 Depth=1
	v_mad_co_u64_u32 v[8:9], null, s4, s2, v[0:1]
	v_mad_co_u64_u32 v[10:11], null, s6, s2, v[2:3]
	s_mov_b64 s[16:17], 0
	v_mad_co_u64_u32 v[19:20], null, s5, s2, v[9:10]
	v_mad_co_u64_u32 v[20:21], null, s7, s2, v[11:12]
	s_delay_alu instid0(VALU_DEP_2) | instskip(SKIP_1) | instid1(VALU_DEP_3)
	v_dual_mov_b32 v18, 0 :: v_dual_mov_b32 v9, v19
	v_mov_b32_e32 v19, 0
	v_mov_b32_e32 v11, v20
.LBB16_5:                               ;   Parent Loop BB16_3 Depth=1
                                        ; =>  This Inner Loop Header: Depth=2
	global_load_u16 v20, v[10:11], off
	global_load_u16 v21, v[8:9], off
	s_wait_alu 0xfffe
	s_add_nc_u64 s[16:17], s[16:17], 8
	v_add_co_u32 v8, vcc_lo, v8, 16
	s_wait_alu 0xfffe
	v_cmp_lt_i64_e64 s18, s[16:17], s[28:29]
	s_wait_alu 0xfffd
	v_add_co_ci_u32_e64 v9, null, 0, v9, vcc_lo
	v_add_co_u32 v10, vcc_lo, v10, 16
	s_wait_alu 0xfffd
	v_add_co_ci_u32_e64 v11, null, 0, v11, vcc_lo
	s_and_b32 vcc_lo, exec_lo, s18
	s_wait_loadcnt 0x1
	ds_store_b16 v12, v20
	s_wait_loadcnt 0x0
	ds_store_b16 v13, v21
	s_wait_dscnt 0x0
	s_barrier_signal -1
	s_barrier_wait -1
	global_inv scope:SCOPE_SE
	ds_load_u16 v28, v14 offset:32
	ds_load_u16 v29, v14 offset:96
	;; [unrolled: 1-line block ×3, first 2 shown]
	ds_load_b128 v[20:23], v15
	ds_load_b128 v[24:27], v15 offset:256
	ds_load_u16 v31, v14 offset:224
	ds_load_u16 v32, v14 offset:288
	;; [unrolled: 1-line block ×5, first 2 shown]
	s_wait_dscnt 0x9
	ds_load_u16_d16_hi v28, v14
	s_wait_dscnt 0x9
	ds_load_u16_d16_hi v29, v14 offset:64
	s_wait_dscnt 0x9
	ds_load_u16_d16_hi v30, v14 offset:128
	;; [unrolled: 2-line block ×7, first 2 shown]
	s_wait_loadcnt_dscnt 0x0
	s_barrier_signal -1
	s_barrier_wait -1
	global_inv scope:SCOPE_SE
	v_pk_fma_f16 v19, v28, v20, v19 op_sel_hi:[1,0,1]
	v_pk_fma_f16 v18, v28, v24, v18 op_sel_hi:[1,0,1]
	s_delay_alu instid0(VALU_DEP_2) | instskip(NEXT) | instid1(VALU_DEP_2)
	v_pk_fma_f16 v19, v29, v20, v19 op_sel:[0,1,0]
	v_pk_fma_f16 v18, v29, v24, v18 op_sel:[0,1,0]
	s_delay_alu instid0(VALU_DEP_2) | instskip(NEXT) | instid1(VALU_DEP_2)
	v_pk_fma_f16 v19, v30, v21, v19 op_sel_hi:[1,0,1]
	v_pk_fma_f16 v18, v30, v25, v18 op_sel_hi:[1,0,1]
	s_delay_alu instid0(VALU_DEP_2) | instskip(NEXT) | instid1(VALU_DEP_2)
	v_pk_fma_f16 v19, v31, v21, v19 op_sel:[0,1,0]
	v_pk_fma_f16 v18, v31, v25, v18 op_sel:[0,1,0]
	s_delay_alu instid0(VALU_DEP_2) | instskip(NEXT) | instid1(VALU_DEP_2)
	v_pk_fma_f16 v19, v32, v22, v19 op_sel_hi:[1,0,1]
	v_pk_fma_f16 v18, v32, v26, v18 op_sel_hi:[1,0,1]
	s_delay_alu instid0(VALU_DEP_2) | instskip(NEXT) | instid1(VALU_DEP_2)
	v_pk_fma_f16 v19, v33, v22, v19 op_sel:[0,1,0]
	v_pk_fma_f16 v18, v33, v26, v18 op_sel:[0,1,0]
	s_delay_alu instid0(VALU_DEP_2) | instskip(NEXT) | instid1(VALU_DEP_2)
	v_pk_fma_f16 v19, v34, v23, v19 op_sel_hi:[1,0,1]
	v_pk_fma_f16 v18, v34, v27, v18 op_sel_hi:[1,0,1]
	s_delay_alu instid0(VALU_DEP_2) | instskip(NEXT) | instid1(VALU_DEP_2)
	v_pk_fma_f16 v19, v35, v23, v19 op_sel:[0,1,0]
	v_pk_fma_f16 v18, v35, v27, v18 op_sel:[0,1,0]
	s_wait_alu 0xfffe
	s_cbranch_vccnz .LBB16_5
	s_branch .LBB16_7
.LBB16_6:                               ;   in Loop: Header=BB16_3 Depth=1
	v_dual_mov_b32 v19, 0 :: v_dual_mov_b32 v18, 0
.LBB16_7:                               ;   in Loop: Header=BB16_3 Depth=1
	s_mul_u64 s[16:17], s[22:23], s[2:3]
	s_delay_alu instid0(VALU_DEP_1) | instskip(NEXT) | instid1(VALU_DEP_2)
	v_lshrrev_b32_e32 v9, 16, v19
	v_lshrrev_b32_e32 v8, 16, v18
	s_wait_alu 0xfffe
	s_lshl_b64 s[16:17], s[16:17], 1
	s_and_b32 vcc_lo, exec_lo, s1
	s_wait_alu 0xfffe
	s_add_nc_u64 s[16:17], s[10:11], s[16:17]
	s_cbranch_vccnz .LBB16_9
; %bb.8:                                ;   in Loop: Header=BB16_3 Depth=1
	s_wait_alu 0xfffe
	v_add_co_u32 v20, vcc_lo, s16, v4
	s_wait_alu 0xfffd
	v_add_co_ci_u32_e64 v21, null, s17, v5, vcc_lo
	v_mul_f16_e32 v22, s30, v9
	s_delay_alu instid0(VALU_DEP_3) | instskip(SKIP_1) | instid1(VALU_DEP_3)
	v_add_co_u32 v10, vcc_lo, v20, v6
	s_wait_alu 0xfffd
	v_add_co_ci_u32_e64 v11, null, v21, v7, vcc_lo
	v_add_co_u32 v20, vcc_lo, v20, s14
	s_wait_alu 0xfffd
	v_add_co_ci_u32_e64 v21, null, s15, v21, vcc_lo
	v_mul_f16_e32 v24, s30, v8
	s_delay_alu instid0(VALU_DEP_3) | instskip(SKIP_1) | instid1(VALU_DEP_3)
	v_add_co_u32 v20, vcc_lo, v20, v6
	s_wait_alu 0xfffd
	v_add_co_ci_u32_e64 v21, null, v21, v7, vcc_lo
	v_mul_f16_e32 v23, s30, v19
	v_mul_f16_e32 v25, s30, v18
	s_clause 0x3
	global_store_b16 v[10:11], v22, off
	global_store_b16 v[10:11], v23, off offset:32
	global_store_b16 v[20:21], v24, off
	global_store_b16 v[20:21], v25, off offset:32
	s_cbranch_execnz .LBB16_2
	s_branch .LBB16_10
.LBB16_9:                               ;   in Loop: Header=BB16_3 Depth=1
.LBB16_10:                              ;   in Loop: Header=BB16_3 Depth=1
	s_mul_u64 s[18:19], s[8:9], s[2:3]
	s_wait_alu 0xfffe
	s_lshl_b64 s[18:19], s[18:19], 1
	s_wait_alu 0xfffe
	v_add_co_u32 v22, vcc_lo, v16, s18
	s_wait_alu 0xfffd
	v_add_co_ci_u32_e64 v23, null, s19, v17, vcc_lo
	s_delay_alu instid0(VALU_DEP_2) | instskip(SKIP_1) | instid1(VALU_DEP_2)
	v_add_co_u32 v10, vcc_lo, v22, v6
	s_wait_alu 0xfffd
	v_add_co_ci_u32_e64 v11, null, v23, v7, vcc_lo
	v_add_co_u32 v24, vcc_lo, s16, v4
	s_wait_alu 0xfffd
	v_add_co_ci_u32_e64 v25, null, s17, v5, vcc_lo
	global_load_u16 v20, v[10:11], off
	s_wait_loadcnt 0x0
	v_mul_f16_e32 v26, s33, v20
	v_add_co_u32 v20, vcc_lo, v24, v6
	s_wait_alu 0xfffd
	v_add_co_ci_u32_e64 v21, null, v25, v7, vcc_lo
	s_delay_alu instid0(VALU_DEP_3)
	v_fmac_f16_e32 v26, s30, v9
	global_store_b16 v[20:21], v26, off
	global_load_u16 v9, v[10:11], off offset:32
	s_wait_loadcnt 0x0
	v_mul_f16_e32 v11, s33, v9
	v_add_co_u32 v9, vcc_lo, v22, s12
	s_wait_alu 0xfffd
	v_add_co_ci_u32_e64 v10, null, s13, v23, vcc_lo
	s_delay_alu instid0(VALU_DEP_3) | instskip(NEXT) | instid1(VALU_DEP_3)
	v_fmac_f16_e32 v11, s30, v19
	v_add_co_u32 v9, vcc_lo, v9, v6
	s_wait_alu 0xfffd
	s_delay_alu instid0(VALU_DEP_3)
	v_add_co_ci_u32_e64 v10, null, v10, v7, vcc_lo
	global_store_b16 v[20:21], v11, off offset:32
	v_add_co_u32 v19, vcc_lo, v24, s14
	global_load_u16 v11, v[9:10], off
	s_wait_alu 0xfffd
	v_add_co_ci_u32_e64 v20, null, s15, v25, vcc_lo
	v_add_co_u32 v19, vcc_lo, v19, v6
	s_wait_alu 0xfffd
	s_delay_alu instid0(VALU_DEP_2) | instskip(SKIP_2) | instid1(VALU_DEP_1)
	v_add_co_ci_u32_e64 v20, null, v20, v7, vcc_lo
	s_wait_loadcnt 0x0
	v_mul_f16_e32 v11, s33, v11
	v_fmac_f16_e32 v11, s30, v8
	global_store_b16 v[19:20], v11, off
	global_load_u16 v8, v[9:10], off offset:32
	s_wait_loadcnt 0x0
	v_mul_f16_e32 v8, s33, v8
	s_delay_alu instid0(VALU_DEP_1)
	v_fmac_f16_e32 v8, s30, v18
	global_store_b16 v[19:20], v8, off offset:32
	s_branch .LBB16_2
.LBB16_11:
	s_endpgm
	.section	.rodata,"a",@progbits
	.p2align	6, 0x0
	.amdhsa_kernel _ZN12_GLOBAL__N_127rocblas_gemm_batched_kernelIDF16_Li16ELi16ELi32ELi32ELi8ELi32ELi8ELi8ELi32ELc67ELc78EKDF16_S1_DF16_EEvlllT_PT11_llS4_llS2_PT12_llPT13_lli
		.amdhsa_group_segment_fixed_size 1024
		.amdhsa_private_segment_fixed_size 0
		.amdhsa_kernarg_size 140
		.amdhsa_user_sgpr_count 2
		.amdhsa_user_sgpr_dispatch_ptr 0
		.amdhsa_user_sgpr_queue_ptr 0
		.amdhsa_user_sgpr_kernarg_segment_ptr 1
		.amdhsa_user_sgpr_dispatch_id 0
		.amdhsa_user_sgpr_private_segment_size 0
		.amdhsa_wavefront_size32 1
		.amdhsa_uses_dynamic_stack 0
		.amdhsa_enable_private_segment 0
		.amdhsa_system_sgpr_workgroup_id_x 1
		.amdhsa_system_sgpr_workgroup_id_y 1
		.amdhsa_system_sgpr_workgroup_id_z 1
		.amdhsa_system_sgpr_workgroup_info 0
		.amdhsa_system_vgpr_workitem_id 1
		.amdhsa_next_free_vgpr 36
		.amdhsa_next_free_sgpr 36
		.amdhsa_reserve_vcc 1
		.amdhsa_float_round_mode_32 0
		.amdhsa_float_round_mode_16_64 0
		.amdhsa_float_denorm_mode_32 3
		.amdhsa_float_denorm_mode_16_64 3
		.amdhsa_fp16_overflow 0
		.amdhsa_workgroup_processor_mode 1
		.amdhsa_memory_ordered 1
		.amdhsa_forward_progress 1
		.amdhsa_inst_pref_size 14
		.amdhsa_round_robin_scheduling 0
		.amdhsa_exception_fp_ieee_invalid_op 0
		.amdhsa_exception_fp_denorm_src 0
		.amdhsa_exception_fp_ieee_div_zero 0
		.amdhsa_exception_fp_ieee_overflow 0
		.amdhsa_exception_fp_ieee_underflow 0
		.amdhsa_exception_fp_ieee_inexact 0
		.amdhsa_exception_int_div_zero 0
	.end_amdhsa_kernel
	.section	.text._ZN12_GLOBAL__N_127rocblas_gemm_batched_kernelIDF16_Li16ELi16ELi32ELi32ELi8ELi32ELi8ELi8ELi32ELc67ELc78EKDF16_S1_DF16_EEvlllT_PT11_llS4_llS2_PT12_llPT13_lli,"axG",@progbits,_ZN12_GLOBAL__N_127rocblas_gemm_batched_kernelIDF16_Li16ELi16ELi32ELi32ELi8ELi32ELi8ELi8ELi32ELc67ELc78EKDF16_S1_DF16_EEvlllT_PT11_llS4_llS2_PT12_llPT13_lli,comdat
.Lfunc_end16:
	.size	_ZN12_GLOBAL__N_127rocblas_gemm_batched_kernelIDF16_Li16ELi16ELi32ELi32ELi8ELi32ELi8ELi8ELi32ELc67ELc78EKDF16_S1_DF16_EEvlllT_PT11_llS4_llS2_PT12_llPT13_lli, .Lfunc_end16-_ZN12_GLOBAL__N_127rocblas_gemm_batched_kernelIDF16_Li16ELi16ELi32ELi32ELi8ELi32ELi8ELi8ELi32ELc67ELc78EKDF16_S1_DF16_EEvlllT_PT11_llS4_llS2_PT12_llPT13_lli
                                        ; -- End function
	.set _ZN12_GLOBAL__N_127rocblas_gemm_batched_kernelIDF16_Li16ELi16ELi32ELi32ELi8ELi32ELi8ELi8ELi32ELc67ELc78EKDF16_S1_DF16_EEvlllT_PT11_llS4_llS2_PT12_llPT13_lli.num_vgpr, 36
	.set _ZN12_GLOBAL__N_127rocblas_gemm_batched_kernelIDF16_Li16ELi16ELi32ELi32ELi8ELi32ELi8ELi8ELi32ELc67ELc78EKDF16_S1_DF16_EEvlllT_PT11_llS4_llS2_PT12_llPT13_lli.num_agpr, 0
	.set _ZN12_GLOBAL__N_127rocblas_gemm_batched_kernelIDF16_Li16ELi16ELi32ELi32ELi8ELi32ELi8ELi8ELi32ELc67ELc78EKDF16_S1_DF16_EEvlllT_PT11_llS4_llS2_PT12_llPT13_lli.numbered_sgpr, 36
	.set _ZN12_GLOBAL__N_127rocblas_gemm_batched_kernelIDF16_Li16ELi16ELi32ELi32ELi8ELi32ELi8ELi8ELi32ELc67ELc78EKDF16_S1_DF16_EEvlllT_PT11_llS4_llS2_PT12_llPT13_lli.num_named_barrier, 0
	.set _ZN12_GLOBAL__N_127rocblas_gemm_batched_kernelIDF16_Li16ELi16ELi32ELi32ELi8ELi32ELi8ELi8ELi32ELc67ELc78EKDF16_S1_DF16_EEvlllT_PT11_llS4_llS2_PT12_llPT13_lli.private_seg_size, 0
	.set _ZN12_GLOBAL__N_127rocblas_gemm_batched_kernelIDF16_Li16ELi16ELi32ELi32ELi8ELi32ELi8ELi8ELi32ELc67ELc78EKDF16_S1_DF16_EEvlllT_PT11_llS4_llS2_PT12_llPT13_lli.uses_vcc, 1
	.set _ZN12_GLOBAL__N_127rocblas_gemm_batched_kernelIDF16_Li16ELi16ELi32ELi32ELi8ELi32ELi8ELi8ELi32ELc67ELc78EKDF16_S1_DF16_EEvlllT_PT11_llS4_llS2_PT12_llPT13_lli.uses_flat_scratch, 0
	.set _ZN12_GLOBAL__N_127rocblas_gemm_batched_kernelIDF16_Li16ELi16ELi32ELi32ELi8ELi32ELi8ELi8ELi32ELc67ELc78EKDF16_S1_DF16_EEvlllT_PT11_llS4_llS2_PT12_llPT13_lli.has_dyn_sized_stack, 0
	.set _ZN12_GLOBAL__N_127rocblas_gemm_batched_kernelIDF16_Li16ELi16ELi32ELi32ELi8ELi32ELi8ELi8ELi32ELc67ELc78EKDF16_S1_DF16_EEvlllT_PT11_llS4_llS2_PT12_llPT13_lli.has_recursion, 0
	.set _ZN12_GLOBAL__N_127rocblas_gemm_batched_kernelIDF16_Li16ELi16ELi32ELi32ELi8ELi32ELi8ELi8ELi32ELc67ELc78EKDF16_S1_DF16_EEvlllT_PT11_llS4_llS2_PT12_llPT13_lli.has_indirect_call, 0
	.section	.AMDGPU.csdata,"",@progbits
; Kernel info:
; codeLenInByte = 1700
; TotalNumSgprs: 38
; NumVgprs: 36
; ScratchSize: 0
; MemoryBound: 0
; FloatMode: 240
; IeeeMode: 1
; LDSByteSize: 1024 bytes/workgroup (compile time only)
; SGPRBlocks: 0
; VGPRBlocks: 4
; NumSGPRsForWavesPerEU: 38
; NumVGPRsForWavesPerEU: 36
; Occupancy: 16
; WaveLimiterHint : 0
; COMPUTE_PGM_RSRC2:SCRATCH_EN: 0
; COMPUTE_PGM_RSRC2:USER_SGPR: 2
; COMPUTE_PGM_RSRC2:TRAP_HANDLER: 0
; COMPUTE_PGM_RSRC2:TGID_X_EN: 1
; COMPUTE_PGM_RSRC2:TGID_Y_EN: 1
; COMPUTE_PGM_RSRC2:TGID_Z_EN: 1
; COMPUTE_PGM_RSRC2:TIDIG_COMP_CNT: 1
	.section	.text._ZN12_GLOBAL__N_127rocblas_gemm_batched_kernelIDF16_Li16ELi16ELi32ELi32ELi8ELi32ELi8ELi8ELi32ELc67ELc84EKDF16_S1_DF16_EEvlllT_PT11_llS4_llS2_PT12_llPT13_lli,"axG",@progbits,_ZN12_GLOBAL__N_127rocblas_gemm_batched_kernelIDF16_Li16ELi16ELi32ELi32ELi8ELi32ELi8ELi8ELi32ELc67ELc84EKDF16_S1_DF16_EEvlllT_PT11_llS4_llS2_PT12_llPT13_lli,comdat
	.globl	_ZN12_GLOBAL__N_127rocblas_gemm_batched_kernelIDF16_Li16ELi16ELi32ELi32ELi8ELi32ELi8ELi8ELi32ELc67ELc84EKDF16_S1_DF16_EEvlllT_PT11_llS4_llS2_PT12_llPT13_lli ; -- Begin function _ZN12_GLOBAL__N_127rocblas_gemm_batched_kernelIDF16_Li16ELi16ELi32ELi32ELi8ELi32ELi8ELi8ELi32ELc67ELc84EKDF16_S1_DF16_EEvlllT_PT11_llS4_llS2_PT12_llPT13_lli
	.p2align	8
	.type	_ZN12_GLOBAL__N_127rocblas_gemm_batched_kernelIDF16_Li16ELi16ELi32ELi32ELi8ELi32ELi8ELi8ELi32ELc67ELc84EKDF16_S1_DF16_EEvlllT_PT11_llS4_llS2_PT12_llPT13_lli,@function
_ZN12_GLOBAL__N_127rocblas_gemm_batched_kernelIDF16_Li16ELi16ELi32ELi32ELi8ELi32ELi8ELi8ELi32ELc67ELc84EKDF16_S1_DF16_EEvlllT_PT11_llS4_llS2_PT12_llPT13_lli: ; @_ZN12_GLOBAL__N_127rocblas_gemm_batched_kernelIDF16_Li16ELi16ELi32ELi32ELi8ELi32ELi8ELi8ELi32ELc67ELc84EKDF16_S1_DF16_EEvlllT_PT11_llS4_llS2_PT12_llPT13_lli
; %bb.0:
	s_load_b32 s27, s[0:1], 0x88
	s_lshr_b32 s28, ttmp7, 16
	s_wait_kmcnt 0x0
	s_cmp_ge_i32 s28, s27
	s_cbranch_scc1 .LBB17_11
; %bb.1:
	v_bfe_u32 v2, v0, 10, 10
	s_clause 0x1
	s_load_b96 s[24:26], s[0:1], 0x10
	s_load_b128 s[16:19], s[0:1], 0x78
	v_dual_mov_b32 v1, 0 :: v_dual_and_b32 v8, 0x3ff, v0
	s_clause 0x3
	s_load_b256 s[8:15], s[0:1], 0x20
	s_load_b128 s[20:23], s[0:1], 0x40
	s_load_b32 s30, s[0:1], 0x50
	s_load_b256 s[0:7], s[0:1], 0x58
	v_lshlrev_b32_e32 v6, 4, v2
	v_and_b32_e32 v9, 7, v0
	s_lshl_b32 s31, ttmp7, 5
	s_mov_b32 s34, ttmp9
	s_and_b32 s31, s31, 0x1fffe0
	v_add_nc_u32_e32 v3, v6, v8
	v_lshlrev_b32_e32 v4, 1, v9
	v_add_nc_u32_e32 v7, s31, v2
	v_add_nc_u32_e32 v15, 0x200, v6
	s_ashr_i32 s35, ttmp9, 31
	v_and_b32_e32 v10, 31, v3
	v_lshrrev_b32_e32 v0, 3, v3
	v_lshrrev_b32_e32 v18, 5, v3
	s_lshl_b64 s[34:35], s[34:35], 5
	v_lshlrev_b32_e32 v14, 1, v8
	v_lshlrev_b32_e32 v2, 1, v10
	v_lshl_or_b32 v11, v0, 4, v4
	s_wait_kmcnt 0x0
	v_mad_co_u64_u32 v[4:5], null, v7, s16, 0
	v_mad_co_u64_u32 v[0:1], null, s20, v9, v[0:1]
	v_lshl_or_b32 v12, v18, 6, v2
	v_mad_co_u64_u32 v[2:3], null, v7, s2, 0
	v_add_nc_u32_e32 v13, 0x200, v11
	v_mad_co_u64_u32 v[5:6], null, v7, s17, v[5:6]
	s_cmp_eq_f16 s30, 0
	v_add_co_u32 v0, vcc_lo, v0, s31
	v_mad_co_u64_u32 v[6:7], null, v7, s3, v[3:4]
	v_add_co_u32 v7, s36, s34, v8
	s_cselect_b32 s33, -1, 0
	v_add_co_ci_u32_e64 v8, null, s35, 0, s36
	s_lshl_b64 s[36:37], s[2:3], 4
	v_mov_b32_e32 v3, v6
	v_or_b32_e32 v11, s34, v10
	v_mad_co_u64_u32 v[9:10], null, s21, v9, v[1:2]
	s_mul_i32 s2, s10, s35
	v_lshlrev_b64_e32 v[2:3], 1, v[2:3]
	v_mul_lo_u32 v6, s11, v11
	v_mad_co_u64_u32 v[10:11], null, s10, v11, 0
	v_lshlrev_b64_e32 v[4:5], 1, v[4:5]
	v_add_co_ci_u32_e64 v1, null, 0, v9, vcc_lo
	v_add_co_u32 v16, vcc_lo, s0, v2
	s_wait_alu 0xfffd
	v_add_co_ci_u32_e64 v17, null, s1, v3, vcc_lo
	s_wait_alu 0xfffe
	v_add3_u32 v11, v11, s2, v6
	v_lshlrev_b64_e32 v[0:1], 1, v[0:1]
	v_lshlrev_b32_e32 v6, 1, v18
	v_cmp_gt_i64_e64 s0, s[24:25], 0
	v_cndmask_b32_e64 v9, 0, 1, s33
	v_lshlrev_b64_e32 v[2:3], 1, v[10:11]
	s_lshl_b64 s[16:17], s[16:17], 4
	v_add_co_u32 v0, vcc_lo, s14, v0
	s_wait_alu 0xfffd
	v_add_co_ci_u32_e64 v1, null, s15, v1, vcc_lo
	s_delay_alu instid0(VALU_DEP_3) | instskip(SKIP_3) | instid1(VALU_DEP_3)
	v_add_co_u32 v2, vcc_lo, v2, v6
	v_cndmask_b32_e64 v6, 0, 1, s0
	s_wait_alu 0xfffd
	v_add_co_ci_u32_e64 v3, null, 0, v3, vcc_lo
	v_add_co_u32 v2, vcc_lo, s8, v2
	s_delay_alu instid0(VALU_DEP_3)
	v_cmp_ne_u32_e64 s0, 1, v6
	v_lshlrev_b64_e32 v[6:7], 1, v[7:8]
	s_wait_alu 0xfffd
	v_add_co_ci_u32_e64 v3, null, s9, v3, vcc_lo
	v_cmp_ne_u32_e64 s1, 1, v9
	s_mov_b32 s29, 0
	s_lshl_b64 s[2:3], s[22:23], 1
	s_lshl_b64 s[10:11], s[20:21], 4
	;; [unrolled: 1-line block ×4, first 2 shown]
	s_wait_alu 0xfffe
	s_lshl_b64 s[14:15], s[16:17], 1
	s_branch .LBB17_3
.LBB17_2:                               ;   in Loop: Header=BB17_3 Depth=1
	s_add_co_i32 s28, s28, 0x10000
	s_wait_alu 0xfffe
	s_cmp_lt_i32 s28, s27
	s_cbranch_scc0 .LBB17_11
.LBB17_3:                               ; =>This Loop Header: Depth=1
                                        ;     Child Loop BB17_5 Depth 2
	s_and_b32 vcc_lo, exec_lo, s0
	s_wait_alu 0xfffe
	s_cbranch_vccnz .LBB17_6
; %bb.4:                                ;   in Loop: Header=BB17_3 Depth=1
	v_mad_co_u64_u32 v[8:9], null, s2, s28, v[0:1]
	v_mad_co_u64_u32 v[10:11], null, s8, s28, v[2:3]
	s_mov_b64 s[16:17], 0
	v_mad_co_u64_u32 v[19:20], null, s3, s28, v[9:10]
	v_mad_co_u64_u32 v[20:21], null, s9, s28, v[11:12]
	s_delay_alu instid0(VALU_DEP_2) | instskip(SKIP_1) | instid1(VALU_DEP_3)
	v_dual_mov_b32 v18, 0 :: v_dual_mov_b32 v9, v19
	v_mov_b32_e32 v19, 0
	v_mov_b32_e32 v11, v20
.LBB17_5:                               ;   Parent Loop BB17_3 Depth=1
                                        ; =>  This Inner Loop Header: Depth=2
	global_load_u16 v20, v[10:11], off
	global_load_u16 v21, v[8:9], off
	s_wait_alu 0xfffe
	s_add_nc_u64 s[16:17], s[16:17], 8
	v_add_co_u32 v8, vcc_lo, v8, s10
	s_wait_alu 0xfffe
	v_cmp_lt_i64_e64 s20, s[16:17], s[24:25]
	s_wait_alu 0xfffd
	v_add_co_ci_u32_e64 v9, null, s11, v9, vcc_lo
	v_add_co_u32 v10, vcc_lo, v10, 16
	s_wait_alu 0xfffd
	v_add_co_ci_u32_e64 v11, null, 0, v11, vcc_lo
	s_and_b32 vcc_lo, exec_lo, s20
	s_wait_loadcnt 0x1
	ds_store_b16 v12, v20
	s_wait_loadcnt 0x0
	ds_store_b16 v13, v21
	s_wait_dscnt 0x0
	s_barrier_signal -1
	s_barrier_wait -1
	global_inv scope:SCOPE_SE
	ds_load_u16 v28, v14 offset:32
	ds_load_u16 v29, v14 offset:96
	ds_load_u16 v30, v14 offset:160
	ds_load_b128 v[20:23], v15
	ds_load_b128 v[24:27], v15 offset:256
	ds_load_u16 v31, v14 offset:224
	ds_load_u16 v32, v14 offset:288
	ds_load_u16 v33, v14 offset:352
	ds_load_u16 v34, v14 offset:416
	ds_load_u16 v35, v14 offset:480
	s_wait_dscnt 0x9
	ds_load_u16_d16_hi v28, v14
	s_wait_dscnt 0x9
	ds_load_u16_d16_hi v29, v14 offset:64
	s_wait_dscnt 0x9
	ds_load_u16_d16_hi v30, v14 offset:128
	;; [unrolled: 2-line block ×7, first 2 shown]
	s_wait_loadcnt_dscnt 0x0
	s_barrier_signal -1
	s_barrier_wait -1
	global_inv scope:SCOPE_SE
	v_pk_fma_f16 v19, v28, v20, v19 op_sel_hi:[1,0,1]
	v_pk_fma_f16 v18, v28, v24, v18 op_sel_hi:[1,0,1]
	s_delay_alu instid0(VALU_DEP_2) | instskip(NEXT) | instid1(VALU_DEP_2)
	v_pk_fma_f16 v19, v29, v20, v19 op_sel:[0,1,0]
	v_pk_fma_f16 v18, v29, v24, v18 op_sel:[0,1,0]
	s_delay_alu instid0(VALU_DEP_2) | instskip(NEXT) | instid1(VALU_DEP_2)
	v_pk_fma_f16 v19, v30, v21, v19 op_sel_hi:[1,0,1]
	v_pk_fma_f16 v18, v30, v25, v18 op_sel_hi:[1,0,1]
	s_delay_alu instid0(VALU_DEP_2) | instskip(NEXT) | instid1(VALU_DEP_2)
	v_pk_fma_f16 v19, v31, v21, v19 op_sel:[0,1,0]
	v_pk_fma_f16 v18, v31, v25, v18 op_sel:[0,1,0]
	s_delay_alu instid0(VALU_DEP_2) | instskip(NEXT) | instid1(VALU_DEP_2)
	v_pk_fma_f16 v19, v32, v22, v19 op_sel_hi:[1,0,1]
	v_pk_fma_f16 v18, v32, v26, v18 op_sel_hi:[1,0,1]
	s_delay_alu instid0(VALU_DEP_2) | instskip(NEXT) | instid1(VALU_DEP_2)
	v_pk_fma_f16 v19, v33, v22, v19 op_sel:[0,1,0]
	v_pk_fma_f16 v18, v33, v26, v18 op_sel:[0,1,0]
	s_delay_alu instid0(VALU_DEP_2) | instskip(NEXT) | instid1(VALU_DEP_2)
	v_pk_fma_f16 v19, v34, v23, v19 op_sel_hi:[1,0,1]
	v_pk_fma_f16 v18, v34, v27, v18 op_sel_hi:[1,0,1]
	s_delay_alu instid0(VALU_DEP_2) | instskip(NEXT) | instid1(VALU_DEP_2)
	v_pk_fma_f16 v19, v35, v23, v19 op_sel:[0,1,0]
	v_pk_fma_f16 v18, v35, v27, v18 op_sel:[0,1,0]
	s_wait_alu 0xfffe
	s_cbranch_vccnz .LBB17_5
	s_branch .LBB17_7
.LBB17_6:                               ;   in Loop: Header=BB17_3 Depth=1
	v_dual_mov_b32 v19, 0 :: v_dual_mov_b32 v18, 0
.LBB17_7:                               ;   in Loop: Header=BB17_3 Depth=1
	s_mul_u64 s[16:17], s[18:19], s[28:29]
	s_delay_alu instid0(VALU_DEP_1) | instskip(NEXT) | instid1(VALU_DEP_2)
	v_lshrrev_b32_e32 v9, 16, v19
	v_lshrrev_b32_e32 v8, 16, v18
	s_wait_alu 0xfffe
	s_lshl_b64 s[16:17], s[16:17], 1
	s_and_b32 vcc_lo, exec_lo, s1
	s_wait_alu 0xfffe
	s_add_nc_u64 s[16:17], s[6:7], s[16:17]
	s_cbranch_vccnz .LBB17_9
; %bb.8:                                ;   in Loop: Header=BB17_3 Depth=1
	s_wait_alu 0xfffe
	v_add_co_u32 v20, vcc_lo, s16, v4
	s_wait_alu 0xfffd
	v_add_co_ci_u32_e64 v21, null, s17, v5, vcc_lo
	v_mul_f16_e32 v22, s26, v9
	s_delay_alu instid0(VALU_DEP_3) | instskip(SKIP_1) | instid1(VALU_DEP_3)
	v_add_co_u32 v10, vcc_lo, v20, v6
	s_wait_alu 0xfffd
	v_add_co_ci_u32_e64 v11, null, v21, v7, vcc_lo
	v_add_co_u32 v20, vcc_lo, v20, s14
	s_wait_alu 0xfffd
	v_add_co_ci_u32_e64 v21, null, s15, v21, vcc_lo
	v_mul_f16_e32 v24, s26, v8
	s_delay_alu instid0(VALU_DEP_3) | instskip(SKIP_1) | instid1(VALU_DEP_3)
	v_add_co_u32 v20, vcc_lo, v20, v6
	s_wait_alu 0xfffd
	v_add_co_ci_u32_e64 v21, null, v21, v7, vcc_lo
	v_mul_f16_e32 v23, s26, v19
	v_mul_f16_e32 v25, s26, v18
	s_clause 0x3
	global_store_b16 v[10:11], v22, off
	global_store_b16 v[10:11], v23, off offset:32
	global_store_b16 v[20:21], v24, off
	global_store_b16 v[20:21], v25, off offset:32
	s_cbranch_execnz .LBB17_2
	s_branch .LBB17_10
.LBB17_9:                               ;   in Loop: Header=BB17_3 Depth=1
.LBB17_10:                              ;   in Loop: Header=BB17_3 Depth=1
	s_mul_u64 s[20:21], s[4:5], s[28:29]
	s_wait_alu 0xfffe
	s_lshl_b64 s[20:21], s[20:21], 1
	s_wait_alu 0xfffe
	v_add_co_u32 v22, vcc_lo, v16, s20
	s_wait_alu 0xfffd
	v_add_co_ci_u32_e64 v23, null, s21, v17, vcc_lo
	s_delay_alu instid0(VALU_DEP_2) | instskip(SKIP_1) | instid1(VALU_DEP_2)
	v_add_co_u32 v10, vcc_lo, v22, v6
	s_wait_alu 0xfffd
	v_add_co_ci_u32_e64 v11, null, v23, v7, vcc_lo
	v_add_co_u32 v24, vcc_lo, s16, v4
	s_wait_alu 0xfffd
	v_add_co_ci_u32_e64 v25, null, s17, v5, vcc_lo
	global_load_u16 v20, v[10:11], off
	s_wait_loadcnt 0x0
	v_mul_f16_e32 v26, s30, v20
	v_add_co_u32 v20, vcc_lo, v24, v6
	s_wait_alu 0xfffd
	v_add_co_ci_u32_e64 v21, null, v25, v7, vcc_lo
	s_delay_alu instid0(VALU_DEP_3)
	v_fmac_f16_e32 v26, s26, v9
	global_store_b16 v[20:21], v26, off
	global_load_u16 v9, v[10:11], off offset:32
	s_wait_loadcnt 0x0
	v_mul_f16_e32 v11, s30, v9
	v_add_co_u32 v9, vcc_lo, v22, s12
	s_wait_alu 0xfffd
	v_add_co_ci_u32_e64 v10, null, s13, v23, vcc_lo
	s_delay_alu instid0(VALU_DEP_3) | instskip(NEXT) | instid1(VALU_DEP_3)
	v_fmac_f16_e32 v11, s26, v19
	v_add_co_u32 v9, vcc_lo, v9, v6
	s_wait_alu 0xfffd
	s_delay_alu instid0(VALU_DEP_3)
	v_add_co_ci_u32_e64 v10, null, v10, v7, vcc_lo
	global_store_b16 v[20:21], v11, off offset:32
	v_add_co_u32 v19, vcc_lo, v24, s14
	global_load_u16 v11, v[9:10], off
	s_wait_alu 0xfffd
	v_add_co_ci_u32_e64 v20, null, s15, v25, vcc_lo
	v_add_co_u32 v19, vcc_lo, v19, v6
	s_wait_alu 0xfffd
	s_delay_alu instid0(VALU_DEP_2) | instskip(SKIP_2) | instid1(VALU_DEP_1)
	v_add_co_ci_u32_e64 v20, null, v20, v7, vcc_lo
	s_wait_loadcnt 0x0
	v_mul_f16_e32 v11, s30, v11
	v_fmac_f16_e32 v11, s26, v8
	global_store_b16 v[19:20], v11, off
	global_load_u16 v8, v[9:10], off offset:32
	s_wait_loadcnt 0x0
	v_mul_f16_e32 v8, s30, v8
	s_delay_alu instid0(VALU_DEP_1)
	v_fmac_f16_e32 v8, s26, v18
	global_store_b16 v[19:20], v8, off offset:32
	s_branch .LBB17_2
.LBB17_11:
	s_endpgm
	.section	.rodata,"a",@progbits
	.p2align	6, 0x0
	.amdhsa_kernel _ZN12_GLOBAL__N_127rocblas_gemm_batched_kernelIDF16_Li16ELi16ELi32ELi32ELi8ELi32ELi8ELi8ELi32ELc67ELc84EKDF16_S1_DF16_EEvlllT_PT11_llS4_llS2_PT12_llPT13_lli
		.amdhsa_group_segment_fixed_size 1024
		.amdhsa_private_segment_fixed_size 0
		.amdhsa_kernarg_size 140
		.amdhsa_user_sgpr_count 2
		.amdhsa_user_sgpr_dispatch_ptr 0
		.amdhsa_user_sgpr_queue_ptr 0
		.amdhsa_user_sgpr_kernarg_segment_ptr 1
		.amdhsa_user_sgpr_dispatch_id 0
		.amdhsa_user_sgpr_private_segment_size 0
		.amdhsa_wavefront_size32 1
		.amdhsa_uses_dynamic_stack 0
		.amdhsa_enable_private_segment 0
		.amdhsa_system_sgpr_workgroup_id_x 1
		.amdhsa_system_sgpr_workgroup_id_y 1
		.amdhsa_system_sgpr_workgroup_id_z 1
		.amdhsa_system_sgpr_workgroup_info 0
		.amdhsa_system_vgpr_workitem_id 1
		.amdhsa_next_free_vgpr 36
		.amdhsa_next_free_sgpr 38
		.amdhsa_reserve_vcc 1
		.amdhsa_float_round_mode_32 0
		.amdhsa_float_round_mode_16_64 0
		.amdhsa_float_denorm_mode_32 3
		.amdhsa_float_denorm_mode_16_64 3
		.amdhsa_fp16_overflow 0
		.amdhsa_workgroup_processor_mode 1
		.amdhsa_memory_ordered 1
		.amdhsa_forward_progress 1
		.amdhsa_inst_pref_size 14
		.amdhsa_round_robin_scheduling 0
		.amdhsa_exception_fp_ieee_invalid_op 0
		.amdhsa_exception_fp_denorm_src 0
		.amdhsa_exception_fp_ieee_div_zero 0
		.amdhsa_exception_fp_ieee_overflow 0
		.amdhsa_exception_fp_ieee_underflow 0
		.amdhsa_exception_fp_ieee_inexact 0
		.amdhsa_exception_int_div_zero 0
	.end_amdhsa_kernel
	.section	.text._ZN12_GLOBAL__N_127rocblas_gemm_batched_kernelIDF16_Li16ELi16ELi32ELi32ELi8ELi32ELi8ELi8ELi32ELc67ELc84EKDF16_S1_DF16_EEvlllT_PT11_llS4_llS2_PT12_llPT13_lli,"axG",@progbits,_ZN12_GLOBAL__N_127rocblas_gemm_batched_kernelIDF16_Li16ELi16ELi32ELi32ELi8ELi32ELi8ELi8ELi32ELc67ELc84EKDF16_S1_DF16_EEvlllT_PT11_llS4_llS2_PT12_llPT13_lli,comdat
.Lfunc_end17:
	.size	_ZN12_GLOBAL__N_127rocblas_gemm_batched_kernelIDF16_Li16ELi16ELi32ELi32ELi8ELi32ELi8ELi8ELi32ELc67ELc84EKDF16_S1_DF16_EEvlllT_PT11_llS4_llS2_PT12_llPT13_lli, .Lfunc_end17-_ZN12_GLOBAL__N_127rocblas_gemm_batched_kernelIDF16_Li16ELi16ELi32ELi32ELi8ELi32ELi8ELi8ELi32ELc67ELc84EKDF16_S1_DF16_EEvlllT_PT11_llS4_llS2_PT12_llPT13_lli
                                        ; -- End function
	.set _ZN12_GLOBAL__N_127rocblas_gemm_batched_kernelIDF16_Li16ELi16ELi32ELi32ELi8ELi32ELi8ELi8ELi32ELc67ELc84EKDF16_S1_DF16_EEvlllT_PT11_llS4_llS2_PT12_llPT13_lli.num_vgpr, 36
	.set _ZN12_GLOBAL__N_127rocblas_gemm_batched_kernelIDF16_Li16ELi16ELi32ELi32ELi8ELi32ELi8ELi8ELi32ELc67ELc84EKDF16_S1_DF16_EEvlllT_PT11_llS4_llS2_PT12_llPT13_lli.num_agpr, 0
	.set _ZN12_GLOBAL__N_127rocblas_gemm_batched_kernelIDF16_Li16ELi16ELi32ELi32ELi8ELi32ELi8ELi8ELi32ELc67ELc84EKDF16_S1_DF16_EEvlllT_PT11_llS4_llS2_PT12_llPT13_lli.numbered_sgpr, 38
	.set _ZN12_GLOBAL__N_127rocblas_gemm_batched_kernelIDF16_Li16ELi16ELi32ELi32ELi8ELi32ELi8ELi8ELi32ELc67ELc84EKDF16_S1_DF16_EEvlllT_PT11_llS4_llS2_PT12_llPT13_lli.num_named_barrier, 0
	.set _ZN12_GLOBAL__N_127rocblas_gemm_batched_kernelIDF16_Li16ELi16ELi32ELi32ELi8ELi32ELi8ELi8ELi32ELc67ELc84EKDF16_S1_DF16_EEvlllT_PT11_llS4_llS2_PT12_llPT13_lli.private_seg_size, 0
	.set _ZN12_GLOBAL__N_127rocblas_gemm_batched_kernelIDF16_Li16ELi16ELi32ELi32ELi8ELi32ELi8ELi8ELi32ELc67ELc84EKDF16_S1_DF16_EEvlllT_PT11_llS4_llS2_PT12_llPT13_lli.uses_vcc, 1
	.set _ZN12_GLOBAL__N_127rocblas_gemm_batched_kernelIDF16_Li16ELi16ELi32ELi32ELi8ELi32ELi8ELi8ELi32ELc67ELc84EKDF16_S1_DF16_EEvlllT_PT11_llS4_llS2_PT12_llPT13_lli.uses_flat_scratch, 0
	.set _ZN12_GLOBAL__N_127rocblas_gemm_batched_kernelIDF16_Li16ELi16ELi32ELi32ELi8ELi32ELi8ELi8ELi32ELc67ELc84EKDF16_S1_DF16_EEvlllT_PT11_llS4_llS2_PT12_llPT13_lli.has_dyn_sized_stack, 0
	.set _ZN12_GLOBAL__N_127rocblas_gemm_batched_kernelIDF16_Li16ELi16ELi32ELi32ELi8ELi32ELi8ELi8ELi32ELc67ELc84EKDF16_S1_DF16_EEvlllT_PT11_llS4_llS2_PT12_llPT13_lli.has_recursion, 0
	.set _ZN12_GLOBAL__N_127rocblas_gemm_batched_kernelIDF16_Li16ELi16ELi32ELi32ELi8ELi32ELi8ELi8ELi32ELc67ELc84EKDF16_S1_DF16_EEvlllT_PT11_llS4_llS2_PT12_llPT13_lli.has_indirect_call, 0
	.section	.AMDGPU.csdata,"",@progbits
; Kernel info:
; codeLenInByte = 1680
; TotalNumSgprs: 40
; NumVgprs: 36
; ScratchSize: 0
; MemoryBound: 0
; FloatMode: 240
; IeeeMode: 1
; LDSByteSize: 1024 bytes/workgroup (compile time only)
; SGPRBlocks: 0
; VGPRBlocks: 4
; NumSGPRsForWavesPerEU: 40
; NumVGPRsForWavesPerEU: 36
; Occupancy: 16
; WaveLimiterHint : 0
; COMPUTE_PGM_RSRC2:SCRATCH_EN: 0
; COMPUTE_PGM_RSRC2:USER_SGPR: 2
; COMPUTE_PGM_RSRC2:TRAP_HANDLER: 0
; COMPUTE_PGM_RSRC2:TGID_X_EN: 1
; COMPUTE_PGM_RSRC2:TGID_Y_EN: 1
; COMPUTE_PGM_RSRC2:TGID_Z_EN: 1
; COMPUTE_PGM_RSRC2:TIDIG_COMP_CNT: 1
	.section	.text._ZN12_GLOBAL__N_127rocblas_gemm_batched_kernelIDF16_Li16ELi16ELi32ELi32ELi8ELi32ELi8ELi8ELi32ELc78ELc67EKDF16_S1_DF16_EEvlllT_PT11_llS4_llS2_PT12_llPT13_lli,"axG",@progbits,_ZN12_GLOBAL__N_127rocblas_gemm_batched_kernelIDF16_Li16ELi16ELi32ELi32ELi8ELi32ELi8ELi8ELi32ELc78ELc67EKDF16_S1_DF16_EEvlllT_PT11_llS4_llS2_PT12_llPT13_lli,comdat
	.globl	_ZN12_GLOBAL__N_127rocblas_gemm_batched_kernelIDF16_Li16ELi16ELi32ELi32ELi8ELi32ELi8ELi8ELi32ELc78ELc67EKDF16_S1_DF16_EEvlllT_PT11_llS4_llS2_PT12_llPT13_lli ; -- Begin function _ZN12_GLOBAL__N_127rocblas_gemm_batched_kernelIDF16_Li16ELi16ELi32ELi32ELi8ELi32ELi8ELi8ELi32ELc78ELc67EKDF16_S1_DF16_EEvlllT_PT11_llS4_llS2_PT12_llPT13_lli
	.p2align	8
	.type	_ZN12_GLOBAL__N_127rocblas_gemm_batched_kernelIDF16_Li16ELi16ELi32ELi32ELi8ELi32ELi8ELi8ELi32ELc78ELc67EKDF16_S1_DF16_EEvlllT_PT11_llS4_llS2_PT12_llPT13_lli,@function
_ZN12_GLOBAL__N_127rocblas_gemm_batched_kernelIDF16_Li16ELi16ELi32ELi32ELi8ELi32ELi8ELi8ELi32ELc78ELc67EKDF16_S1_DF16_EEvlllT_PT11_llS4_llS2_PT12_llPT13_lli: ; @_ZN12_GLOBAL__N_127rocblas_gemm_batched_kernelIDF16_Li16ELi16ELi32ELi32ELi8ELi32ELi8ELi8ELi32ELc78ELc67EKDF16_S1_DF16_EEvlllT_PT11_llS4_llS2_PT12_llPT13_lli
; %bb.0:
	s_load_b32 s31, s[0:1], 0x88
	s_lshr_b32 s2, ttmp7, 16
	s_wait_kmcnt 0x0
	s_cmp_ge_i32 s2, s31
	s_cbranch_scc1 .LBB18_11
; %bb.1:
	v_bfe_u32 v2, v0, 10, 10
	s_clause 0x3
	s_load_b96 s[28:30], s[0:1], 0x10
	s_load_b256 s[12:19], s[0:1], 0x20
	s_load_b128 s[20:23], s[0:1], 0x78
	s_load_b256 s[4:11], s[0:1], 0x58
	v_dual_mov_b32 v1, 0 :: v_dual_and_b32 v8, 0x3ff, v0
	s_clause 0x1
	s_load_b128 s[24:27], s[0:1], 0x40
	s_load_b32 s33, s[0:1], 0x50
	v_lshlrev_b32_e32 v6, 4, v2
	v_and_b32_e32 v11, 7, v0
	s_lshl_b32 s0, ttmp7, 5
	s_mov_b32 s34, ttmp9
	s_and_b32 s36, s0, 0x1fffe0
	v_add_nc_u32_e32 v3, v6, v8
	v_add_nc_u32_e32 v7, s36, v2
	;; [unrolled: 1-line block ×3, first 2 shown]
	s_ashr_i32 s35, ttmp9, 31
	v_lshlrev_b32_e32 v14, 1, v8
	v_and_b32_e32 v20, 31, v3
	v_lshrrev_b32_e32 v18, 5, v3
	v_lshrrev_b32_e32 v0, 3, v3
	v_lshlrev_b32_e32 v3, 1, v11
	s_lshl_b64 s[0:1], s[34:35], 5
	s_wait_kmcnt 0x0
	v_mad_co_u64_u32 v[4:5], null, v7, s20, 0
	s_mov_b32 s3, 0
	v_lshl_or_b32 v10, v0, 4, v3
	v_mad_co_u64_u32 v[2:3], null, v7, s6, 0
	v_mad_co_u64_u32 v[0:1], null, s24, v11, v[0:1]
	;; [unrolled: 1-line block ×3, first 2 shown]
	s_delay_alu instid0(VALU_DEP_4) | instskip(SKIP_1) | instid1(VALU_DEP_4)
	v_add_nc_u32_e32 v13, 0x200, v10
	s_cmp_eq_f16 s33, 0
	v_mad_co_u64_u32 v[6:7], null, v7, s7, v[3:4]
	s_delay_alu instid0(VALU_DEP_4)
	v_mad_co_u64_u32 v[16:17], null, s25, v11, v[1:2]
	v_add_co_u32 v7, s34, s0, v8
	s_cselect_b32 s37, -1, 0
	v_add_co_ci_u32_e64 v8, null, s1, 0, s34
	v_mov_b32_e32 v3, v6
	v_lshlrev_b32_e32 v9, 1, v20
	s_lshl_b64 s[20:21], s[20:21], 4
	s_lshl_b64 s[34:35], s[6:7], 4
	;; [unrolled: 1-line block ×3, first 2 shown]
	v_lshlrev_b64_e32 v[1:2], 1, v[2:3]
	v_lshl_or_b32 v12, v18, 6, v9
	v_mad_co_u64_u32 v[9:10], null, s14, v18, s[0:1]
	v_cmp_gt_i64_e64 s0, s[28:29], 0
	s_delay_alu instid0(VALU_DEP_2) | instskip(SKIP_1) | instid1(VALU_DEP_1)
	v_mov_b32_e32 v3, v10
	v_add_co_u32 v10, vcc_lo, v0, s36
	v_add_co_ci_u32_e64 v11, null, 0, v16, vcc_lo
	s_delay_alu instid0(VALU_DEP_3)
	v_mad_co_u64_u32 v[18:19], null, s15, v18, v[3:4]
	v_add_co_u32 v16, vcc_lo, s4, v1
	s_wait_alu 0xfffd
	v_add_co_ci_u32_e64 v17, null, s5, v2, vcc_lo
	v_add_co_u32 v2, vcc_lo, v9, v20
	s_wait_alu 0xfffd
	s_delay_alu instid0(VALU_DEP_4)
	v_add_co_ci_u32_e64 v3, null, 0, v18, vcc_lo
	v_lshlrev_b64_e32 v[0:1], 1, v[10:11]
	s_wait_alu 0xf1ff
	v_cndmask_b32_e64 v6, 0, 1, s0
	s_wait_alu 0xfffe
	v_cndmask_b32_e64 v9, 0, 1, s37
	v_lshlrev_b64_e32 v[2:3], 1, v[2:3]
	v_lshlrev_b64_e32 v[4:5], 1, v[4:5]
	s_lshl_b64 s[4:5], s[26:27], 1
	v_add_co_u32 v0, vcc_lo, s18, v0
	s_wait_alu 0xfffd
	v_add_co_ci_u32_e64 v1, null, s19, v1, vcc_lo
	v_add_co_u32 v2, vcc_lo, s12, v2
	v_cmp_ne_u32_e64 s0, 1, v6
	v_lshlrev_b64_e32 v[6:7], 1, v[7:8]
	s_wait_alu 0xfffd
	v_add_co_ci_u32_e64 v3, null, s13, v3, vcc_lo
	v_cmp_ne_u32_e64 s1, 1, v9
	s_lshl_b64 s[12:13], s[16:17], 1
	s_lshl_b64 s[14:15], s[14:15], 4
	;; [unrolled: 1-line block ×4, first 2 shown]
	s_branch .LBB18_3
.LBB18_2:                               ;   in Loop: Header=BB18_3 Depth=1
	s_add_co_i32 s2, s2, 0x10000
	s_wait_alu 0xfffe
	s_cmp_lt_i32 s2, s31
	s_cbranch_scc0 .LBB18_11
.LBB18_3:                               ; =>This Loop Header: Depth=1
                                        ;     Child Loop BB18_5 Depth 2
	s_and_b32 vcc_lo, exec_lo, s0
	s_wait_alu 0xfffe
	s_cbranch_vccnz .LBB18_6
; %bb.4:                                ;   in Loop: Header=BB18_3 Depth=1
	v_mad_co_u64_u32 v[8:9], null, s4, s2, v[0:1]
	v_mad_co_u64_u32 v[10:11], null, s12, s2, v[2:3]
	s_mov_b64 s[20:21], 0
	v_mad_co_u64_u32 v[19:20], null, s5, s2, v[9:10]
	v_mad_co_u64_u32 v[20:21], null, s13, s2, v[11:12]
	s_delay_alu instid0(VALU_DEP_2) | instskip(SKIP_1) | instid1(VALU_DEP_3)
	v_dual_mov_b32 v18, 0 :: v_dual_mov_b32 v9, v19
	v_mov_b32_e32 v19, 0
	v_mov_b32_e32 v11, v20
.LBB18_5:                               ;   Parent Loop BB18_3 Depth=1
                                        ; =>  This Inner Loop Header: Depth=2
	global_load_u16 v20, v[10:11], off
	global_load_u16 v21, v[8:9], off
	s_wait_alu 0xfffe
	s_add_nc_u64 s[20:21], s[20:21], 8
	v_add_co_u32 v8, vcc_lo, v8, s6
	s_wait_alu 0xfffe
	v_cmp_lt_i64_e64 s24, s[20:21], s[28:29]
	s_wait_alu 0xfffd
	v_add_co_ci_u32_e64 v9, null, s7, v9, vcc_lo
	v_add_co_u32 v10, vcc_lo, v10, s14
	s_wait_alu 0xfffd
	v_add_co_ci_u32_e64 v11, null, s15, v11, vcc_lo
	s_and_b32 vcc_lo, exec_lo, s24
	s_wait_loadcnt 0x1
	ds_store_b16 v12, v20
	s_wait_loadcnt 0x0
	ds_store_b16 v13, v21
	s_wait_dscnt 0x0
	s_barrier_signal -1
	s_barrier_wait -1
	global_inv scope:SCOPE_SE
	ds_load_u16 v28, v14 offset:32
	ds_load_u16 v29, v14 offset:96
	;; [unrolled: 1-line block ×3, first 2 shown]
	ds_load_b128 v[20:23], v15
	ds_load_b128 v[24:27], v15 offset:256
	ds_load_u16 v31, v14 offset:224
	ds_load_u16 v32, v14 offset:288
	;; [unrolled: 1-line block ×5, first 2 shown]
	s_wait_dscnt 0x9
	ds_load_u16_d16_hi v28, v14
	s_wait_dscnt 0x9
	ds_load_u16_d16_hi v29, v14 offset:64
	s_wait_dscnt 0x9
	ds_load_u16_d16_hi v30, v14 offset:128
	;; [unrolled: 2-line block ×7, first 2 shown]
	s_wait_loadcnt_dscnt 0x0
	s_barrier_signal -1
	s_barrier_wait -1
	global_inv scope:SCOPE_SE
	v_pk_fma_f16 v19, v28, v20, v19 op_sel_hi:[1,0,1]
	v_pk_fma_f16 v18, v28, v24, v18 op_sel_hi:[1,0,1]
	s_delay_alu instid0(VALU_DEP_2) | instskip(NEXT) | instid1(VALU_DEP_2)
	v_pk_fma_f16 v19, v29, v20, v19 op_sel:[0,1,0]
	v_pk_fma_f16 v18, v29, v24, v18 op_sel:[0,1,0]
	s_delay_alu instid0(VALU_DEP_2) | instskip(NEXT) | instid1(VALU_DEP_2)
	v_pk_fma_f16 v19, v30, v21, v19 op_sel_hi:[1,0,1]
	v_pk_fma_f16 v18, v30, v25, v18 op_sel_hi:[1,0,1]
	s_delay_alu instid0(VALU_DEP_2) | instskip(NEXT) | instid1(VALU_DEP_2)
	v_pk_fma_f16 v19, v31, v21, v19 op_sel:[0,1,0]
	v_pk_fma_f16 v18, v31, v25, v18 op_sel:[0,1,0]
	s_delay_alu instid0(VALU_DEP_2) | instskip(NEXT) | instid1(VALU_DEP_2)
	;; [unrolled: 6-line block ×3, first 2 shown]
	v_pk_fma_f16 v19, v34, v23, v19 op_sel_hi:[1,0,1]
	v_pk_fma_f16 v18, v34, v27, v18 op_sel_hi:[1,0,1]
	s_delay_alu instid0(VALU_DEP_2) | instskip(NEXT) | instid1(VALU_DEP_2)
	v_pk_fma_f16 v19, v35, v23, v19 op_sel:[0,1,0]
	v_pk_fma_f16 v18, v35, v27, v18 op_sel:[0,1,0]
	s_wait_alu 0xfffe
	s_cbranch_vccnz .LBB18_5
	s_branch .LBB18_7
.LBB18_6:                               ;   in Loop: Header=BB18_3 Depth=1
	v_dual_mov_b32 v19, 0 :: v_dual_mov_b32 v18, 0
.LBB18_7:                               ;   in Loop: Header=BB18_3 Depth=1
	s_mul_u64 s[20:21], s[22:23], s[2:3]
	s_delay_alu instid0(VALU_DEP_1) | instskip(NEXT) | instid1(VALU_DEP_2)
	v_lshrrev_b32_e32 v9, 16, v19
	v_lshrrev_b32_e32 v8, 16, v18
	s_wait_alu 0xfffe
	s_lshl_b64 s[20:21], s[20:21], 1
	s_and_b32 vcc_lo, exec_lo, s1
	s_wait_alu 0xfffe
	s_add_nc_u64 s[20:21], s[10:11], s[20:21]
	s_cbranch_vccnz .LBB18_9
; %bb.8:                                ;   in Loop: Header=BB18_3 Depth=1
	s_wait_alu 0xfffe
	v_add_co_u32 v20, vcc_lo, s20, v4
	s_wait_alu 0xfffd
	v_add_co_ci_u32_e64 v21, null, s21, v5, vcc_lo
	v_mul_f16_e32 v22, s30, v9
	s_delay_alu instid0(VALU_DEP_3) | instskip(SKIP_1) | instid1(VALU_DEP_3)
	v_add_co_u32 v10, vcc_lo, v20, v6
	s_wait_alu 0xfffd
	v_add_co_ci_u32_e64 v11, null, v21, v7, vcc_lo
	v_add_co_u32 v20, vcc_lo, v20, s18
	s_wait_alu 0xfffd
	v_add_co_ci_u32_e64 v21, null, s19, v21, vcc_lo
	v_mul_f16_e32 v24, s30, v8
	s_delay_alu instid0(VALU_DEP_3) | instskip(SKIP_1) | instid1(VALU_DEP_3)
	v_add_co_u32 v20, vcc_lo, v20, v6
	s_wait_alu 0xfffd
	v_add_co_ci_u32_e64 v21, null, v21, v7, vcc_lo
	v_mul_f16_e32 v23, s30, v19
	v_mul_f16_e32 v25, s30, v18
	s_clause 0x3
	global_store_b16 v[10:11], v22, off
	global_store_b16 v[10:11], v23, off offset:32
	global_store_b16 v[20:21], v24, off
	global_store_b16 v[20:21], v25, off offset:32
	s_cbranch_execnz .LBB18_2
	s_branch .LBB18_10
.LBB18_9:                               ;   in Loop: Header=BB18_3 Depth=1
.LBB18_10:                              ;   in Loop: Header=BB18_3 Depth=1
	s_mul_u64 s[24:25], s[8:9], s[2:3]
	s_wait_alu 0xfffe
	s_lshl_b64 s[24:25], s[24:25], 1
	s_wait_alu 0xfffe
	v_add_co_u32 v22, vcc_lo, v16, s24
	s_wait_alu 0xfffd
	v_add_co_ci_u32_e64 v23, null, s25, v17, vcc_lo
	s_delay_alu instid0(VALU_DEP_2) | instskip(SKIP_1) | instid1(VALU_DEP_2)
	v_add_co_u32 v10, vcc_lo, v22, v6
	s_wait_alu 0xfffd
	v_add_co_ci_u32_e64 v11, null, v23, v7, vcc_lo
	v_add_co_u32 v24, vcc_lo, s20, v4
	s_wait_alu 0xfffd
	v_add_co_ci_u32_e64 v25, null, s21, v5, vcc_lo
	global_load_u16 v20, v[10:11], off
	s_wait_loadcnt 0x0
	v_mul_f16_e32 v26, s33, v20
	v_add_co_u32 v20, vcc_lo, v24, v6
	s_wait_alu 0xfffd
	v_add_co_ci_u32_e64 v21, null, v25, v7, vcc_lo
	s_delay_alu instid0(VALU_DEP_3)
	v_fmac_f16_e32 v26, s30, v9
	global_store_b16 v[20:21], v26, off
	global_load_u16 v9, v[10:11], off offset:32
	s_wait_loadcnt 0x0
	v_mul_f16_e32 v11, s33, v9
	v_add_co_u32 v9, vcc_lo, v22, s16
	s_wait_alu 0xfffd
	v_add_co_ci_u32_e64 v10, null, s17, v23, vcc_lo
	s_delay_alu instid0(VALU_DEP_3) | instskip(NEXT) | instid1(VALU_DEP_3)
	v_fmac_f16_e32 v11, s30, v19
	v_add_co_u32 v9, vcc_lo, v9, v6
	s_wait_alu 0xfffd
	s_delay_alu instid0(VALU_DEP_3)
	v_add_co_ci_u32_e64 v10, null, v10, v7, vcc_lo
	global_store_b16 v[20:21], v11, off offset:32
	v_add_co_u32 v19, vcc_lo, v24, s18
	global_load_u16 v11, v[9:10], off
	s_wait_alu 0xfffd
	v_add_co_ci_u32_e64 v20, null, s19, v25, vcc_lo
	v_add_co_u32 v19, vcc_lo, v19, v6
	s_wait_alu 0xfffd
	s_delay_alu instid0(VALU_DEP_2) | instskip(SKIP_2) | instid1(VALU_DEP_1)
	v_add_co_ci_u32_e64 v20, null, v20, v7, vcc_lo
	s_wait_loadcnt 0x0
	v_mul_f16_e32 v11, s33, v11
	v_fmac_f16_e32 v11, s30, v8
	global_store_b16 v[19:20], v11, off
	global_load_u16 v8, v[9:10], off offset:32
	s_wait_loadcnt 0x0
	v_mul_f16_e32 v8, s33, v8
	s_delay_alu instid0(VALU_DEP_1)
	v_fmac_f16_e32 v8, s30, v18
	global_store_b16 v[19:20], v8, off offset:32
	s_branch .LBB18_2
.LBB18_11:
	s_endpgm
	.section	.rodata,"a",@progbits
	.p2align	6, 0x0
	.amdhsa_kernel _ZN12_GLOBAL__N_127rocblas_gemm_batched_kernelIDF16_Li16ELi16ELi32ELi32ELi8ELi32ELi8ELi8ELi32ELc78ELc67EKDF16_S1_DF16_EEvlllT_PT11_llS4_llS2_PT12_llPT13_lli
		.amdhsa_group_segment_fixed_size 1024
		.amdhsa_private_segment_fixed_size 0
		.amdhsa_kernarg_size 140
		.amdhsa_user_sgpr_count 2
		.amdhsa_user_sgpr_dispatch_ptr 0
		.amdhsa_user_sgpr_queue_ptr 0
		.amdhsa_user_sgpr_kernarg_segment_ptr 1
		.amdhsa_user_sgpr_dispatch_id 0
		.amdhsa_user_sgpr_private_segment_size 0
		.amdhsa_wavefront_size32 1
		.amdhsa_uses_dynamic_stack 0
		.amdhsa_enable_private_segment 0
		.amdhsa_system_sgpr_workgroup_id_x 1
		.amdhsa_system_sgpr_workgroup_id_y 1
		.amdhsa_system_sgpr_workgroup_id_z 1
		.amdhsa_system_sgpr_workgroup_info 0
		.amdhsa_system_vgpr_workitem_id 1
		.amdhsa_next_free_vgpr 36
		.amdhsa_next_free_sgpr 38
		.amdhsa_reserve_vcc 1
		.amdhsa_float_round_mode_32 0
		.amdhsa_float_round_mode_16_64 0
		.amdhsa_float_denorm_mode_32 3
		.amdhsa_float_denorm_mode_16_64 3
		.amdhsa_fp16_overflow 0
		.amdhsa_workgroup_processor_mode 1
		.amdhsa_memory_ordered 1
		.amdhsa_forward_progress 1
		.amdhsa_inst_pref_size 14
		.amdhsa_round_robin_scheduling 0
		.amdhsa_exception_fp_ieee_invalid_op 0
		.amdhsa_exception_fp_denorm_src 0
		.amdhsa_exception_fp_ieee_div_zero 0
		.amdhsa_exception_fp_ieee_overflow 0
		.amdhsa_exception_fp_ieee_underflow 0
		.amdhsa_exception_fp_ieee_inexact 0
		.amdhsa_exception_int_div_zero 0
	.end_amdhsa_kernel
	.section	.text._ZN12_GLOBAL__N_127rocblas_gemm_batched_kernelIDF16_Li16ELi16ELi32ELi32ELi8ELi32ELi8ELi8ELi32ELc78ELc67EKDF16_S1_DF16_EEvlllT_PT11_llS4_llS2_PT12_llPT13_lli,"axG",@progbits,_ZN12_GLOBAL__N_127rocblas_gemm_batched_kernelIDF16_Li16ELi16ELi32ELi32ELi8ELi32ELi8ELi8ELi32ELc78ELc67EKDF16_S1_DF16_EEvlllT_PT11_llS4_llS2_PT12_llPT13_lli,comdat
.Lfunc_end18:
	.size	_ZN12_GLOBAL__N_127rocblas_gemm_batched_kernelIDF16_Li16ELi16ELi32ELi32ELi8ELi32ELi8ELi8ELi32ELc78ELc67EKDF16_S1_DF16_EEvlllT_PT11_llS4_llS2_PT12_llPT13_lli, .Lfunc_end18-_ZN12_GLOBAL__N_127rocblas_gemm_batched_kernelIDF16_Li16ELi16ELi32ELi32ELi8ELi32ELi8ELi8ELi32ELc78ELc67EKDF16_S1_DF16_EEvlllT_PT11_llS4_llS2_PT12_llPT13_lli
                                        ; -- End function
	.set _ZN12_GLOBAL__N_127rocblas_gemm_batched_kernelIDF16_Li16ELi16ELi32ELi32ELi8ELi32ELi8ELi8ELi32ELc78ELc67EKDF16_S1_DF16_EEvlllT_PT11_llS4_llS2_PT12_llPT13_lli.num_vgpr, 36
	.set _ZN12_GLOBAL__N_127rocblas_gemm_batched_kernelIDF16_Li16ELi16ELi32ELi32ELi8ELi32ELi8ELi8ELi32ELc78ELc67EKDF16_S1_DF16_EEvlllT_PT11_llS4_llS2_PT12_llPT13_lli.num_agpr, 0
	.set _ZN12_GLOBAL__N_127rocblas_gemm_batched_kernelIDF16_Li16ELi16ELi32ELi32ELi8ELi32ELi8ELi8ELi32ELc78ELc67EKDF16_S1_DF16_EEvlllT_PT11_llS4_llS2_PT12_llPT13_lli.numbered_sgpr, 38
	.set _ZN12_GLOBAL__N_127rocblas_gemm_batched_kernelIDF16_Li16ELi16ELi32ELi32ELi8ELi32ELi8ELi8ELi32ELc78ELc67EKDF16_S1_DF16_EEvlllT_PT11_llS4_llS2_PT12_llPT13_lli.num_named_barrier, 0
	.set _ZN12_GLOBAL__N_127rocblas_gemm_batched_kernelIDF16_Li16ELi16ELi32ELi32ELi8ELi32ELi8ELi8ELi32ELc78ELc67EKDF16_S1_DF16_EEvlllT_PT11_llS4_llS2_PT12_llPT13_lli.private_seg_size, 0
	.set _ZN12_GLOBAL__N_127rocblas_gemm_batched_kernelIDF16_Li16ELi16ELi32ELi32ELi8ELi32ELi8ELi8ELi32ELc78ELc67EKDF16_S1_DF16_EEvlllT_PT11_llS4_llS2_PT12_llPT13_lli.uses_vcc, 1
	.set _ZN12_GLOBAL__N_127rocblas_gemm_batched_kernelIDF16_Li16ELi16ELi32ELi32ELi8ELi32ELi8ELi8ELi32ELc78ELc67EKDF16_S1_DF16_EEvlllT_PT11_llS4_llS2_PT12_llPT13_lli.uses_flat_scratch, 0
	.set _ZN12_GLOBAL__N_127rocblas_gemm_batched_kernelIDF16_Li16ELi16ELi32ELi32ELi8ELi32ELi8ELi8ELi32ELc78ELc67EKDF16_S1_DF16_EEvlllT_PT11_llS4_llS2_PT12_llPT13_lli.has_dyn_sized_stack, 0
	.set _ZN12_GLOBAL__N_127rocblas_gemm_batched_kernelIDF16_Li16ELi16ELi32ELi32ELi8ELi32ELi8ELi8ELi32ELc78ELc67EKDF16_S1_DF16_EEvlllT_PT11_llS4_llS2_PT12_llPT13_lli.has_recursion, 0
	.set _ZN12_GLOBAL__N_127rocblas_gemm_batched_kernelIDF16_Li16ELi16ELi32ELi32ELi8ELi32ELi8ELi8ELi32ELc78ELc67EKDF16_S1_DF16_EEvlllT_PT11_llS4_llS2_PT12_llPT13_lli.has_indirect_call, 0
	.section	.AMDGPU.csdata,"",@progbits
; Kernel info:
; codeLenInByte = 1680
; TotalNumSgprs: 40
; NumVgprs: 36
; ScratchSize: 0
; MemoryBound: 0
; FloatMode: 240
; IeeeMode: 1
; LDSByteSize: 1024 bytes/workgroup (compile time only)
; SGPRBlocks: 0
; VGPRBlocks: 4
; NumSGPRsForWavesPerEU: 40
; NumVGPRsForWavesPerEU: 36
; Occupancy: 16
; WaveLimiterHint : 0
; COMPUTE_PGM_RSRC2:SCRATCH_EN: 0
; COMPUTE_PGM_RSRC2:USER_SGPR: 2
; COMPUTE_PGM_RSRC2:TRAP_HANDLER: 0
; COMPUTE_PGM_RSRC2:TGID_X_EN: 1
; COMPUTE_PGM_RSRC2:TGID_Y_EN: 1
; COMPUTE_PGM_RSRC2:TGID_Z_EN: 1
; COMPUTE_PGM_RSRC2:TIDIG_COMP_CNT: 1
	.section	.text._ZN12_GLOBAL__N_127rocblas_gemm_batched_kernelIDF16_Li16ELi16ELi32ELi32ELi8ELi32ELi8ELi8ELi32ELc84ELc67EKDF16_S1_DF16_EEvlllT_PT11_llS4_llS2_PT12_llPT13_lli,"axG",@progbits,_ZN12_GLOBAL__N_127rocblas_gemm_batched_kernelIDF16_Li16ELi16ELi32ELi32ELi8ELi32ELi8ELi8ELi32ELc84ELc67EKDF16_S1_DF16_EEvlllT_PT11_llS4_llS2_PT12_llPT13_lli,comdat
	.globl	_ZN12_GLOBAL__N_127rocblas_gemm_batched_kernelIDF16_Li16ELi16ELi32ELi32ELi8ELi32ELi8ELi8ELi32ELc84ELc67EKDF16_S1_DF16_EEvlllT_PT11_llS4_llS2_PT12_llPT13_lli ; -- Begin function _ZN12_GLOBAL__N_127rocblas_gemm_batched_kernelIDF16_Li16ELi16ELi32ELi32ELi8ELi32ELi8ELi8ELi32ELc84ELc67EKDF16_S1_DF16_EEvlllT_PT11_llS4_llS2_PT12_llPT13_lli
	.p2align	8
	.type	_ZN12_GLOBAL__N_127rocblas_gemm_batched_kernelIDF16_Li16ELi16ELi32ELi32ELi8ELi32ELi8ELi8ELi32ELc84ELc67EKDF16_S1_DF16_EEvlllT_PT11_llS4_llS2_PT12_llPT13_lli,@function
_ZN12_GLOBAL__N_127rocblas_gemm_batched_kernelIDF16_Li16ELi16ELi32ELi32ELi8ELi32ELi8ELi8ELi32ELc84ELc67EKDF16_S1_DF16_EEvlllT_PT11_llS4_llS2_PT12_llPT13_lli: ; @_ZN12_GLOBAL__N_127rocblas_gemm_batched_kernelIDF16_Li16ELi16ELi32ELi32ELi8ELi32ELi8ELi8ELi32ELc84ELc67EKDF16_S1_DF16_EEvlllT_PT11_llS4_llS2_PT12_llPT13_lli
; %bb.0:
	s_load_b32 s27, s[0:1], 0x88
	s_lshr_b32 s28, ttmp7, 16
	s_wait_kmcnt 0x0
	s_cmp_ge_i32 s28, s27
	s_cbranch_scc1 .LBB19_11
; %bb.1:
	v_bfe_u32 v2, v0, 10, 10
	s_clause 0x1
	s_load_b96 s[24:26], s[0:1], 0x10
	s_load_b128 s[16:19], s[0:1], 0x78
	v_dual_mov_b32 v1, 0 :: v_dual_and_b32 v8, 0x3ff, v0
	s_clause 0x3
	s_load_b256 s[8:15], s[0:1], 0x20
	s_load_b128 s[20:23], s[0:1], 0x40
	s_load_b32 s30, s[0:1], 0x50
	s_load_b256 s[0:7], s[0:1], 0x58
	v_lshlrev_b32_e32 v6, 4, v2
	v_and_b32_e32 v9, 7, v0
	s_lshl_b32 s31, ttmp7, 5
	s_mov_b32 s34, ttmp9
	s_and_b32 s31, s31, 0x1fffe0
	v_add_nc_u32_e32 v3, v6, v8
	v_lshlrev_b32_e32 v4, 1, v9
	v_add_nc_u32_e32 v7, s31, v2
	v_add_nc_u32_e32 v15, 0x200, v6
	s_ashr_i32 s35, ttmp9, 31
	v_and_b32_e32 v10, 31, v3
	v_lshrrev_b32_e32 v0, 3, v3
	v_lshrrev_b32_e32 v18, 5, v3
	s_lshl_b64 s[34:35], s[34:35], 5
	v_lshlrev_b32_e32 v14, 1, v8
	v_lshlrev_b32_e32 v2, 1, v10
	v_lshl_or_b32 v11, v0, 4, v4
	s_wait_kmcnt 0x0
	v_mad_co_u64_u32 v[4:5], null, v7, s16, 0
	v_mad_co_u64_u32 v[0:1], null, s20, v9, v[0:1]
	v_lshl_or_b32 v12, v18, 6, v2
	v_mad_co_u64_u32 v[2:3], null, v7, s2, 0
	v_add_nc_u32_e32 v13, 0x200, v11
	v_mad_co_u64_u32 v[5:6], null, v7, s17, v[5:6]
	s_cmp_eq_f16 s30, 0
	v_add_co_u32 v0, vcc_lo, v0, s31
	v_mad_co_u64_u32 v[6:7], null, v7, s3, v[3:4]
	v_add_co_u32 v7, s36, s34, v8
	s_cselect_b32 s33, -1, 0
	v_add_co_ci_u32_e64 v8, null, s35, 0, s36
	s_lshl_b64 s[36:37], s[2:3], 4
	v_mov_b32_e32 v3, v6
	v_or_b32_e32 v11, s34, v10
	v_mad_co_u64_u32 v[9:10], null, s21, v9, v[1:2]
	s_mul_i32 s2, s10, s35
	v_lshlrev_b64_e32 v[2:3], 1, v[2:3]
	v_mul_lo_u32 v6, s11, v11
	v_mad_co_u64_u32 v[10:11], null, s10, v11, 0
	v_lshlrev_b64_e32 v[4:5], 1, v[4:5]
	v_add_co_ci_u32_e64 v1, null, 0, v9, vcc_lo
	v_add_co_u32 v16, vcc_lo, s0, v2
	s_wait_alu 0xfffd
	v_add_co_ci_u32_e64 v17, null, s1, v3, vcc_lo
	s_wait_alu 0xfffe
	v_add3_u32 v11, v11, s2, v6
	v_lshlrev_b64_e32 v[0:1], 1, v[0:1]
	v_lshlrev_b32_e32 v6, 1, v18
	v_cmp_gt_i64_e64 s0, s[24:25], 0
	v_cndmask_b32_e64 v9, 0, 1, s33
	v_lshlrev_b64_e32 v[2:3], 1, v[10:11]
	s_lshl_b64 s[16:17], s[16:17], 4
	v_add_co_u32 v0, vcc_lo, s14, v0
	s_wait_alu 0xfffd
	v_add_co_ci_u32_e64 v1, null, s15, v1, vcc_lo
	s_delay_alu instid0(VALU_DEP_3) | instskip(SKIP_3) | instid1(VALU_DEP_3)
	v_add_co_u32 v2, vcc_lo, v2, v6
	v_cndmask_b32_e64 v6, 0, 1, s0
	s_wait_alu 0xfffd
	v_add_co_ci_u32_e64 v3, null, 0, v3, vcc_lo
	v_add_co_u32 v2, vcc_lo, s8, v2
	s_delay_alu instid0(VALU_DEP_3)
	v_cmp_ne_u32_e64 s0, 1, v6
	v_lshlrev_b64_e32 v[6:7], 1, v[7:8]
	s_wait_alu 0xfffd
	v_add_co_ci_u32_e64 v3, null, s9, v3, vcc_lo
	v_cmp_ne_u32_e64 s1, 1, v9
	s_mov_b32 s29, 0
	s_lshl_b64 s[2:3], s[22:23], 1
	s_lshl_b64 s[10:11], s[20:21], 4
	;; [unrolled: 1-line block ×4, first 2 shown]
	s_wait_alu 0xfffe
	s_lshl_b64 s[14:15], s[16:17], 1
	s_branch .LBB19_3
.LBB19_2:                               ;   in Loop: Header=BB19_3 Depth=1
	s_add_co_i32 s28, s28, 0x10000
	s_wait_alu 0xfffe
	s_cmp_lt_i32 s28, s27
	s_cbranch_scc0 .LBB19_11
.LBB19_3:                               ; =>This Loop Header: Depth=1
                                        ;     Child Loop BB19_5 Depth 2
	s_and_b32 vcc_lo, exec_lo, s0
	s_wait_alu 0xfffe
	s_cbranch_vccnz .LBB19_6
; %bb.4:                                ;   in Loop: Header=BB19_3 Depth=1
	v_mad_co_u64_u32 v[8:9], null, s2, s28, v[0:1]
	v_mad_co_u64_u32 v[10:11], null, s8, s28, v[2:3]
	s_mov_b64 s[16:17], 0
	v_mad_co_u64_u32 v[19:20], null, s3, s28, v[9:10]
	v_mad_co_u64_u32 v[20:21], null, s9, s28, v[11:12]
	s_delay_alu instid0(VALU_DEP_2) | instskip(SKIP_1) | instid1(VALU_DEP_3)
	v_dual_mov_b32 v18, 0 :: v_dual_mov_b32 v9, v19
	v_mov_b32_e32 v19, 0
	v_mov_b32_e32 v11, v20
.LBB19_5:                               ;   Parent Loop BB19_3 Depth=1
                                        ; =>  This Inner Loop Header: Depth=2
	global_load_u16 v20, v[10:11], off
	global_load_u16 v21, v[8:9], off
	s_wait_alu 0xfffe
	s_add_nc_u64 s[16:17], s[16:17], 8
	v_add_co_u32 v8, vcc_lo, v8, s10
	s_wait_alu 0xfffe
	v_cmp_lt_i64_e64 s20, s[16:17], s[24:25]
	s_wait_alu 0xfffd
	v_add_co_ci_u32_e64 v9, null, s11, v9, vcc_lo
	v_add_co_u32 v10, vcc_lo, v10, 16
	s_wait_alu 0xfffd
	v_add_co_ci_u32_e64 v11, null, 0, v11, vcc_lo
	s_and_b32 vcc_lo, exec_lo, s20
	s_wait_loadcnt 0x1
	ds_store_b16 v12, v20
	s_wait_loadcnt 0x0
	ds_store_b16 v13, v21
	s_wait_dscnt 0x0
	s_barrier_signal -1
	s_barrier_wait -1
	global_inv scope:SCOPE_SE
	ds_load_u16 v28, v14 offset:32
	ds_load_u16 v29, v14 offset:96
	;; [unrolled: 1-line block ×3, first 2 shown]
	ds_load_b128 v[20:23], v15
	ds_load_b128 v[24:27], v15 offset:256
	ds_load_u16 v31, v14 offset:224
	ds_load_u16 v32, v14 offset:288
	;; [unrolled: 1-line block ×5, first 2 shown]
	s_wait_dscnt 0x9
	ds_load_u16_d16_hi v28, v14
	s_wait_dscnt 0x9
	ds_load_u16_d16_hi v29, v14 offset:64
	s_wait_dscnt 0x9
	ds_load_u16_d16_hi v30, v14 offset:128
	;; [unrolled: 2-line block ×7, first 2 shown]
	s_wait_loadcnt_dscnt 0x0
	s_barrier_signal -1
	s_barrier_wait -1
	global_inv scope:SCOPE_SE
	v_pk_fma_f16 v19, v28, v20, v19 op_sel_hi:[1,0,1]
	v_pk_fma_f16 v18, v28, v24, v18 op_sel_hi:[1,0,1]
	s_delay_alu instid0(VALU_DEP_2) | instskip(NEXT) | instid1(VALU_DEP_2)
	v_pk_fma_f16 v19, v29, v20, v19 op_sel:[0,1,0]
	v_pk_fma_f16 v18, v29, v24, v18 op_sel:[0,1,0]
	s_delay_alu instid0(VALU_DEP_2) | instskip(NEXT) | instid1(VALU_DEP_2)
	v_pk_fma_f16 v19, v30, v21, v19 op_sel_hi:[1,0,1]
	v_pk_fma_f16 v18, v30, v25, v18 op_sel_hi:[1,0,1]
	s_delay_alu instid0(VALU_DEP_2) | instskip(NEXT) | instid1(VALU_DEP_2)
	v_pk_fma_f16 v19, v31, v21, v19 op_sel:[0,1,0]
	v_pk_fma_f16 v18, v31, v25, v18 op_sel:[0,1,0]
	s_delay_alu instid0(VALU_DEP_2) | instskip(NEXT) | instid1(VALU_DEP_2)
	;; [unrolled: 6-line block ×3, first 2 shown]
	v_pk_fma_f16 v19, v34, v23, v19 op_sel_hi:[1,0,1]
	v_pk_fma_f16 v18, v34, v27, v18 op_sel_hi:[1,0,1]
	s_delay_alu instid0(VALU_DEP_2) | instskip(NEXT) | instid1(VALU_DEP_2)
	v_pk_fma_f16 v19, v35, v23, v19 op_sel:[0,1,0]
	v_pk_fma_f16 v18, v35, v27, v18 op_sel:[0,1,0]
	s_wait_alu 0xfffe
	s_cbranch_vccnz .LBB19_5
	s_branch .LBB19_7
.LBB19_6:                               ;   in Loop: Header=BB19_3 Depth=1
	v_dual_mov_b32 v19, 0 :: v_dual_mov_b32 v18, 0
.LBB19_7:                               ;   in Loop: Header=BB19_3 Depth=1
	s_mul_u64 s[16:17], s[18:19], s[28:29]
	s_delay_alu instid0(VALU_DEP_1) | instskip(NEXT) | instid1(VALU_DEP_2)
	v_lshrrev_b32_e32 v9, 16, v19
	v_lshrrev_b32_e32 v8, 16, v18
	s_wait_alu 0xfffe
	s_lshl_b64 s[16:17], s[16:17], 1
	s_and_b32 vcc_lo, exec_lo, s1
	s_wait_alu 0xfffe
	s_add_nc_u64 s[16:17], s[6:7], s[16:17]
	s_cbranch_vccnz .LBB19_9
; %bb.8:                                ;   in Loop: Header=BB19_3 Depth=1
	s_wait_alu 0xfffe
	v_add_co_u32 v20, vcc_lo, s16, v4
	s_wait_alu 0xfffd
	v_add_co_ci_u32_e64 v21, null, s17, v5, vcc_lo
	v_mul_f16_e32 v22, s26, v9
	s_delay_alu instid0(VALU_DEP_3) | instskip(SKIP_1) | instid1(VALU_DEP_3)
	v_add_co_u32 v10, vcc_lo, v20, v6
	s_wait_alu 0xfffd
	v_add_co_ci_u32_e64 v11, null, v21, v7, vcc_lo
	v_add_co_u32 v20, vcc_lo, v20, s14
	s_wait_alu 0xfffd
	v_add_co_ci_u32_e64 v21, null, s15, v21, vcc_lo
	v_mul_f16_e32 v24, s26, v8
	s_delay_alu instid0(VALU_DEP_3) | instskip(SKIP_1) | instid1(VALU_DEP_3)
	v_add_co_u32 v20, vcc_lo, v20, v6
	s_wait_alu 0xfffd
	v_add_co_ci_u32_e64 v21, null, v21, v7, vcc_lo
	v_mul_f16_e32 v23, s26, v19
	v_mul_f16_e32 v25, s26, v18
	s_clause 0x3
	global_store_b16 v[10:11], v22, off
	global_store_b16 v[10:11], v23, off offset:32
	global_store_b16 v[20:21], v24, off
	global_store_b16 v[20:21], v25, off offset:32
	s_cbranch_execnz .LBB19_2
	s_branch .LBB19_10
.LBB19_9:                               ;   in Loop: Header=BB19_3 Depth=1
.LBB19_10:                              ;   in Loop: Header=BB19_3 Depth=1
	s_mul_u64 s[20:21], s[4:5], s[28:29]
	s_wait_alu 0xfffe
	s_lshl_b64 s[20:21], s[20:21], 1
	s_wait_alu 0xfffe
	v_add_co_u32 v22, vcc_lo, v16, s20
	s_wait_alu 0xfffd
	v_add_co_ci_u32_e64 v23, null, s21, v17, vcc_lo
	s_delay_alu instid0(VALU_DEP_2) | instskip(SKIP_1) | instid1(VALU_DEP_2)
	v_add_co_u32 v10, vcc_lo, v22, v6
	s_wait_alu 0xfffd
	v_add_co_ci_u32_e64 v11, null, v23, v7, vcc_lo
	v_add_co_u32 v24, vcc_lo, s16, v4
	s_wait_alu 0xfffd
	v_add_co_ci_u32_e64 v25, null, s17, v5, vcc_lo
	global_load_u16 v20, v[10:11], off
	s_wait_loadcnt 0x0
	v_mul_f16_e32 v26, s30, v20
	v_add_co_u32 v20, vcc_lo, v24, v6
	s_wait_alu 0xfffd
	v_add_co_ci_u32_e64 v21, null, v25, v7, vcc_lo
	s_delay_alu instid0(VALU_DEP_3)
	v_fmac_f16_e32 v26, s26, v9
	global_store_b16 v[20:21], v26, off
	global_load_u16 v9, v[10:11], off offset:32
	s_wait_loadcnt 0x0
	v_mul_f16_e32 v11, s30, v9
	v_add_co_u32 v9, vcc_lo, v22, s12
	s_wait_alu 0xfffd
	v_add_co_ci_u32_e64 v10, null, s13, v23, vcc_lo
	s_delay_alu instid0(VALU_DEP_3) | instskip(NEXT) | instid1(VALU_DEP_3)
	v_fmac_f16_e32 v11, s26, v19
	v_add_co_u32 v9, vcc_lo, v9, v6
	s_wait_alu 0xfffd
	s_delay_alu instid0(VALU_DEP_3)
	v_add_co_ci_u32_e64 v10, null, v10, v7, vcc_lo
	global_store_b16 v[20:21], v11, off offset:32
	v_add_co_u32 v19, vcc_lo, v24, s14
	global_load_u16 v11, v[9:10], off
	s_wait_alu 0xfffd
	v_add_co_ci_u32_e64 v20, null, s15, v25, vcc_lo
	v_add_co_u32 v19, vcc_lo, v19, v6
	s_wait_alu 0xfffd
	s_delay_alu instid0(VALU_DEP_2) | instskip(SKIP_2) | instid1(VALU_DEP_1)
	v_add_co_ci_u32_e64 v20, null, v20, v7, vcc_lo
	s_wait_loadcnt 0x0
	v_mul_f16_e32 v11, s30, v11
	v_fmac_f16_e32 v11, s26, v8
	global_store_b16 v[19:20], v11, off
	global_load_u16 v8, v[9:10], off offset:32
	s_wait_loadcnt 0x0
	v_mul_f16_e32 v8, s30, v8
	s_delay_alu instid0(VALU_DEP_1)
	v_fmac_f16_e32 v8, s26, v18
	global_store_b16 v[19:20], v8, off offset:32
	s_branch .LBB19_2
.LBB19_11:
	s_endpgm
	.section	.rodata,"a",@progbits
	.p2align	6, 0x0
	.amdhsa_kernel _ZN12_GLOBAL__N_127rocblas_gemm_batched_kernelIDF16_Li16ELi16ELi32ELi32ELi8ELi32ELi8ELi8ELi32ELc84ELc67EKDF16_S1_DF16_EEvlllT_PT11_llS4_llS2_PT12_llPT13_lli
		.amdhsa_group_segment_fixed_size 1024
		.amdhsa_private_segment_fixed_size 0
		.amdhsa_kernarg_size 140
		.amdhsa_user_sgpr_count 2
		.amdhsa_user_sgpr_dispatch_ptr 0
		.amdhsa_user_sgpr_queue_ptr 0
		.amdhsa_user_sgpr_kernarg_segment_ptr 1
		.amdhsa_user_sgpr_dispatch_id 0
		.amdhsa_user_sgpr_private_segment_size 0
		.amdhsa_wavefront_size32 1
		.amdhsa_uses_dynamic_stack 0
		.amdhsa_enable_private_segment 0
		.amdhsa_system_sgpr_workgroup_id_x 1
		.amdhsa_system_sgpr_workgroup_id_y 1
		.amdhsa_system_sgpr_workgroup_id_z 1
		.amdhsa_system_sgpr_workgroup_info 0
		.amdhsa_system_vgpr_workitem_id 1
		.amdhsa_next_free_vgpr 36
		.amdhsa_next_free_sgpr 38
		.amdhsa_reserve_vcc 1
		.amdhsa_float_round_mode_32 0
		.amdhsa_float_round_mode_16_64 0
		.amdhsa_float_denorm_mode_32 3
		.amdhsa_float_denorm_mode_16_64 3
		.amdhsa_fp16_overflow 0
		.amdhsa_workgroup_processor_mode 1
		.amdhsa_memory_ordered 1
		.amdhsa_forward_progress 1
		.amdhsa_inst_pref_size 14
		.amdhsa_round_robin_scheduling 0
		.amdhsa_exception_fp_ieee_invalid_op 0
		.amdhsa_exception_fp_denorm_src 0
		.amdhsa_exception_fp_ieee_div_zero 0
		.amdhsa_exception_fp_ieee_overflow 0
		.amdhsa_exception_fp_ieee_underflow 0
		.amdhsa_exception_fp_ieee_inexact 0
		.amdhsa_exception_int_div_zero 0
	.end_amdhsa_kernel
	.section	.text._ZN12_GLOBAL__N_127rocblas_gemm_batched_kernelIDF16_Li16ELi16ELi32ELi32ELi8ELi32ELi8ELi8ELi32ELc84ELc67EKDF16_S1_DF16_EEvlllT_PT11_llS4_llS2_PT12_llPT13_lli,"axG",@progbits,_ZN12_GLOBAL__N_127rocblas_gemm_batched_kernelIDF16_Li16ELi16ELi32ELi32ELi8ELi32ELi8ELi8ELi32ELc84ELc67EKDF16_S1_DF16_EEvlllT_PT11_llS4_llS2_PT12_llPT13_lli,comdat
.Lfunc_end19:
	.size	_ZN12_GLOBAL__N_127rocblas_gemm_batched_kernelIDF16_Li16ELi16ELi32ELi32ELi8ELi32ELi8ELi8ELi32ELc84ELc67EKDF16_S1_DF16_EEvlllT_PT11_llS4_llS2_PT12_llPT13_lli, .Lfunc_end19-_ZN12_GLOBAL__N_127rocblas_gemm_batched_kernelIDF16_Li16ELi16ELi32ELi32ELi8ELi32ELi8ELi8ELi32ELc84ELc67EKDF16_S1_DF16_EEvlllT_PT11_llS4_llS2_PT12_llPT13_lli
                                        ; -- End function
	.set _ZN12_GLOBAL__N_127rocblas_gemm_batched_kernelIDF16_Li16ELi16ELi32ELi32ELi8ELi32ELi8ELi8ELi32ELc84ELc67EKDF16_S1_DF16_EEvlllT_PT11_llS4_llS2_PT12_llPT13_lli.num_vgpr, 36
	.set _ZN12_GLOBAL__N_127rocblas_gemm_batched_kernelIDF16_Li16ELi16ELi32ELi32ELi8ELi32ELi8ELi8ELi32ELc84ELc67EKDF16_S1_DF16_EEvlllT_PT11_llS4_llS2_PT12_llPT13_lli.num_agpr, 0
	.set _ZN12_GLOBAL__N_127rocblas_gemm_batched_kernelIDF16_Li16ELi16ELi32ELi32ELi8ELi32ELi8ELi8ELi32ELc84ELc67EKDF16_S1_DF16_EEvlllT_PT11_llS4_llS2_PT12_llPT13_lli.numbered_sgpr, 38
	.set _ZN12_GLOBAL__N_127rocblas_gemm_batched_kernelIDF16_Li16ELi16ELi32ELi32ELi8ELi32ELi8ELi8ELi32ELc84ELc67EKDF16_S1_DF16_EEvlllT_PT11_llS4_llS2_PT12_llPT13_lli.num_named_barrier, 0
	.set _ZN12_GLOBAL__N_127rocblas_gemm_batched_kernelIDF16_Li16ELi16ELi32ELi32ELi8ELi32ELi8ELi8ELi32ELc84ELc67EKDF16_S1_DF16_EEvlllT_PT11_llS4_llS2_PT12_llPT13_lli.private_seg_size, 0
	.set _ZN12_GLOBAL__N_127rocblas_gemm_batched_kernelIDF16_Li16ELi16ELi32ELi32ELi8ELi32ELi8ELi8ELi32ELc84ELc67EKDF16_S1_DF16_EEvlllT_PT11_llS4_llS2_PT12_llPT13_lli.uses_vcc, 1
	.set _ZN12_GLOBAL__N_127rocblas_gemm_batched_kernelIDF16_Li16ELi16ELi32ELi32ELi8ELi32ELi8ELi8ELi32ELc84ELc67EKDF16_S1_DF16_EEvlllT_PT11_llS4_llS2_PT12_llPT13_lli.uses_flat_scratch, 0
	.set _ZN12_GLOBAL__N_127rocblas_gemm_batched_kernelIDF16_Li16ELi16ELi32ELi32ELi8ELi32ELi8ELi8ELi32ELc84ELc67EKDF16_S1_DF16_EEvlllT_PT11_llS4_llS2_PT12_llPT13_lli.has_dyn_sized_stack, 0
	.set _ZN12_GLOBAL__N_127rocblas_gemm_batched_kernelIDF16_Li16ELi16ELi32ELi32ELi8ELi32ELi8ELi8ELi32ELc84ELc67EKDF16_S1_DF16_EEvlllT_PT11_llS4_llS2_PT12_llPT13_lli.has_recursion, 0
	.set _ZN12_GLOBAL__N_127rocblas_gemm_batched_kernelIDF16_Li16ELi16ELi32ELi32ELi8ELi32ELi8ELi8ELi32ELc84ELc67EKDF16_S1_DF16_EEvlllT_PT11_llS4_llS2_PT12_llPT13_lli.has_indirect_call, 0
	.section	.AMDGPU.csdata,"",@progbits
; Kernel info:
; codeLenInByte = 1680
; TotalNumSgprs: 40
; NumVgprs: 36
; ScratchSize: 0
; MemoryBound: 0
; FloatMode: 240
; IeeeMode: 1
; LDSByteSize: 1024 bytes/workgroup (compile time only)
; SGPRBlocks: 0
; VGPRBlocks: 4
; NumSGPRsForWavesPerEU: 40
; NumVGPRsForWavesPerEU: 36
; Occupancy: 16
; WaveLimiterHint : 0
; COMPUTE_PGM_RSRC2:SCRATCH_EN: 0
; COMPUTE_PGM_RSRC2:USER_SGPR: 2
; COMPUTE_PGM_RSRC2:TRAP_HANDLER: 0
; COMPUTE_PGM_RSRC2:TGID_X_EN: 1
; COMPUTE_PGM_RSRC2:TGID_Y_EN: 1
; COMPUTE_PGM_RSRC2:TGID_Z_EN: 1
; COMPUTE_PGM_RSRC2:TIDIG_COMP_CNT: 1
	.section	.text._ZN12_GLOBAL__N_135rocblas_gemm_batched_general_kernelIDF16_Li16ELi16ELi32ELi32ELi8ELi32ELi8ELi8ELi32ELc78ELc78EKDF16_S1_DF16_EEvlllT_PT11_llS4_llS2_PT12_llPT13_lli,"axG",@progbits,_ZN12_GLOBAL__N_135rocblas_gemm_batched_general_kernelIDF16_Li16ELi16ELi32ELi32ELi8ELi32ELi8ELi8ELi32ELc78ELc78EKDF16_S1_DF16_EEvlllT_PT11_llS4_llS2_PT12_llPT13_lli,comdat
	.globl	_ZN12_GLOBAL__N_135rocblas_gemm_batched_general_kernelIDF16_Li16ELi16ELi32ELi32ELi8ELi32ELi8ELi8ELi32ELc78ELc78EKDF16_S1_DF16_EEvlllT_PT11_llS4_llS2_PT12_llPT13_lli ; -- Begin function _ZN12_GLOBAL__N_135rocblas_gemm_batched_general_kernelIDF16_Li16ELi16ELi32ELi32ELi8ELi32ELi8ELi8ELi32ELc78ELc78EKDF16_S1_DF16_EEvlllT_PT11_llS4_llS2_PT12_llPT13_lli
	.p2align	8
	.type	_ZN12_GLOBAL__N_135rocblas_gemm_batched_general_kernelIDF16_Li16ELi16ELi32ELi32ELi8ELi32ELi8ELi8ELi32ELc78ELc78EKDF16_S1_DF16_EEvlllT_PT11_llS4_llS2_PT12_llPT13_lli,@function
_ZN12_GLOBAL__N_135rocblas_gemm_batched_general_kernelIDF16_Li16ELi16ELi32ELi32ELi8ELi32ELi8ELi8ELi32ELc78ELc78EKDF16_S1_DF16_EEvlllT_PT11_llS4_llS2_PT12_llPT13_lli: ; @_ZN12_GLOBAL__N_135rocblas_gemm_batched_general_kernelIDF16_Li16ELi16ELi32ELi32ELi8ELi32ELi8ELi8ELi32ELc78ELc78EKDF16_S1_DF16_EEvlllT_PT11_llS4_llS2_PT12_llPT13_lli
; %bb.0:
	s_load_b32 s33, s[0:1], 0x88
	s_lshr_b32 s34, ttmp7, 16
	s_wait_kmcnt 0x0
	s_cmp_ge_i32 s34, s33
	s_cbranch_scc1 .LBB20_35
; %bb.1:
	v_bfe_u32 v2, v0, 10, 10
	s_mov_b32 s40, ttmp9
	s_ashr_i32 s41, ttmp9, 31
	v_and_b32_e32 v3, 0x3ff, v0
	s_lshl_b64 s[2:3], s[40:41], 5
	s_delay_alu instid0(SALU_CYCLE_1)
	v_dual_mov_b32 v1, s3 :: v_dual_lshlrev_b32 v6, 4, v2
	s_clause 0x6
	s_load_b128 s[28:31], s[0:1], 0x0
	s_load_b96 s[36:38], s[0:1], 0x10
	s_load_b256 s[16:23], s[0:1], 0x20
	s_load_b128 s[4:7], s[0:1], 0x40
	s_load_b32 s39, s[0:1], 0x50
	s_load_b128 s[24:27], s[0:1], 0x78
	s_load_b256 s[8:15], s[0:1], 0x58
	v_add_nc_u32_e32 v4, v6, v3
	s_and_b32 s0, ttmp7, 0xffff
	v_and_b32_e32 v12, 7, v0
	s_lshl_b32 s42, s0, 5
	v_lshlrev_b32_e32 v16, 1, v3
	v_and_b32_e32 v5, 31, v4
	v_lshrrev_b32_e32 v7, 3, v4
	v_lshrrev_b32_e32 v13, 5, v4
	v_add_nc_u32_e32 v17, 0x200, v6
	s_mov_b32 s35, 0
	v_or_b32_e32 v0, s2, v5
	v_add_co_u32 v4, s0, v7, s42
	v_lshlrev_b32_e32 v23, 1, v5
	v_add_co_ci_u32_e64 v5, null, 0, 0, s0
	s_wait_kmcnt 0x0
	v_cmp_gt_i64_e64 s0, s[28:29], v[0:1]
	v_add_co_u32 v0, s2, s2, v3
	s_wait_alu 0xf1ff
	v_add_co_ci_u32_e64 v1, null, s3, 0, s2
	v_cmp_gt_i64_e64 s1, s[30:31], v[4:5]
	s_delay_alu instid0(VALU_DEP_3) | instskip(SKIP_1) | instid1(VALU_DEP_4)
	v_add_co_u32 v9, vcc_lo, v0, 16
	v_add_co_u32 v5, s42, s42, v2
	v_add_co_ci_u32_e64 v10, null, 0, v1, vcc_lo
	v_mad_co_u64_u32 v[18:19], null, s4, v4, 0
	s_delay_alu instid0(VALU_DEP_3) | instskip(NEXT) | instid1(VALU_DEP_3)
	v_mad_co_u64_u32 v[2:3], null, v5, s24, 0
	v_cmp_gt_i64_e64 s4, s[28:29], v[9:10]
	v_mad_co_u64_u32 v[9:10], null, s18, v13, 0
	s_wait_alu 0xf1ff
	v_add_co_ci_u32_e64 v6, null, 0, 0, s42
	v_mov_b32_e32 v11, v19
	v_mad_co_u64_u32 v[19:20], null, v5, s25, v[3:4]
	s_delay_alu instid0(VALU_DEP_3) | instskip(SKIP_4) | instid1(VALU_DEP_3)
	v_cmp_gt_i64_e64 s2, s[30:31], v[5:6]
	v_dual_mov_b32 v3, v10 :: v_dual_lshlrev_b32 v24, 1, v12
	s_cmp_eq_f16 s39, 0
	v_cmp_gt_i64_e64 s3, s[28:29], v[0:1]
	v_lshl_or_b32 v14, v13, 6, v23
	v_lshl_or_b32 v7, v7, 4, v24
	s_cselect_b32 s42, -1, 0
	s_lshl_b64 s[28:29], s[10:11], 4
	s_lshl_b64 s[24:25], s[24:25], 4
	s_lshl_b64 s[6:7], s[6:7], 1
	v_add_nc_u32_e32 v15, 0x200, v7
	v_mad_co_u64_u32 v[7:8], null, v5, s10, 0
	s_delay_alu instid0(VALU_DEP_1) | instskip(SKIP_4) | instid1(VALU_DEP_4)
	v_mad_co_u64_u32 v[20:21], null, v5, s11, v[8:9]
	v_mad_co_u64_u32 v[21:22], null, s5, v4, v[11:12]
	v_add_co_u32 v4, vcc_lo, v5, 16
	s_wait_alu 0xfffd
	v_add_co_ci_u32_e64 v5, null, 0, v6, vcc_lo
	v_mov_b32_e32 v8, v20
	s_delay_alu instid0(VALU_DEP_3) | instskip(NEXT) | instid1(VALU_DEP_3)
	v_mad_co_u64_u32 v[10:11], null, s19, v13, v[3:4]
	v_cmp_gt_i64_e64 s5, s[30:31], v[4:5]
	v_mov_b32_e32 v3, v19
	s_delay_alu instid0(VALU_DEP_4) | instskip(SKIP_2) | instid1(VALU_DEP_1)
	v_lshlrev_b64_e32 v[4:5], 1, v[7:8]
	v_mov_b32_e32 v19, v21
	s_lshl_b64 s[10:11], s[18:19], 4
	v_lshlrev_b64_e32 v[6:7], 1, v[18:19]
	s_delay_alu instid0(VALU_DEP_3) | instskip(SKIP_3) | instid1(VALU_DEP_4)
	v_add_co_u32 v18, vcc_lo, s8, v4
	s_wait_alu 0xfffd
	v_add_co_ci_u32_e64 v19, null, s9, v5, vcc_lo
	v_lshlrev_b64_e32 v[4:5], 1, v[9:10]
	v_add_co_u32 v6, vcc_lo, v6, v24
	s_lshl_b64 s[8:9], s[40:41], 6
	s_wait_alu 0xfffd
	v_add_co_ci_u32_e64 v7, null, 0, v7, vcc_lo
	s_wait_alu 0xfffe
	v_add_co_u32 v8, vcc_lo, v4, s8
	s_wait_alu 0xfffd
	v_add_co_ci_u32_e64 v9, null, s9, v5, vcc_lo
	v_add_co_u32 v4, vcc_lo, s22, v6
	s_wait_alu 0xfffd
	v_add_co_ci_u32_e64 v5, null, s23, v7, vcc_lo
	;; [unrolled: 3-line block ×3, first 2 shown]
	v_cmp_gt_i64_e64 s22, s[36:37], 0
	s_delay_alu instid0(VALU_DEP_3) | instskip(SKIP_1) | instid1(VALU_DEP_3)
	v_add_co_u32 v6, vcc_lo, s16, v6
	s_wait_alu 0xfffd
	v_add_co_ci_u32_e64 v7, null, s17, v7, vcc_lo
	s_lshl_b64 s[8:9], s[20:21], 1
	s_lshl_b64 s[16:17], s[28:29], 1
	s_branch .LBB20_4
.LBB20_2:                               ;   in Loop: Header=BB20_4 Depth=1
	s_wait_alu 0xfffe
	s_or_b32 exec_lo, exec_lo, s20
.LBB20_3:                               ;   in Loop: Header=BB20_4 Depth=1
	s_add_co_i32 s34, s34, 0x10000
	s_wait_alu 0xfffe
	s_cmp_lt_i32 s34, s33
	s_cbranch_scc0 .LBB20_35
.LBB20_4:                               ; =>This Loop Header: Depth=1
                                        ;     Child Loop BB20_7 Depth 2
	s_and_not1_b32 vcc_lo, exec_lo, s22
	s_wait_alu 0xfffe
	s_cbranch_vccnz .LBB20_11
; %bb.5:                                ;   in Loop: Header=BB20_4 Depth=1
	v_mad_co_u64_u32 v[8:9], null, s6, s34, v[4:5]
	v_mad_co_u64_u32 v[10:11], null, s8, s34, v[6:7]
	s_mov_b64 s[18:19], 0
	v_mad_co_u64_u32 v[20:21], null, s7, s34, v[9:10]
	v_mad_co_u64_u32 v[22:23], null, s9, s34, v[11:12]
	v_mov_b32_e32 v21, 0
	s_delay_alu instid0(VALU_DEP_3) | instskip(NEXT) | instid1(VALU_DEP_3)
	v_dual_mov_b32 v9, v20 :: v_dual_mov_b32 v20, 0
	v_mov_b32_e32 v11, v22
	s_branch .LBB20_7
.LBB20_6:                               ;   in Loop: Header=BB20_7 Depth=2
	s_wait_alu 0xfffe
	s_or_b32 exec_lo, exec_lo, s20
	s_wait_loadcnt 0x0
	ds_store_b16 v15, v23
	s_wait_dscnt 0x0
	s_barrier_signal -1
	s_barrier_wait -1
	global_inv scope:SCOPE_SE
	ds_load_u16 v30, v16
	ds_load_u16 v31, v16 offset:64
	ds_load_u16 v32, v16 offset:128
	;; [unrolled: 1-line block ×7, first 2 shown]
	s_add_nc_u64 s[18:19], s[18:19], 8
	v_add_co_u32 v8, vcc_lo, v8, 16
	s_wait_alu 0xfffe
	v_cmp_lt_i64_e64 s20, s[18:19], s[36:37]
	s_wait_alu 0xfffd
	v_add_co_ci_u32_e64 v9, null, 0, v9, vcc_lo
	v_add_co_u32 v10, vcc_lo, v10, s10
	s_wait_alu 0xfffd
	v_add_co_ci_u32_e64 v11, null, s11, v11, vcc_lo
	s_and_b32 vcc_lo, exec_lo, s20
	s_wait_dscnt 0x7
	ds_load_u16_d16_hi v30, v16 offset:32
	ds_load_b128 v[22:25], v17
	ds_load_b128 v[26:29], v17 offset:256
	s_wait_dscnt 0x9
	ds_load_u16_d16_hi v31, v16 offset:96
	s_wait_dscnt 0x9
	ds_load_u16_d16_hi v32, v16 offset:160
	;; [unrolled: 2-line block ×7, first 2 shown]
	s_wait_loadcnt_dscnt 0x0
	s_barrier_signal -1
	s_barrier_wait -1
	global_inv scope:SCOPE_SE
	v_pk_fma_f16 v21, v30, v22, v21 op_sel_hi:[1,0,1]
	v_pk_fma_f16 v20, v30, v26, v20 op_sel_hi:[1,0,1]
	s_delay_alu instid0(VALU_DEP_2) | instskip(NEXT) | instid1(VALU_DEP_2)
	v_pk_fma_f16 v21, v31, v22, v21 op_sel:[0,1,0]
	v_pk_fma_f16 v20, v31, v26, v20 op_sel:[0,1,0]
	s_delay_alu instid0(VALU_DEP_2) | instskip(NEXT) | instid1(VALU_DEP_2)
	v_pk_fma_f16 v21, v32, v23, v21 op_sel_hi:[1,0,1]
	v_pk_fma_f16 v20, v32, v27, v20 op_sel_hi:[1,0,1]
	s_delay_alu instid0(VALU_DEP_2) | instskip(NEXT) | instid1(VALU_DEP_2)
	v_pk_fma_f16 v21, v33, v23, v21 op_sel:[0,1,0]
	v_pk_fma_f16 v20, v33, v27, v20 op_sel:[0,1,0]
	s_delay_alu instid0(VALU_DEP_2) | instskip(NEXT) | instid1(VALU_DEP_2)
	;; [unrolled: 6-line block ×3, first 2 shown]
	v_pk_fma_f16 v21, v36, v25, v21 op_sel_hi:[1,0,1]
	v_pk_fma_f16 v20, v36, v29, v20 op_sel_hi:[1,0,1]
	s_delay_alu instid0(VALU_DEP_2) | instskip(NEXT) | instid1(VALU_DEP_2)
	v_pk_fma_f16 v21, v37, v25, v21 op_sel:[0,1,0]
	v_pk_fma_f16 v20, v37, v29, v20 op_sel:[0,1,0]
	s_wait_alu 0xfffe
	s_cbranch_vccz .LBB20_12
.LBB20_7:                               ;   Parent Loop BB20_4 Depth=1
                                        ; =>  This Inner Loop Header: Depth=2
	s_wait_alu 0xfffe
	v_add_co_u32 v22, s20, v13, s18
	s_wait_alu 0xf1ff
	v_add_co_ci_u32_e64 v23, null, 0, s19, s20
	s_delay_alu instid0(VALU_DEP_1)
	v_cmp_gt_i64_e32 vcc_lo, s[36:37], v[22:23]
	v_mov_b32_e32 v22, 0
	s_and_b32 s21, s0, vcc_lo
	s_wait_alu 0xfffe
	s_and_saveexec_b32 s20, s21
	s_cbranch_execz .LBB20_9
; %bb.8:                                ;   in Loop: Header=BB20_7 Depth=2
	global_load_u16 v22, v[10:11], off
.LBB20_9:                               ;   in Loop: Header=BB20_7 Depth=2
	s_wait_alu 0xfffe
	s_or_b32 exec_lo, exec_lo, s20
	v_add_co_u32 v23, s20, v12, s18
	s_wait_alu 0xf1ff
	v_add_co_ci_u32_e64 v24, null, 0, s19, s20
	s_wait_loadcnt 0x0
	ds_store_b16 v14, v22
	v_cmp_gt_i64_e32 vcc_lo, s[36:37], v[23:24]
	v_mov_b32_e32 v23, 0
	s_and_b32 s21, vcc_lo, s1
	s_wait_alu 0xfffe
	s_and_saveexec_b32 s20, s21
	s_cbranch_execz .LBB20_6
; %bb.10:                               ;   in Loop: Header=BB20_7 Depth=2
	global_load_u16 v23, v[8:9], off
	s_branch .LBB20_6
.LBB20_11:                              ;   in Loop: Header=BB20_4 Depth=1
	v_dual_mov_b32 v21, 0 :: v_dual_mov_b32 v20, 0
.LBB20_12:                              ;   in Loop: Header=BB20_4 Depth=1
	s_mul_u64 s[18:19], s[26:27], s[34:35]
	s_and_not1_b32 vcc_lo, exec_lo, s42
	s_wait_alu 0xfffe
	s_lshl_b64 s[18:19], s[18:19], 1
	s_wait_alu 0xfffe
	s_add_nc_u64 s[18:19], s[14:15], s[18:19]
	s_cbranch_vccnz .LBB20_17
; %bb.13:                               ;   in Loop: Header=BB20_4 Depth=1
	s_and_saveexec_b32 s20, s2
	s_cbranch_execz .LBB20_24
; %bb.14:                               ;   in Loop: Header=BB20_4 Depth=1
	v_lshlrev_b64_e32 v[8:9], 1, v[2:3]
	s_wait_alu 0xfffe
	s_delay_alu instid0(VALU_DEP_1) | instskip(SKIP_1) | instid1(VALU_DEP_2)
	v_add_co_u32 v8, vcc_lo, s18, v8
	s_wait_alu 0xfffd
	v_add_co_ci_u32_e64 v9, null, s19, v9, vcc_lo
	s_and_saveexec_b32 s21, s3
	s_cbranch_execnz .LBB20_18
; %bb.15:                               ;   in Loop: Header=BB20_4 Depth=1
	s_wait_alu 0xfffe
	s_or_b32 exec_lo, exec_lo, s21
	s_and_saveexec_b32 s21, s4
	s_cbranch_execnz .LBB20_19
.LBB20_16:                              ;   in Loop: Header=BB20_4 Depth=1
	s_wait_alu 0xfffe
	s_or_b32 exec_lo, exec_lo, s21
	s_delay_alu instid0(SALU_CYCLE_1)
	s_and_b32 exec_lo, exec_lo, s5
	s_cbranch_execnz .LBB20_20
	s_branch .LBB20_24
.LBB20_17:                              ;   in Loop: Header=BB20_4 Depth=1
	s_branch .LBB20_25
.LBB20_18:                              ;   in Loop: Header=BB20_4 Depth=1
	v_lshlrev_b64_e32 v[10:11], 1, v[0:1]
	v_mul_f16_e32 v22, s38, v21
	s_delay_alu instid0(VALU_DEP_2) | instskip(SKIP_1) | instid1(VALU_DEP_3)
	v_add_co_u32 v10, vcc_lo, v8, v10
	s_wait_alu 0xfffd
	v_add_co_ci_u32_e64 v11, null, v9, v11, vcc_lo
	global_store_b16 v[10:11], v22, off
	s_wait_alu 0xfffe
	s_or_b32 exec_lo, exec_lo, s21
	s_and_saveexec_b32 s21, s4
	s_cbranch_execz .LBB20_16
.LBB20_19:                              ;   in Loop: Header=BB20_4 Depth=1
	v_lshlrev_b64_e32 v[10:11], 1, v[0:1]
	v_lshrrev_b32_e32 v22, 16, v21
	s_delay_alu instid0(VALU_DEP_1) | instskip(NEXT) | instid1(VALU_DEP_3)
	v_mul_f16_e32 v22, s38, v22
	v_add_co_u32 v10, vcc_lo, v8, v10
	s_wait_alu 0xfffd
	s_delay_alu instid0(VALU_DEP_4) | instskip(SKIP_3) | instid1(SALU_CYCLE_1)
	v_add_co_ci_u32_e64 v11, null, v9, v11, vcc_lo
	global_store_b16 v[10:11], v22, off offset:32
	s_wait_alu 0xfffe
	s_or_b32 exec_lo, exec_lo, s21
	s_and_b32 exec_lo, exec_lo, s5
	s_cbranch_execz .LBB20_24
.LBB20_20:                              ;   in Loop: Header=BB20_4 Depth=1
	s_lshl_b64 s[28:29], s[24:25], 1
	v_lshlrev_b64_e32 v[10:11], 1, v[0:1]
	s_wait_alu 0xfffe
	v_add_co_u32 v8, vcc_lo, v8, s28
	s_wait_alu 0xfffd
	v_add_co_ci_u32_e64 v9, null, s29, v9, vcc_lo
	s_delay_alu instid0(VALU_DEP_2) | instskip(SKIP_1) | instid1(VALU_DEP_2)
	v_add_co_u32 v8, vcc_lo, v8, v10
	s_wait_alu 0xfffd
	v_add_co_ci_u32_e64 v9, null, v9, v11, vcc_lo
	s_and_saveexec_b32 s21, s3
	s_cbranch_execz .LBB20_22
; %bb.21:                               ;   in Loop: Header=BB20_4 Depth=1
	v_mul_f16_e32 v10, s38, v20
	global_store_b16 v[8:9], v10, off
.LBB20_22:                              ;   in Loop: Header=BB20_4 Depth=1
	s_wait_alu 0xfffe
	s_or_b32 exec_lo, exec_lo, s21
	s_delay_alu instid0(SALU_CYCLE_1)
	s_and_b32 exec_lo, exec_lo, s4
	s_cbranch_execz .LBB20_24
; %bb.23:                               ;   in Loop: Header=BB20_4 Depth=1
	v_lshrrev_b32_e32 v10, 16, v20
	s_delay_alu instid0(VALU_DEP_1)
	v_mul_f16_e32 v10, s38, v10
	global_store_b16 v[8:9], v10, off offset:32
.LBB20_24:                              ;   in Loop: Header=BB20_4 Depth=1
	s_wait_alu 0xfffe
	s_or_b32 exec_lo, exec_lo, s20
	s_cbranch_execnz .LBB20_3
.LBB20_25:                              ;   in Loop: Header=BB20_4 Depth=1
	s_and_saveexec_b32 s20, s2
	s_cbranch_execz .LBB20_2
; %bb.26:                               ;   in Loop: Header=BB20_4 Depth=1
	s_mul_u64 s[28:29], s[12:13], s[34:35]
	v_lshlrev_b64_e32 v[22:23], 1, v[2:3]
	s_wait_alu 0xfffe
	s_lshl_b64 s[28:29], s[28:29], 1
	v_lshlrev_b64_e32 v[8:9], 1, v[0:1]
	s_wait_alu 0xfffe
	v_add_co_u32 v10, vcc_lo, v18, s28
	s_wait_alu 0xfffd
	v_add_co_ci_u32_e64 v11, null, s29, v19, vcc_lo
	v_add_co_u32 v22, vcc_lo, s18, v22
	s_wait_alu 0xfffd
	v_add_co_ci_u32_e64 v23, null, s19, v23, vcc_lo
	s_and_saveexec_b32 s18, s3
	s_cbranch_execnz .LBB20_29
; %bb.27:                               ;   in Loop: Header=BB20_4 Depth=1
	s_wait_alu 0xfffe
	s_or_b32 exec_lo, exec_lo, s18
	s_and_saveexec_b32 s18, s4
	s_cbranch_execnz .LBB20_30
.LBB20_28:                              ;   in Loop: Header=BB20_4 Depth=1
	s_wait_alu 0xfffe
	s_or_b32 exec_lo, exec_lo, s18
	s_delay_alu instid0(SALU_CYCLE_1)
	s_and_b32 exec_lo, exec_lo, s5
	s_cbranch_execz .LBB20_2
	s_branch .LBB20_31
.LBB20_29:                              ;   in Loop: Header=BB20_4 Depth=1
	v_add_co_u32 v24, vcc_lo, v10, v8
	s_wait_alu 0xfffd
	v_add_co_ci_u32_e64 v25, null, v11, v9, vcc_lo
	global_load_u16 v24, v[24:25], off
	s_wait_loadcnt 0x0
	v_mul_f16_e32 v26, s39, v24
	v_add_co_u32 v24, vcc_lo, v22, v8
	s_wait_alu 0xfffd
	v_add_co_ci_u32_e64 v25, null, v23, v9, vcc_lo
	s_delay_alu instid0(VALU_DEP_3)
	v_fmac_f16_e32 v26, s38, v21
	global_store_b16 v[24:25], v26, off
	s_wait_alu 0xfffe
	s_or_b32 exec_lo, exec_lo, s18
	s_and_saveexec_b32 s18, s4
	s_cbranch_execz .LBB20_28
.LBB20_30:                              ;   in Loop: Header=BB20_4 Depth=1
	v_add_co_u32 v24, vcc_lo, v10, v8
	s_wait_alu 0xfffd
	v_add_co_ci_u32_e64 v25, null, v11, v9, vcc_lo
	v_lshrrev_b32_e32 v21, 16, v21
	global_load_u16 v24, v[24:25], off offset:32
	s_wait_loadcnt 0x0
	v_mul_f16_e32 v26, s39, v24
	v_add_co_u32 v24, vcc_lo, v22, v8
	s_wait_alu 0xfffd
	v_add_co_ci_u32_e64 v25, null, v23, v9, vcc_lo
	s_delay_alu instid0(VALU_DEP_3) | instskip(SKIP_3) | instid1(SALU_CYCLE_1)
	v_fmac_f16_e32 v26, s38, v21
	global_store_b16 v[24:25], v26, off offset:32
	s_wait_alu 0xfffe
	s_or_b32 exec_lo, exec_lo, s18
	s_and_b32 exec_lo, exec_lo, s5
	s_cbranch_execz .LBB20_2
.LBB20_31:                              ;   in Loop: Header=BB20_4 Depth=1
	v_add_co_u32 v10, vcc_lo, v10, s16
	s_lshl_b64 s[18:19], s[24:25], 1
	s_wait_alu 0xfffd
	v_add_co_ci_u32_e64 v11, null, s17, v11, vcc_lo
	s_wait_alu 0xfffe
	v_add_co_u32 v21, vcc_lo, v22, s18
	s_wait_alu 0xfffd
	v_add_co_ci_u32_e64 v22, null, s19, v23, vcc_lo
	v_add_co_u32 v10, vcc_lo, v10, v8
	s_wait_alu 0xfffd
	v_add_co_ci_u32_e64 v11, null, v11, v9, vcc_lo
	;; [unrolled: 3-line block ×3, first 2 shown]
	s_and_saveexec_b32 s18, s3
	s_cbranch_execz .LBB20_33
; %bb.32:                               ;   in Loop: Header=BB20_4 Depth=1
	global_load_u16 v21, v[10:11], off
	s_wait_loadcnt 0x0
	v_mul_f16_e32 v21, s39, v21
	s_delay_alu instid0(VALU_DEP_1)
	v_fmac_f16_e32 v21, s38, v20
	global_store_b16 v[8:9], v21, off
.LBB20_33:                              ;   in Loop: Header=BB20_4 Depth=1
	s_wait_alu 0xfffe
	s_or_b32 exec_lo, exec_lo, s18
	s_delay_alu instid0(SALU_CYCLE_1)
	s_and_b32 exec_lo, exec_lo, s4
	s_cbranch_execz .LBB20_2
; %bb.34:                               ;   in Loop: Header=BB20_4 Depth=1
	global_load_u16 v10, v[10:11], off offset:32
	v_lshrrev_b32_e32 v11, 16, v20
	s_wait_loadcnt 0x0
	v_mul_f16_e32 v10, s39, v10
	s_delay_alu instid0(VALU_DEP_1)
	v_fmac_f16_e32 v10, s38, v11
	global_store_b16 v[8:9], v10, off offset:32
	s_branch .LBB20_2
.LBB20_35:
	s_endpgm
	.section	.rodata,"a",@progbits
	.p2align	6, 0x0
	.amdhsa_kernel _ZN12_GLOBAL__N_135rocblas_gemm_batched_general_kernelIDF16_Li16ELi16ELi32ELi32ELi8ELi32ELi8ELi8ELi32ELc78ELc78EKDF16_S1_DF16_EEvlllT_PT11_llS4_llS2_PT12_llPT13_lli
		.amdhsa_group_segment_fixed_size 1024
		.amdhsa_private_segment_fixed_size 0
		.amdhsa_kernarg_size 140
		.amdhsa_user_sgpr_count 2
		.amdhsa_user_sgpr_dispatch_ptr 0
		.amdhsa_user_sgpr_queue_ptr 0
		.amdhsa_user_sgpr_kernarg_segment_ptr 1
		.amdhsa_user_sgpr_dispatch_id 0
		.amdhsa_user_sgpr_private_segment_size 0
		.amdhsa_wavefront_size32 1
		.amdhsa_uses_dynamic_stack 0
		.amdhsa_enable_private_segment 0
		.amdhsa_system_sgpr_workgroup_id_x 1
		.amdhsa_system_sgpr_workgroup_id_y 1
		.amdhsa_system_sgpr_workgroup_id_z 1
		.amdhsa_system_sgpr_workgroup_info 0
		.amdhsa_system_vgpr_workitem_id 1
		.amdhsa_next_free_vgpr 38
		.amdhsa_next_free_sgpr 43
		.amdhsa_reserve_vcc 1
		.amdhsa_float_round_mode_32 0
		.amdhsa_float_round_mode_16_64 0
		.amdhsa_float_denorm_mode_32 3
		.amdhsa_float_denorm_mode_16_64 3
		.amdhsa_fp16_overflow 0
		.amdhsa_workgroup_processor_mode 1
		.amdhsa_memory_ordered 1
		.amdhsa_forward_progress 1
		.amdhsa_inst_pref_size 18
		.amdhsa_round_robin_scheduling 0
		.amdhsa_exception_fp_ieee_invalid_op 0
		.amdhsa_exception_fp_denorm_src 0
		.amdhsa_exception_fp_ieee_div_zero 0
		.amdhsa_exception_fp_ieee_overflow 0
		.amdhsa_exception_fp_ieee_underflow 0
		.amdhsa_exception_fp_ieee_inexact 0
		.amdhsa_exception_int_div_zero 0
	.end_amdhsa_kernel
	.section	.text._ZN12_GLOBAL__N_135rocblas_gemm_batched_general_kernelIDF16_Li16ELi16ELi32ELi32ELi8ELi32ELi8ELi8ELi32ELc78ELc78EKDF16_S1_DF16_EEvlllT_PT11_llS4_llS2_PT12_llPT13_lli,"axG",@progbits,_ZN12_GLOBAL__N_135rocblas_gemm_batched_general_kernelIDF16_Li16ELi16ELi32ELi32ELi8ELi32ELi8ELi8ELi32ELc78ELc78EKDF16_S1_DF16_EEvlllT_PT11_llS4_llS2_PT12_llPT13_lli,comdat
.Lfunc_end20:
	.size	_ZN12_GLOBAL__N_135rocblas_gemm_batched_general_kernelIDF16_Li16ELi16ELi32ELi32ELi8ELi32ELi8ELi8ELi32ELc78ELc78EKDF16_S1_DF16_EEvlllT_PT11_llS4_llS2_PT12_llPT13_lli, .Lfunc_end20-_ZN12_GLOBAL__N_135rocblas_gemm_batched_general_kernelIDF16_Li16ELi16ELi32ELi32ELi8ELi32ELi8ELi8ELi32ELc78ELc78EKDF16_S1_DF16_EEvlllT_PT11_llS4_llS2_PT12_llPT13_lli
                                        ; -- End function
	.set _ZN12_GLOBAL__N_135rocblas_gemm_batched_general_kernelIDF16_Li16ELi16ELi32ELi32ELi8ELi32ELi8ELi8ELi32ELc78ELc78EKDF16_S1_DF16_EEvlllT_PT11_llS4_llS2_PT12_llPT13_lli.num_vgpr, 38
	.set _ZN12_GLOBAL__N_135rocblas_gemm_batched_general_kernelIDF16_Li16ELi16ELi32ELi32ELi8ELi32ELi8ELi8ELi32ELc78ELc78EKDF16_S1_DF16_EEvlllT_PT11_llS4_llS2_PT12_llPT13_lli.num_agpr, 0
	.set _ZN12_GLOBAL__N_135rocblas_gemm_batched_general_kernelIDF16_Li16ELi16ELi32ELi32ELi8ELi32ELi8ELi8ELi32ELc78ELc78EKDF16_S1_DF16_EEvlllT_PT11_llS4_llS2_PT12_llPT13_lli.numbered_sgpr, 43
	.set _ZN12_GLOBAL__N_135rocblas_gemm_batched_general_kernelIDF16_Li16ELi16ELi32ELi32ELi8ELi32ELi8ELi8ELi32ELc78ELc78EKDF16_S1_DF16_EEvlllT_PT11_llS4_llS2_PT12_llPT13_lli.num_named_barrier, 0
	.set _ZN12_GLOBAL__N_135rocblas_gemm_batched_general_kernelIDF16_Li16ELi16ELi32ELi32ELi8ELi32ELi8ELi8ELi32ELc78ELc78EKDF16_S1_DF16_EEvlllT_PT11_llS4_llS2_PT12_llPT13_lli.private_seg_size, 0
	.set _ZN12_GLOBAL__N_135rocblas_gemm_batched_general_kernelIDF16_Li16ELi16ELi32ELi32ELi8ELi32ELi8ELi8ELi32ELc78ELc78EKDF16_S1_DF16_EEvlllT_PT11_llS4_llS2_PT12_llPT13_lli.uses_vcc, 1
	.set _ZN12_GLOBAL__N_135rocblas_gemm_batched_general_kernelIDF16_Li16ELi16ELi32ELi32ELi8ELi32ELi8ELi8ELi32ELc78ELc78EKDF16_S1_DF16_EEvlllT_PT11_llS4_llS2_PT12_llPT13_lli.uses_flat_scratch, 0
	.set _ZN12_GLOBAL__N_135rocblas_gemm_batched_general_kernelIDF16_Li16ELi16ELi32ELi32ELi8ELi32ELi8ELi8ELi32ELc78ELc78EKDF16_S1_DF16_EEvlllT_PT11_llS4_llS2_PT12_llPT13_lli.has_dyn_sized_stack, 0
	.set _ZN12_GLOBAL__N_135rocblas_gemm_batched_general_kernelIDF16_Li16ELi16ELi32ELi32ELi8ELi32ELi8ELi8ELi32ELc78ELc78EKDF16_S1_DF16_EEvlllT_PT11_llS4_llS2_PT12_llPT13_lli.has_recursion, 0
	.set _ZN12_GLOBAL__N_135rocblas_gemm_batched_general_kernelIDF16_Li16ELi16ELi32ELi32ELi8ELi32ELi8ELi8ELi32ELc78ELc78EKDF16_S1_DF16_EEvlllT_PT11_llS4_llS2_PT12_llPT13_lli.has_indirect_call, 0
	.section	.AMDGPU.csdata,"",@progbits
; Kernel info:
; codeLenInByte = 2280
; TotalNumSgprs: 45
; NumVgprs: 38
; ScratchSize: 0
; MemoryBound: 0
; FloatMode: 240
; IeeeMode: 1
; LDSByteSize: 1024 bytes/workgroup (compile time only)
; SGPRBlocks: 0
; VGPRBlocks: 4
; NumSGPRsForWavesPerEU: 45
; NumVGPRsForWavesPerEU: 38
; Occupancy: 16
; WaveLimiterHint : 0
; COMPUTE_PGM_RSRC2:SCRATCH_EN: 0
; COMPUTE_PGM_RSRC2:USER_SGPR: 2
; COMPUTE_PGM_RSRC2:TRAP_HANDLER: 0
; COMPUTE_PGM_RSRC2:TGID_X_EN: 1
; COMPUTE_PGM_RSRC2:TGID_Y_EN: 1
; COMPUTE_PGM_RSRC2:TGID_Z_EN: 1
; COMPUTE_PGM_RSRC2:TIDIG_COMP_CNT: 1
	.section	.text._ZN12_GLOBAL__N_135rocblas_gemm_batched_general_kernelIDF16_Li16ELi16ELi32ELi32ELi8ELi32ELi8ELi8ELi32ELc84ELc78EKDF16_S1_DF16_EEvlllT_PT11_llS4_llS2_PT12_llPT13_lli,"axG",@progbits,_ZN12_GLOBAL__N_135rocblas_gemm_batched_general_kernelIDF16_Li16ELi16ELi32ELi32ELi8ELi32ELi8ELi8ELi32ELc84ELc78EKDF16_S1_DF16_EEvlllT_PT11_llS4_llS2_PT12_llPT13_lli,comdat
	.globl	_ZN12_GLOBAL__N_135rocblas_gemm_batched_general_kernelIDF16_Li16ELi16ELi32ELi32ELi8ELi32ELi8ELi8ELi32ELc84ELc78EKDF16_S1_DF16_EEvlllT_PT11_llS4_llS2_PT12_llPT13_lli ; -- Begin function _ZN12_GLOBAL__N_135rocblas_gemm_batched_general_kernelIDF16_Li16ELi16ELi32ELi32ELi8ELi32ELi8ELi8ELi32ELc84ELc78EKDF16_S1_DF16_EEvlllT_PT11_llS4_llS2_PT12_llPT13_lli
	.p2align	8
	.type	_ZN12_GLOBAL__N_135rocblas_gemm_batched_general_kernelIDF16_Li16ELi16ELi32ELi32ELi8ELi32ELi8ELi8ELi32ELc84ELc78EKDF16_S1_DF16_EEvlllT_PT11_llS4_llS2_PT12_llPT13_lli,@function
_ZN12_GLOBAL__N_135rocblas_gemm_batched_general_kernelIDF16_Li16ELi16ELi32ELi32ELi8ELi32ELi8ELi8ELi32ELc84ELc78EKDF16_S1_DF16_EEvlllT_PT11_llS4_llS2_PT12_llPT13_lli: ; @_ZN12_GLOBAL__N_135rocblas_gemm_batched_general_kernelIDF16_Li16ELi16ELi32ELi32ELi8ELi32ELi8ELi8ELi32ELc84ELc78EKDF16_S1_DF16_EEvlllT_PT11_llS4_llS2_PT12_llPT13_lli
; %bb.0:
	s_load_b32 s33, s[0:1], 0x88
	s_lshr_b32 s34, ttmp7, 16
	s_wait_kmcnt 0x0
	s_cmp_ge_i32 s34, s33
	s_cbranch_scc1 .LBB21_35
; %bb.1:
	v_bfe_u32 v1, v0, 10, 10
	s_mov_b32 s2, ttmp9
	s_ashr_i32 s3, ttmp9, 31
	s_clause 0x1
	s_load_b128 s[28:31], s[0:1], 0x0
	s_load_b96 s[36:38], s[0:1], 0x10
	s_lshl_b64 s[40:41], s[2:3], 5
	s_delay_alu instid0(SALU_CYCLE_1)
	v_dual_mov_b32 v5, s41 :: v_dual_and_b32 v2, 0x3ff, v0
	v_lshlrev_b32_e32 v3, 4, v1
	s_clause 0x4
	s_load_b256 s[16:23], s[0:1], 0x20
	s_load_b128 s[4:7], s[0:1], 0x40
	s_load_b32 s39, s[0:1], 0x50
	s_load_b128 s[24:27], s[0:1], 0x78
	s_load_b256 s[8:15], s[0:1], 0x58
	s_and_b32 s0, ttmp7, 0xffff
	v_lshlrev_b32_e32 v16, 1, v2
	v_add_nc_u32_e32 v4, v3, v2
	s_lshl_b32 s2, s0, 5
	v_add_nc_u32_e32 v17, 0x200, v3
	s_mov_b32 s35, 0
	s_delay_alu instid0(VALU_DEP_2) | instskip(SKIP_1) | instid1(VALU_DEP_2)
	v_lshrrev_b32_e32 v8, 3, v4
	v_lshrrev_b32_e32 v13, 5, v4
	v_add_co_u32 v6, s0, v8, s2
	s_delay_alu instid0(VALU_DEP_1) | instskip(SKIP_1) | instid1(VALU_DEP_2)
	v_add_co_ci_u32_e64 v7, null, 0, 0, s0
	s_wait_kmcnt 0x0
	v_mad_co_u64_u32 v[18:19], null, s4, v6, 0
	v_and_b32_e32 v12, 7, v0
	v_and_b32_e32 v0, 31, v4
	v_cmp_gt_i64_e64 s1, s[30:31], v[6:7]
	v_add_co_u32 v7, s2, s2, v1
	s_cmp_eq_f16 s39, 0
	v_or_b32_e32 v4, s40, v0
	v_mad_co_u64_u32 v[9:10], null, v7, s10, 0
	s_cselect_b32 s42, -1, 0
	v_cmp_gt_i64_e64 s0, s[28:29], v[4:5]
	v_dual_mov_b32 v5, v19 :: v_dual_lshlrev_b32 v24, 1, v12
	s_lshl_b64 s[6:7], s[6:7], 1
	s_delay_alu instid0(VALU_DEP_1) | instskip(SKIP_1) | instid1(VALU_DEP_3)
	v_mad_co_u64_u32 v[5:6], null, s5, v6, v[5:6]
	v_lshlrev_b32_e32 v0, 1, v0
	v_lshl_or_b32 v8, v8, 4, v24
	s_delay_alu instid0(VALU_DEP_3) | instskip(NEXT) | instid1(VALU_DEP_3)
	v_mov_b32_e32 v19, v5
	v_lshl_or_b32 v14, v13, 6, v0
	v_mad_co_u64_u32 v[0:1], null, v7, s24, 0
	s_delay_alu instid0(VALU_DEP_4)
	v_add_nc_u32_e32 v15, 0x200, v8
	s_wait_alu 0xf1ff
	v_add_co_ci_u32_e64 v8, null, 0, 0, s2
	v_add_co_u32 v2, s2, s40, v2
	s_wait_alu 0xf1ff
	v_add_co_ci_u32_e64 v3, null, s41, 0, s2
	s_delay_alu instid0(VALU_DEP_3) | instskip(NEXT) | instid1(VALU_DEP_3)
	v_cmp_gt_i64_e64 s2, s[30:31], v[7:8]
	v_mad_co_u64_u32 v[22:23], null, v7, s25, v[1:2]
	v_mov_b32_e32 v1, v10
	v_add_co_u32 v20, vcc_lo, v2, 16
	s_delay_alu instid0(VALU_DEP_1) | instskip(NEXT) | instid1(VALU_DEP_3)
	v_add_co_ci_u32_e64 v21, null, 0, v3, vcc_lo
	v_mad_co_u64_u32 v[10:11], null, v7, s11, v[1:2]
	v_add_co_u32 v6, vcc_lo, v7, 16
	s_delay_alu instid0(VALU_DEP_3)
	v_cmp_gt_i64_e64 s4, s[28:29], v[20:21]
	s_wait_alu 0xfffd
	v_add_co_ci_u32_e64 v7, null, 0, v8, vcc_lo
	v_mul_lo_u32 v8, s19, v4
	v_mad_co_u64_u32 v[20:21], null, s18, v4, 0
	v_lshlrev_b64_e32 v[4:5], 1, v[9:10]
	s_mul_i32 s18, s18, s41
	v_cmp_gt_i64_e64 s5, s[30:31], v[6:7]
	v_lshlrev_b64_e32 v[6:7], 1, v[18:19]
	v_cmp_gt_i64_e64 s3, s[28:29], v[2:3]
	v_mov_b32_e32 v1, v22
	s_wait_alu 0xfffe
	v_add3_u32 v21, v21, s18, v8
	v_add_co_u32 v18, vcc_lo, s8, v4
	s_wait_alu 0xfffd
	v_add_co_ci_u32_e64 v19, null, s9, v5, vcc_lo
	s_delay_alu instid0(VALU_DEP_3) | instskip(SKIP_4) | instid1(VALU_DEP_3)
	v_lshlrev_b64_e32 v[4:5], 1, v[20:21]
	v_lshlrev_b32_e32 v8, 1, v13
	v_add_co_u32 v6, vcc_lo, v6, v24
	s_wait_alu 0xfffd
	v_add_co_ci_u32_e64 v7, null, 0, v7, vcc_lo
	v_add_co_u32 v8, vcc_lo, v4, v8
	s_wait_alu 0xfffd
	v_add_co_ci_u32_e64 v9, null, 0, v5, vcc_lo
	;; [unrolled: 3-line block ×3, first 2 shown]
	v_add_co_u32 v6, vcc_lo, s16, v8
	v_cmp_gt_i64_e64 s18, s[36:37], 0
	s_wait_alu 0xfffd
	v_add_co_ci_u32_e64 v7, null, s17, v9, vcc_lo
	s_lshl_b64 s[10:11], s[10:11], 4
	s_lshl_b64 s[24:25], s[24:25], 4
	;; [unrolled: 1-line block ×3, first 2 shown]
	s_wait_alu 0xfffe
	s_lshl_b64 s[10:11], s[10:11], 1
	s_branch .LBB21_4
.LBB21_2:                               ;   in Loop: Header=BB21_4 Depth=1
	s_wait_alu 0xfffe
	s_or_b32 exec_lo, exec_lo, s19
.LBB21_3:                               ;   in Loop: Header=BB21_4 Depth=1
	s_add_co_i32 s34, s34, 0x10000
	s_wait_alu 0xfffe
	s_cmp_lt_i32 s34, s33
	s_cbranch_scc0 .LBB21_35
.LBB21_4:                               ; =>This Loop Header: Depth=1
                                        ;     Child Loop BB21_7 Depth 2
	s_and_not1_b32 vcc_lo, exec_lo, s18
	s_wait_alu 0xfffe
	s_cbranch_vccnz .LBB21_11
; %bb.5:                                ;   in Loop: Header=BB21_4 Depth=1
	v_mad_co_u64_u32 v[8:9], null, s6, s34, v[4:5]
	v_mad_co_u64_u32 v[10:11], null, s8, s34, v[6:7]
	s_mov_b64 s[16:17], 0
	v_mad_co_u64_u32 v[20:21], null, s7, s34, v[9:10]
	v_mad_co_u64_u32 v[22:23], null, s9, s34, v[11:12]
	v_mov_b32_e32 v21, 0
	s_delay_alu instid0(VALU_DEP_3) | instskip(NEXT) | instid1(VALU_DEP_3)
	v_dual_mov_b32 v9, v20 :: v_dual_mov_b32 v20, 0
	v_mov_b32_e32 v11, v22
	s_branch .LBB21_7
.LBB21_6:                               ;   in Loop: Header=BB21_7 Depth=2
	s_wait_alu 0xfffe
	s_or_b32 exec_lo, exec_lo, s19
	s_wait_loadcnt 0x0
	ds_store_b16 v15, v23
	s_wait_dscnt 0x0
	s_barrier_signal -1
	s_barrier_wait -1
	global_inv scope:SCOPE_SE
	ds_load_u16 v30, v16
	ds_load_u16 v31, v16 offset:64
	ds_load_u16 v32, v16 offset:128
	;; [unrolled: 1-line block ×7, first 2 shown]
	s_add_nc_u64 s[16:17], s[16:17], 8
	v_add_co_u32 v8, vcc_lo, v8, 16
	s_wait_alu 0xfffe
	v_cmp_lt_i64_e64 s19, s[16:17], s[36:37]
	s_wait_alu 0xfffd
	v_add_co_ci_u32_e64 v9, null, 0, v9, vcc_lo
	v_add_co_u32 v10, vcc_lo, v10, 16
	s_wait_alu 0xfffd
	v_add_co_ci_u32_e64 v11, null, 0, v11, vcc_lo
	s_and_b32 vcc_lo, exec_lo, s19
	s_wait_dscnt 0x7
	ds_load_u16_d16_hi v30, v16 offset:32
	ds_load_b128 v[22:25], v17
	ds_load_b128 v[26:29], v17 offset:256
	s_wait_dscnt 0x9
	ds_load_u16_d16_hi v31, v16 offset:96
	s_wait_dscnt 0x9
	ds_load_u16_d16_hi v32, v16 offset:160
	;; [unrolled: 2-line block ×7, first 2 shown]
	s_wait_loadcnt_dscnt 0x0
	s_barrier_signal -1
	s_barrier_wait -1
	global_inv scope:SCOPE_SE
	v_pk_fma_f16 v21, v30, v22, v21 op_sel_hi:[1,0,1]
	v_pk_fma_f16 v20, v30, v26, v20 op_sel_hi:[1,0,1]
	s_delay_alu instid0(VALU_DEP_2) | instskip(NEXT) | instid1(VALU_DEP_2)
	v_pk_fma_f16 v21, v31, v22, v21 op_sel:[0,1,0]
	v_pk_fma_f16 v20, v31, v26, v20 op_sel:[0,1,0]
	s_delay_alu instid0(VALU_DEP_2) | instskip(NEXT) | instid1(VALU_DEP_2)
	v_pk_fma_f16 v21, v32, v23, v21 op_sel_hi:[1,0,1]
	v_pk_fma_f16 v20, v32, v27, v20 op_sel_hi:[1,0,1]
	s_delay_alu instid0(VALU_DEP_2) | instskip(NEXT) | instid1(VALU_DEP_2)
	v_pk_fma_f16 v21, v33, v23, v21 op_sel:[0,1,0]
	v_pk_fma_f16 v20, v33, v27, v20 op_sel:[0,1,0]
	s_delay_alu instid0(VALU_DEP_2) | instskip(NEXT) | instid1(VALU_DEP_2)
	;; [unrolled: 6-line block ×3, first 2 shown]
	v_pk_fma_f16 v21, v36, v25, v21 op_sel_hi:[1,0,1]
	v_pk_fma_f16 v20, v36, v29, v20 op_sel_hi:[1,0,1]
	s_delay_alu instid0(VALU_DEP_2) | instskip(NEXT) | instid1(VALU_DEP_2)
	v_pk_fma_f16 v21, v37, v25, v21 op_sel:[0,1,0]
	v_pk_fma_f16 v20, v37, v29, v20 op_sel:[0,1,0]
	s_wait_alu 0xfffe
	s_cbranch_vccz .LBB21_12
.LBB21_7:                               ;   Parent Loop BB21_4 Depth=1
                                        ; =>  This Inner Loop Header: Depth=2
	s_wait_alu 0xfffe
	v_add_co_u32 v22, s19, v13, s16
	s_wait_alu 0xf1ff
	v_add_co_ci_u32_e64 v23, null, 0, s17, s19
	s_delay_alu instid0(VALU_DEP_1)
	v_cmp_gt_i64_e32 vcc_lo, s[36:37], v[22:23]
	v_mov_b32_e32 v22, 0
	s_and_b32 s20, s0, vcc_lo
	s_wait_alu 0xfffe
	s_and_saveexec_b32 s19, s20
	s_cbranch_execz .LBB21_9
; %bb.8:                                ;   in Loop: Header=BB21_7 Depth=2
	global_load_u16 v22, v[10:11], off
.LBB21_9:                               ;   in Loop: Header=BB21_7 Depth=2
	s_wait_alu 0xfffe
	s_or_b32 exec_lo, exec_lo, s19
	v_add_co_u32 v23, s19, v12, s16
	s_wait_alu 0xf1ff
	v_add_co_ci_u32_e64 v24, null, 0, s17, s19
	s_wait_loadcnt 0x0
	ds_store_b16 v14, v22
	v_cmp_gt_i64_e32 vcc_lo, s[36:37], v[23:24]
	v_mov_b32_e32 v23, 0
	s_and_b32 s20, vcc_lo, s1
	s_wait_alu 0xfffe
	s_and_saveexec_b32 s19, s20
	s_cbranch_execz .LBB21_6
; %bb.10:                               ;   in Loop: Header=BB21_7 Depth=2
	global_load_u16 v23, v[8:9], off
	s_branch .LBB21_6
.LBB21_11:                              ;   in Loop: Header=BB21_4 Depth=1
	v_dual_mov_b32 v21, 0 :: v_dual_mov_b32 v20, 0
.LBB21_12:                              ;   in Loop: Header=BB21_4 Depth=1
	s_mul_u64 s[16:17], s[26:27], s[34:35]
	s_and_not1_b32 vcc_lo, exec_lo, s42
	s_wait_alu 0xfffe
	s_lshl_b64 s[16:17], s[16:17], 1
	s_wait_alu 0xfffe
	s_add_nc_u64 s[16:17], s[14:15], s[16:17]
	s_cbranch_vccnz .LBB21_17
; %bb.13:                               ;   in Loop: Header=BB21_4 Depth=1
	s_and_saveexec_b32 s19, s2
	s_cbranch_execz .LBB21_24
; %bb.14:                               ;   in Loop: Header=BB21_4 Depth=1
	v_lshlrev_b64_e32 v[8:9], 1, v[0:1]
	s_wait_alu 0xfffe
	s_delay_alu instid0(VALU_DEP_1) | instskip(SKIP_1) | instid1(VALU_DEP_2)
	v_add_co_u32 v8, vcc_lo, s16, v8
	s_wait_alu 0xfffd
	v_add_co_ci_u32_e64 v9, null, s17, v9, vcc_lo
	s_and_saveexec_b32 s20, s3
	s_cbranch_execnz .LBB21_18
; %bb.15:                               ;   in Loop: Header=BB21_4 Depth=1
	s_wait_alu 0xfffe
	s_or_b32 exec_lo, exec_lo, s20
	s_and_saveexec_b32 s20, s4
	s_cbranch_execnz .LBB21_19
.LBB21_16:                              ;   in Loop: Header=BB21_4 Depth=1
	s_wait_alu 0xfffe
	s_or_b32 exec_lo, exec_lo, s20
	s_delay_alu instid0(SALU_CYCLE_1)
	s_and_b32 exec_lo, exec_lo, s5
	s_cbranch_execnz .LBB21_20
	s_branch .LBB21_24
.LBB21_17:                              ;   in Loop: Header=BB21_4 Depth=1
	s_branch .LBB21_25
.LBB21_18:                              ;   in Loop: Header=BB21_4 Depth=1
	v_lshlrev_b64_e32 v[10:11], 1, v[2:3]
	v_mul_f16_e32 v22, s38, v21
	s_delay_alu instid0(VALU_DEP_2) | instskip(SKIP_1) | instid1(VALU_DEP_3)
	v_add_co_u32 v10, vcc_lo, v8, v10
	s_wait_alu 0xfffd
	v_add_co_ci_u32_e64 v11, null, v9, v11, vcc_lo
	global_store_b16 v[10:11], v22, off
	s_wait_alu 0xfffe
	s_or_b32 exec_lo, exec_lo, s20
	s_and_saveexec_b32 s20, s4
	s_cbranch_execz .LBB21_16
.LBB21_19:                              ;   in Loop: Header=BB21_4 Depth=1
	v_lshlrev_b64_e32 v[10:11], 1, v[2:3]
	v_lshrrev_b32_e32 v22, 16, v21
	s_delay_alu instid0(VALU_DEP_1) | instskip(NEXT) | instid1(VALU_DEP_3)
	v_mul_f16_e32 v22, s38, v22
	v_add_co_u32 v10, vcc_lo, v8, v10
	s_wait_alu 0xfffd
	s_delay_alu instid0(VALU_DEP_4) | instskip(SKIP_3) | instid1(SALU_CYCLE_1)
	v_add_co_ci_u32_e64 v11, null, v9, v11, vcc_lo
	global_store_b16 v[10:11], v22, off offset:32
	s_wait_alu 0xfffe
	s_or_b32 exec_lo, exec_lo, s20
	s_and_b32 exec_lo, exec_lo, s5
	s_cbranch_execz .LBB21_24
.LBB21_20:                              ;   in Loop: Header=BB21_4 Depth=1
	s_lshl_b64 s[20:21], s[24:25], 1
	v_lshlrev_b64_e32 v[10:11], 1, v[2:3]
	s_wait_alu 0xfffe
	v_add_co_u32 v8, vcc_lo, v8, s20
	s_wait_alu 0xfffd
	v_add_co_ci_u32_e64 v9, null, s21, v9, vcc_lo
	s_delay_alu instid0(VALU_DEP_2) | instskip(SKIP_1) | instid1(VALU_DEP_2)
	v_add_co_u32 v8, vcc_lo, v8, v10
	s_wait_alu 0xfffd
	v_add_co_ci_u32_e64 v9, null, v9, v11, vcc_lo
	s_and_saveexec_b32 s20, s3
	s_cbranch_execz .LBB21_22
; %bb.21:                               ;   in Loop: Header=BB21_4 Depth=1
	v_mul_f16_e32 v10, s38, v20
	global_store_b16 v[8:9], v10, off
.LBB21_22:                              ;   in Loop: Header=BB21_4 Depth=1
	s_wait_alu 0xfffe
	s_or_b32 exec_lo, exec_lo, s20
	s_delay_alu instid0(SALU_CYCLE_1)
	s_and_b32 exec_lo, exec_lo, s4
	s_cbranch_execz .LBB21_24
; %bb.23:                               ;   in Loop: Header=BB21_4 Depth=1
	v_lshrrev_b32_e32 v10, 16, v20
	s_delay_alu instid0(VALU_DEP_1)
	v_mul_f16_e32 v10, s38, v10
	global_store_b16 v[8:9], v10, off offset:32
.LBB21_24:                              ;   in Loop: Header=BB21_4 Depth=1
	s_wait_alu 0xfffe
	s_or_b32 exec_lo, exec_lo, s19
	s_cbranch_execnz .LBB21_3
.LBB21_25:                              ;   in Loop: Header=BB21_4 Depth=1
	s_and_saveexec_b32 s19, s2
	s_cbranch_execz .LBB21_2
; %bb.26:                               ;   in Loop: Header=BB21_4 Depth=1
	s_mul_u64 s[20:21], s[12:13], s[34:35]
	v_lshlrev_b64_e32 v[22:23], 1, v[0:1]
	s_wait_alu 0xfffe
	s_lshl_b64 s[20:21], s[20:21], 1
	v_lshlrev_b64_e32 v[8:9], 1, v[2:3]
	s_wait_alu 0xfffe
	v_add_co_u32 v10, vcc_lo, v18, s20
	s_wait_alu 0xfffd
	v_add_co_ci_u32_e64 v11, null, s21, v19, vcc_lo
	v_add_co_u32 v22, vcc_lo, s16, v22
	s_wait_alu 0xfffd
	v_add_co_ci_u32_e64 v23, null, s17, v23, vcc_lo
	s_and_saveexec_b32 s16, s3
	s_cbranch_execnz .LBB21_29
; %bb.27:                               ;   in Loop: Header=BB21_4 Depth=1
	s_wait_alu 0xfffe
	s_or_b32 exec_lo, exec_lo, s16
	s_and_saveexec_b32 s16, s4
	s_cbranch_execnz .LBB21_30
.LBB21_28:                              ;   in Loop: Header=BB21_4 Depth=1
	s_wait_alu 0xfffe
	s_or_b32 exec_lo, exec_lo, s16
	s_delay_alu instid0(SALU_CYCLE_1)
	s_and_b32 exec_lo, exec_lo, s5
	s_cbranch_execz .LBB21_2
	s_branch .LBB21_31
.LBB21_29:                              ;   in Loop: Header=BB21_4 Depth=1
	v_add_co_u32 v24, vcc_lo, v10, v8
	s_wait_alu 0xfffd
	v_add_co_ci_u32_e64 v25, null, v11, v9, vcc_lo
	global_load_u16 v24, v[24:25], off
	s_wait_loadcnt 0x0
	v_mul_f16_e32 v26, s39, v24
	v_add_co_u32 v24, vcc_lo, v22, v8
	s_wait_alu 0xfffd
	v_add_co_ci_u32_e64 v25, null, v23, v9, vcc_lo
	s_delay_alu instid0(VALU_DEP_3)
	v_fmac_f16_e32 v26, s38, v21
	global_store_b16 v[24:25], v26, off
	s_wait_alu 0xfffe
	s_or_b32 exec_lo, exec_lo, s16
	s_and_saveexec_b32 s16, s4
	s_cbranch_execz .LBB21_28
.LBB21_30:                              ;   in Loop: Header=BB21_4 Depth=1
	v_add_co_u32 v24, vcc_lo, v10, v8
	s_wait_alu 0xfffd
	v_add_co_ci_u32_e64 v25, null, v11, v9, vcc_lo
	v_lshrrev_b32_e32 v21, 16, v21
	global_load_u16 v24, v[24:25], off offset:32
	s_wait_loadcnt 0x0
	v_mul_f16_e32 v26, s39, v24
	v_add_co_u32 v24, vcc_lo, v22, v8
	s_wait_alu 0xfffd
	v_add_co_ci_u32_e64 v25, null, v23, v9, vcc_lo
	s_delay_alu instid0(VALU_DEP_3) | instskip(SKIP_3) | instid1(SALU_CYCLE_1)
	v_fmac_f16_e32 v26, s38, v21
	global_store_b16 v[24:25], v26, off offset:32
	s_wait_alu 0xfffe
	s_or_b32 exec_lo, exec_lo, s16
	s_and_b32 exec_lo, exec_lo, s5
	s_cbranch_execz .LBB21_2
.LBB21_31:                              ;   in Loop: Header=BB21_4 Depth=1
	v_add_co_u32 v10, vcc_lo, v10, s10
	s_lshl_b64 s[16:17], s[24:25], 1
	s_wait_alu 0xfffd
	v_add_co_ci_u32_e64 v11, null, s11, v11, vcc_lo
	s_wait_alu 0xfffe
	v_add_co_u32 v21, vcc_lo, v22, s16
	s_wait_alu 0xfffd
	v_add_co_ci_u32_e64 v22, null, s17, v23, vcc_lo
	v_add_co_u32 v10, vcc_lo, v10, v8
	s_wait_alu 0xfffd
	v_add_co_ci_u32_e64 v11, null, v11, v9, vcc_lo
	;; [unrolled: 3-line block ×3, first 2 shown]
	s_and_saveexec_b32 s16, s3
	s_cbranch_execz .LBB21_33
; %bb.32:                               ;   in Loop: Header=BB21_4 Depth=1
	global_load_u16 v21, v[10:11], off
	s_wait_loadcnt 0x0
	v_mul_f16_e32 v21, s39, v21
	s_delay_alu instid0(VALU_DEP_1)
	v_fmac_f16_e32 v21, s38, v20
	global_store_b16 v[8:9], v21, off
.LBB21_33:                              ;   in Loop: Header=BB21_4 Depth=1
	s_wait_alu 0xfffe
	s_or_b32 exec_lo, exec_lo, s16
	s_delay_alu instid0(SALU_CYCLE_1)
	s_and_b32 exec_lo, exec_lo, s4
	s_cbranch_execz .LBB21_2
; %bb.34:                               ;   in Loop: Header=BB21_4 Depth=1
	global_load_u16 v10, v[10:11], off offset:32
	v_lshrrev_b32_e32 v11, 16, v20
	s_wait_loadcnt 0x0
	v_mul_f16_e32 v10, s39, v10
	s_delay_alu instid0(VALU_DEP_1)
	v_fmac_f16_e32 v10, s38, v11
	global_store_b16 v[8:9], v10, off offset:32
	s_branch .LBB21_2
.LBB21_35:
	s_endpgm
	.section	.rodata,"a",@progbits
	.p2align	6, 0x0
	.amdhsa_kernel _ZN12_GLOBAL__N_135rocblas_gemm_batched_general_kernelIDF16_Li16ELi16ELi32ELi32ELi8ELi32ELi8ELi8ELi32ELc84ELc78EKDF16_S1_DF16_EEvlllT_PT11_llS4_llS2_PT12_llPT13_lli
		.amdhsa_group_segment_fixed_size 1024
		.amdhsa_private_segment_fixed_size 0
		.amdhsa_kernarg_size 140
		.amdhsa_user_sgpr_count 2
		.amdhsa_user_sgpr_dispatch_ptr 0
		.amdhsa_user_sgpr_queue_ptr 0
		.amdhsa_user_sgpr_kernarg_segment_ptr 1
		.amdhsa_user_sgpr_dispatch_id 0
		.amdhsa_user_sgpr_private_segment_size 0
		.amdhsa_wavefront_size32 1
		.amdhsa_uses_dynamic_stack 0
		.amdhsa_enable_private_segment 0
		.amdhsa_system_sgpr_workgroup_id_x 1
		.amdhsa_system_sgpr_workgroup_id_y 1
		.amdhsa_system_sgpr_workgroup_id_z 1
		.amdhsa_system_sgpr_workgroup_info 0
		.amdhsa_system_vgpr_workitem_id 1
		.amdhsa_next_free_vgpr 38
		.amdhsa_next_free_sgpr 43
		.amdhsa_reserve_vcc 1
		.amdhsa_float_round_mode_32 0
		.amdhsa_float_round_mode_16_64 0
		.amdhsa_float_denorm_mode_32 3
		.amdhsa_float_denorm_mode_16_64 3
		.amdhsa_fp16_overflow 0
		.amdhsa_workgroup_processor_mode 1
		.amdhsa_memory_ordered 1
		.amdhsa_forward_progress 1
		.amdhsa_inst_pref_size 18
		.amdhsa_round_robin_scheduling 0
		.amdhsa_exception_fp_ieee_invalid_op 0
		.amdhsa_exception_fp_denorm_src 0
		.amdhsa_exception_fp_ieee_div_zero 0
		.amdhsa_exception_fp_ieee_overflow 0
		.amdhsa_exception_fp_ieee_underflow 0
		.amdhsa_exception_fp_ieee_inexact 0
		.amdhsa_exception_int_div_zero 0
	.end_amdhsa_kernel
	.section	.text._ZN12_GLOBAL__N_135rocblas_gemm_batched_general_kernelIDF16_Li16ELi16ELi32ELi32ELi8ELi32ELi8ELi8ELi32ELc84ELc78EKDF16_S1_DF16_EEvlllT_PT11_llS4_llS2_PT12_llPT13_lli,"axG",@progbits,_ZN12_GLOBAL__N_135rocblas_gemm_batched_general_kernelIDF16_Li16ELi16ELi32ELi32ELi8ELi32ELi8ELi8ELi32ELc84ELc78EKDF16_S1_DF16_EEvlllT_PT11_llS4_llS2_PT12_llPT13_lli,comdat
.Lfunc_end21:
	.size	_ZN12_GLOBAL__N_135rocblas_gemm_batched_general_kernelIDF16_Li16ELi16ELi32ELi32ELi8ELi32ELi8ELi8ELi32ELc84ELc78EKDF16_S1_DF16_EEvlllT_PT11_llS4_llS2_PT12_llPT13_lli, .Lfunc_end21-_ZN12_GLOBAL__N_135rocblas_gemm_batched_general_kernelIDF16_Li16ELi16ELi32ELi32ELi8ELi32ELi8ELi8ELi32ELc84ELc78EKDF16_S1_DF16_EEvlllT_PT11_llS4_llS2_PT12_llPT13_lli
                                        ; -- End function
	.set _ZN12_GLOBAL__N_135rocblas_gemm_batched_general_kernelIDF16_Li16ELi16ELi32ELi32ELi8ELi32ELi8ELi8ELi32ELc84ELc78EKDF16_S1_DF16_EEvlllT_PT11_llS4_llS2_PT12_llPT13_lli.num_vgpr, 38
	.set _ZN12_GLOBAL__N_135rocblas_gemm_batched_general_kernelIDF16_Li16ELi16ELi32ELi32ELi8ELi32ELi8ELi8ELi32ELc84ELc78EKDF16_S1_DF16_EEvlllT_PT11_llS4_llS2_PT12_llPT13_lli.num_agpr, 0
	.set _ZN12_GLOBAL__N_135rocblas_gemm_batched_general_kernelIDF16_Li16ELi16ELi32ELi32ELi8ELi32ELi8ELi8ELi32ELc84ELc78EKDF16_S1_DF16_EEvlllT_PT11_llS4_llS2_PT12_llPT13_lli.numbered_sgpr, 43
	.set _ZN12_GLOBAL__N_135rocblas_gemm_batched_general_kernelIDF16_Li16ELi16ELi32ELi32ELi8ELi32ELi8ELi8ELi32ELc84ELc78EKDF16_S1_DF16_EEvlllT_PT11_llS4_llS2_PT12_llPT13_lli.num_named_barrier, 0
	.set _ZN12_GLOBAL__N_135rocblas_gemm_batched_general_kernelIDF16_Li16ELi16ELi32ELi32ELi8ELi32ELi8ELi8ELi32ELc84ELc78EKDF16_S1_DF16_EEvlllT_PT11_llS4_llS2_PT12_llPT13_lli.private_seg_size, 0
	.set _ZN12_GLOBAL__N_135rocblas_gemm_batched_general_kernelIDF16_Li16ELi16ELi32ELi32ELi8ELi32ELi8ELi8ELi32ELc84ELc78EKDF16_S1_DF16_EEvlllT_PT11_llS4_llS2_PT12_llPT13_lli.uses_vcc, 1
	.set _ZN12_GLOBAL__N_135rocblas_gemm_batched_general_kernelIDF16_Li16ELi16ELi32ELi32ELi8ELi32ELi8ELi8ELi32ELc84ELc78EKDF16_S1_DF16_EEvlllT_PT11_llS4_llS2_PT12_llPT13_lli.uses_flat_scratch, 0
	.set _ZN12_GLOBAL__N_135rocblas_gemm_batched_general_kernelIDF16_Li16ELi16ELi32ELi32ELi8ELi32ELi8ELi8ELi32ELc84ELc78EKDF16_S1_DF16_EEvlllT_PT11_llS4_llS2_PT12_llPT13_lli.has_dyn_sized_stack, 0
	.set _ZN12_GLOBAL__N_135rocblas_gemm_batched_general_kernelIDF16_Li16ELi16ELi32ELi32ELi8ELi32ELi8ELi8ELi32ELc84ELc78EKDF16_S1_DF16_EEvlllT_PT11_llS4_llS2_PT12_llPT13_lli.has_recursion, 0
	.set _ZN12_GLOBAL__N_135rocblas_gemm_batched_general_kernelIDF16_Li16ELi16ELi32ELi32ELi8ELi32ELi8ELi8ELi32ELc84ELc78EKDF16_S1_DF16_EEvlllT_PT11_llS4_llS2_PT12_llPT13_lli.has_indirect_call, 0
	.section	.AMDGPU.csdata,"",@progbits
; Kernel info:
; codeLenInByte = 2276
; TotalNumSgprs: 45
; NumVgprs: 38
; ScratchSize: 0
; MemoryBound: 0
; FloatMode: 240
; IeeeMode: 1
; LDSByteSize: 1024 bytes/workgroup (compile time only)
; SGPRBlocks: 0
; VGPRBlocks: 4
; NumSGPRsForWavesPerEU: 45
; NumVGPRsForWavesPerEU: 38
; Occupancy: 16
; WaveLimiterHint : 0
; COMPUTE_PGM_RSRC2:SCRATCH_EN: 0
; COMPUTE_PGM_RSRC2:USER_SGPR: 2
; COMPUTE_PGM_RSRC2:TRAP_HANDLER: 0
; COMPUTE_PGM_RSRC2:TGID_X_EN: 1
; COMPUTE_PGM_RSRC2:TGID_Y_EN: 1
; COMPUTE_PGM_RSRC2:TGID_Z_EN: 1
; COMPUTE_PGM_RSRC2:TIDIG_COMP_CNT: 1
	.section	.text._ZN12_GLOBAL__N_135rocblas_gemm_batched_general_kernelIDF16_Li16ELi16ELi32ELi32ELi8ELi32ELi8ELi8ELi32ELc78ELc84EKDF16_S1_DF16_EEvlllT_PT11_llS4_llS2_PT12_llPT13_lli,"axG",@progbits,_ZN12_GLOBAL__N_135rocblas_gemm_batched_general_kernelIDF16_Li16ELi16ELi32ELi32ELi8ELi32ELi8ELi8ELi32ELc78ELc84EKDF16_S1_DF16_EEvlllT_PT11_llS4_llS2_PT12_llPT13_lli,comdat
	.globl	_ZN12_GLOBAL__N_135rocblas_gemm_batched_general_kernelIDF16_Li16ELi16ELi32ELi32ELi8ELi32ELi8ELi8ELi32ELc78ELc84EKDF16_S1_DF16_EEvlllT_PT11_llS4_llS2_PT12_llPT13_lli ; -- Begin function _ZN12_GLOBAL__N_135rocblas_gemm_batched_general_kernelIDF16_Li16ELi16ELi32ELi32ELi8ELi32ELi8ELi8ELi32ELc78ELc84EKDF16_S1_DF16_EEvlllT_PT11_llS4_llS2_PT12_llPT13_lli
	.p2align	8
	.type	_ZN12_GLOBAL__N_135rocblas_gemm_batched_general_kernelIDF16_Li16ELi16ELi32ELi32ELi8ELi32ELi8ELi8ELi32ELc78ELc84EKDF16_S1_DF16_EEvlllT_PT11_llS4_llS2_PT12_llPT13_lli,@function
_ZN12_GLOBAL__N_135rocblas_gemm_batched_general_kernelIDF16_Li16ELi16ELi32ELi32ELi8ELi32ELi8ELi8ELi32ELc78ELc84EKDF16_S1_DF16_EEvlllT_PT11_llS4_llS2_PT12_llPT13_lli: ; @_ZN12_GLOBAL__N_135rocblas_gemm_batched_general_kernelIDF16_Li16ELi16ELi32ELi32ELi8ELi32ELi8ELi8ELi32ELc78ELc84EKDF16_S1_DF16_EEvlllT_PT11_llS4_llS2_PT12_llPT13_lli
; %bb.0:
	s_load_b32 s33, s[0:1], 0x88
	s_lshr_b32 s34, ttmp7, 16
	s_wait_kmcnt 0x0
	s_cmp_ge_i32 s34, s33
	s_cbranch_scc1 .LBB22_35
; %bb.1:
	s_clause 0x5
	s_load_b128 s[4:7], s[0:1], 0x0
	s_load_b96 s[36:38], s[0:1], 0x10
	s_load_b256 s[16:23], s[0:1], 0x20
	s_load_b128 s[28:31], s[0:1], 0x40
	s_load_b32 s39, s[0:1], 0x50
	s_load_b128 s[24:27], s[0:1], 0x78
	v_bfe_u32 v4, v0, 10, 10
	s_mov_b32 s40, ttmp9
	s_ashr_i32 s41, ttmp9, 31
	v_and_b32_e32 v12, 7, v0
	s_lshl_b64 s[44:45], s[40:41], 5
	s_delay_alu instid0(SALU_CYCLE_1)
	v_dual_mov_b32 v1, s45 :: v_dual_and_b32 v6, 0x3ff, v0
	v_lshlrev_b32_e32 v7, 4, v4
	s_load_b256 s[8:15], s[0:1], 0x58
	s_and_b32 s43, ttmp7, 0xffff
	s_mov_b32 s35, 0
	s_lshl_b32 s2, s43, 5
	v_add_nc_u32_e32 v17, 0x200, v7
	s_wait_kmcnt 0x0
	v_mad_co_u64_u32 v[8:9], null, s28, v12, 0
	v_add_nc_u32_e32 v2, v7, v6
	s_cmp_eq_f16 s39, 0
	s_delay_alu instid0(VALU_DEP_1) | instskip(SKIP_3) | instid1(VALU_DEP_3)
	v_and_b32_e32 v3, 31, v2
	v_lshrrev_b32_e32 v24, 3, v2
	v_lshrrev_b32_e32 v13, 5, v2
	s_cselect_b32 s42, -1, 0
	v_or_b32_e32 v0, s44, v3
	s_delay_alu instid0(VALU_DEP_3) | instskip(SKIP_4) | instid1(VALU_DEP_4)
	v_add_co_u32 v2, s0, v24, s2
	v_add_co_u32 v4, s2, s2, v4
	v_lshlrev_b32_e32 v25, 1, v3
	v_add_co_ci_u32_e64 v3, null, 0, 0, s0
	v_cmp_gt_i64_e64 s0, s[4:5], v[0:1]
	v_mad_co_u64_u32 v[0:1], null, v4, s24, 0
	s_delay_alu instid0(VALU_DEP_3) | instskip(SKIP_4) | instid1(VALU_DEP_3)
	v_cmp_gt_i64_e64 s1, s[6:7], v[2:3]
	v_add_co_u32 v2, s3, s44, v6
	s_wait_alu 0xf1ff
	v_add_co_ci_u32_e64 v3, null, s45, 0, s3
	v_lshl_or_b32 v14, v13, 6, v25
	v_mad_co_u64_u32 v[18:19], null, v4, s25, v[1:2]
	v_lshlrev_b32_e32 v16, 1, v6
	v_mad_co_u64_u32 v[6:7], null, v4, s10, 0
	v_add_co_u32 v10, vcc_lo, v2, 16
	s_delay_alu instid0(VALU_DEP_1) | instskip(SKIP_1) | instid1(VALU_DEP_4)
	v_add_co_ci_u32_e64 v11, null, 0, v3, vcc_lo
	v_add_co_u32 v19, vcc_lo, v4, 16
	v_mov_b32_e32 v1, v7
	v_lshlrev_b32_e32 v5, 1, v12
	v_mov_b32_e32 v7, v9
	v_cmp_gt_i64_e64 s3, s[4:5], v[2:3]
	v_cmp_gt_i64_e64 s4, s[4:5], v[10:11]
	s_lshl_b64 s[44:45], s[10:11], 4
	v_lshl_or_b32 v5, v24, 4, v5
	v_mad_co_u64_u32 v[21:22], null, s29, v12, v[7:8]
	v_mad_co_u64_u32 v[22:23], null, s18, v13, 0
	s_delay_alu instid0(VALU_DEP_3) | instskip(SKIP_1) | instid1(VALU_DEP_4)
	v_add_nc_u32_e32 v15, 0x200, v5
	v_add_co_ci_u32_e64 v5, null, 0, 0, s2
	v_mov_b32_e32 v9, v21
	s_delay_alu instid0(VALU_DEP_2) | instskip(SKIP_4) | instid1(VALU_DEP_3)
	v_cmp_gt_i64_e64 s2, s[6:7], v[4:5]
	s_wait_alu 0xfffd
	v_add_co_ci_u32_e64 v20, null, 0, v5, vcc_lo
	v_mad_co_u64_u32 v[4:5], null, v4, s11, v[1:2]
	v_mov_b32_e32 v1, v18
	v_cmp_gt_i64_e64 s5, s[6:7], v[19:20]
	s_lshl_b64 s[6:7], s[24:25], 4
	v_cmp_gt_i64_e64 s24, s[36:37], 0
	s_lshl_b64 s[10:11], s[28:29], 4
	v_dual_mov_b32 v7, v4 :: v_dual_mov_b32 v4, v23
	s_delay_alu instid0(VALU_DEP_1) | instskip(SKIP_1) | instid1(VALU_DEP_2)
	v_lshlrev_b64_e32 v[5:6], 1, v[6:7]
	v_lshlrev_b64_e32 v[7:8], 1, v[8:9]
	v_mad_co_u64_u32 v[9:10], null, s19, v13, v[4:5]
	v_add_co_u32 v18, vcc_lo, s8, v5
	s_lshl_b32 s8, s43, 6
	s_wait_alu 0xfffd
	v_add_co_ci_u32_e64 v19, null, s9, v6, vcc_lo
	v_lshlrev_b32_e32 v4, 1, v24
	s_wait_alu 0xfffe
	v_add_co_u32 v5, vcc_lo, v7, s8
	s_wait_alu 0xfffd
	v_add_co_ci_u32_e64 v6, null, 0, v8, vcc_lo
	v_mov_b32_e32 v23, v9
	s_delay_alu instid0(VALU_DEP_3) | instskip(SKIP_1) | instid1(VALU_DEP_3)
	v_add_co_u32 v4, vcc_lo, v5, v4
	s_wait_alu 0xfffd
	v_add_co_ci_u32_e64 v5, null, 0, v6, vcc_lo
	s_delay_alu instid0(VALU_DEP_3) | instskip(NEXT) | instid1(VALU_DEP_3)
	v_lshlrev_b64_e32 v[6:7], 1, v[22:23]
	v_add_co_u32 v4, vcc_lo, s22, v4
	s_lshl_b64 s[8:9], s[40:41], 6
	s_wait_alu 0xfffd
	v_add_co_ci_u32_e64 v5, null, s23, v5, vcc_lo
	s_wait_alu 0xfffe
	v_add_co_u32 v6, vcc_lo, v6, s8
	s_wait_alu 0xfffd
	v_add_co_ci_u32_e64 v7, null, s9, v7, vcc_lo
	s_lshl_b64 s[8:9], s[30:31], 1
	v_add_co_u32 v6, vcc_lo, v6, v25
	s_wait_alu 0xfffd
	v_add_co_ci_u32_e64 v7, null, 0, v7, vcc_lo
	s_lshl_b64 s[18:19], s[18:19], 4
	;; [unrolled: 4-line block ×3, first 2 shown]
	s_lshl_b64 s[20:21], s[44:45], 1
	s_branch .LBB22_4
.LBB22_2:                               ;   in Loop: Header=BB22_4 Depth=1
	s_wait_alu 0xfffe
	s_or_b32 exec_lo, exec_lo, s25
.LBB22_3:                               ;   in Loop: Header=BB22_4 Depth=1
	s_add_co_i32 s34, s34, 0x10000
	s_wait_alu 0xfffe
	s_cmp_lt_i32 s34, s33
	s_cbranch_scc0 .LBB22_35
.LBB22_4:                               ; =>This Loop Header: Depth=1
                                        ;     Child Loop BB22_7 Depth 2
	s_and_not1_b32 vcc_lo, exec_lo, s24
	s_wait_alu 0xfffe
	s_cbranch_vccnz .LBB22_11
; %bb.5:                                ;   in Loop: Header=BB22_4 Depth=1
	v_mad_co_u64_u32 v[8:9], null, s8, s34, v[4:5]
	v_mad_co_u64_u32 v[10:11], null, s16, s34, v[6:7]
	s_mov_b64 s[22:23], 0
	v_mad_co_u64_u32 v[20:21], null, s9, s34, v[9:10]
	v_mad_co_u64_u32 v[22:23], null, s17, s34, v[11:12]
	v_mov_b32_e32 v21, 0
	s_delay_alu instid0(VALU_DEP_3) | instskip(NEXT) | instid1(VALU_DEP_3)
	v_dual_mov_b32 v9, v20 :: v_dual_mov_b32 v20, 0
	v_mov_b32_e32 v11, v22
	s_branch .LBB22_7
.LBB22_6:                               ;   in Loop: Header=BB22_7 Depth=2
	s_wait_alu 0xfffe
	s_or_b32 exec_lo, exec_lo, s25
	s_wait_loadcnt 0x0
	ds_store_b16 v15, v23
	s_wait_dscnt 0x0
	s_barrier_signal -1
	s_barrier_wait -1
	global_inv scope:SCOPE_SE
	ds_load_u16 v30, v16
	ds_load_u16 v31, v16 offset:64
	ds_load_u16 v32, v16 offset:128
	;; [unrolled: 1-line block ×7, first 2 shown]
	s_add_nc_u64 s[22:23], s[22:23], 8
	v_add_co_u32 v8, vcc_lo, v8, s10
	s_wait_alu 0xfffe
	v_cmp_lt_i64_e64 s25, s[22:23], s[36:37]
	s_wait_alu 0xfffd
	v_add_co_ci_u32_e64 v9, null, s11, v9, vcc_lo
	v_add_co_u32 v10, vcc_lo, v10, s18
	s_wait_alu 0xfffd
	v_add_co_ci_u32_e64 v11, null, s19, v11, vcc_lo
	s_and_b32 vcc_lo, exec_lo, s25
	s_wait_dscnt 0x7
	ds_load_u16_d16_hi v30, v16 offset:32
	ds_load_b128 v[22:25], v17
	ds_load_b128 v[26:29], v17 offset:256
	s_wait_dscnt 0x9
	ds_load_u16_d16_hi v31, v16 offset:96
	s_wait_dscnt 0x9
	ds_load_u16_d16_hi v32, v16 offset:160
	;; [unrolled: 2-line block ×7, first 2 shown]
	s_wait_loadcnt_dscnt 0x0
	s_barrier_signal -1
	s_barrier_wait -1
	global_inv scope:SCOPE_SE
	v_pk_fma_f16 v21, v30, v22, v21 op_sel_hi:[1,0,1]
	v_pk_fma_f16 v20, v30, v26, v20 op_sel_hi:[1,0,1]
	s_delay_alu instid0(VALU_DEP_2) | instskip(NEXT) | instid1(VALU_DEP_2)
	v_pk_fma_f16 v21, v31, v22, v21 op_sel:[0,1,0]
	v_pk_fma_f16 v20, v31, v26, v20 op_sel:[0,1,0]
	s_delay_alu instid0(VALU_DEP_2) | instskip(NEXT) | instid1(VALU_DEP_2)
	v_pk_fma_f16 v21, v32, v23, v21 op_sel_hi:[1,0,1]
	v_pk_fma_f16 v20, v32, v27, v20 op_sel_hi:[1,0,1]
	s_delay_alu instid0(VALU_DEP_2) | instskip(NEXT) | instid1(VALU_DEP_2)
	v_pk_fma_f16 v21, v33, v23, v21 op_sel:[0,1,0]
	v_pk_fma_f16 v20, v33, v27, v20 op_sel:[0,1,0]
	s_delay_alu instid0(VALU_DEP_2) | instskip(NEXT) | instid1(VALU_DEP_2)
	;; [unrolled: 6-line block ×3, first 2 shown]
	v_pk_fma_f16 v21, v36, v25, v21 op_sel_hi:[1,0,1]
	v_pk_fma_f16 v20, v36, v29, v20 op_sel_hi:[1,0,1]
	s_delay_alu instid0(VALU_DEP_2) | instskip(NEXT) | instid1(VALU_DEP_2)
	v_pk_fma_f16 v21, v37, v25, v21 op_sel:[0,1,0]
	v_pk_fma_f16 v20, v37, v29, v20 op_sel:[0,1,0]
	s_wait_alu 0xfffe
	s_cbranch_vccz .LBB22_12
.LBB22_7:                               ;   Parent Loop BB22_4 Depth=1
                                        ; =>  This Inner Loop Header: Depth=2
	s_wait_alu 0xfffe
	v_add_co_u32 v22, s25, v13, s22
	s_wait_alu 0xf1ff
	v_add_co_ci_u32_e64 v23, null, 0, s23, s25
	s_delay_alu instid0(VALU_DEP_1)
	v_cmp_gt_i64_e32 vcc_lo, s[36:37], v[22:23]
	v_mov_b32_e32 v22, 0
	s_and_b32 s28, s0, vcc_lo
	s_wait_alu 0xfffe
	s_and_saveexec_b32 s25, s28
	s_cbranch_execz .LBB22_9
; %bb.8:                                ;   in Loop: Header=BB22_7 Depth=2
	global_load_u16 v22, v[10:11], off
.LBB22_9:                               ;   in Loop: Header=BB22_7 Depth=2
	s_wait_alu 0xfffe
	s_or_b32 exec_lo, exec_lo, s25
	v_add_co_u32 v23, s25, v12, s22
	s_wait_alu 0xf1ff
	v_add_co_ci_u32_e64 v24, null, 0, s23, s25
	s_wait_loadcnt 0x0
	ds_store_b16 v14, v22
	v_cmp_gt_i64_e32 vcc_lo, s[36:37], v[23:24]
	v_mov_b32_e32 v23, 0
	s_and_b32 s28, vcc_lo, s1
	s_wait_alu 0xfffe
	s_and_saveexec_b32 s25, s28
	s_cbranch_execz .LBB22_6
; %bb.10:                               ;   in Loop: Header=BB22_7 Depth=2
	global_load_u16 v23, v[8:9], off
	s_branch .LBB22_6
.LBB22_11:                              ;   in Loop: Header=BB22_4 Depth=1
	v_dual_mov_b32 v21, 0 :: v_dual_mov_b32 v20, 0
.LBB22_12:                              ;   in Loop: Header=BB22_4 Depth=1
	s_mul_u64 s[22:23], s[26:27], s[34:35]
	s_and_not1_b32 vcc_lo, exec_lo, s42
	s_wait_alu 0xfffe
	s_lshl_b64 s[22:23], s[22:23], 1
	s_wait_alu 0xfffe
	s_add_nc_u64 s[22:23], s[14:15], s[22:23]
	s_cbranch_vccnz .LBB22_17
; %bb.13:                               ;   in Loop: Header=BB22_4 Depth=1
	s_and_saveexec_b32 s25, s2
	s_cbranch_execz .LBB22_24
; %bb.14:                               ;   in Loop: Header=BB22_4 Depth=1
	v_lshlrev_b64_e32 v[8:9], 1, v[0:1]
	s_wait_alu 0xfffe
	s_delay_alu instid0(VALU_DEP_1) | instskip(SKIP_1) | instid1(VALU_DEP_2)
	v_add_co_u32 v8, vcc_lo, s22, v8
	s_wait_alu 0xfffd
	v_add_co_ci_u32_e64 v9, null, s23, v9, vcc_lo
	s_and_saveexec_b32 s28, s3
	s_cbranch_execnz .LBB22_18
; %bb.15:                               ;   in Loop: Header=BB22_4 Depth=1
	s_wait_alu 0xfffe
	s_or_b32 exec_lo, exec_lo, s28
	s_and_saveexec_b32 s28, s4
	s_cbranch_execnz .LBB22_19
.LBB22_16:                              ;   in Loop: Header=BB22_4 Depth=1
	s_wait_alu 0xfffe
	s_or_b32 exec_lo, exec_lo, s28
	s_delay_alu instid0(SALU_CYCLE_1)
	s_and_b32 exec_lo, exec_lo, s5
	s_cbranch_execnz .LBB22_20
	s_branch .LBB22_24
.LBB22_17:                              ;   in Loop: Header=BB22_4 Depth=1
	s_branch .LBB22_25
.LBB22_18:                              ;   in Loop: Header=BB22_4 Depth=1
	v_lshlrev_b64_e32 v[10:11], 1, v[2:3]
	v_mul_f16_e32 v22, s38, v21
	s_delay_alu instid0(VALU_DEP_2) | instskip(SKIP_1) | instid1(VALU_DEP_3)
	v_add_co_u32 v10, vcc_lo, v8, v10
	s_wait_alu 0xfffd
	v_add_co_ci_u32_e64 v11, null, v9, v11, vcc_lo
	global_store_b16 v[10:11], v22, off
	s_wait_alu 0xfffe
	s_or_b32 exec_lo, exec_lo, s28
	s_and_saveexec_b32 s28, s4
	s_cbranch_execz .LBB22_16
.LBB22_19:                              ;   in Loop: Header=BB22_4 Depth=1
	v_lshlrev_b64_e32 v[10:11], 1, v[2:3]
	v_lshrrev_b32_e32 v22, 16, v21
	s_delay_alu instid0(VALU_DEP_1) | instskip(NEXT) | instid1(VALU_DEP_3)
	v_mul_f16_e32 v22, s38, v22
	v_add_co_u32 v10, vcc_lo, v8, v10
	s_wait_alu 0xfffd
	s_delay_alu instid0(VALU_DEP_4) | instskip(SKIP_3) | instid1(SALU_CYCLE_1)
	v_add_co_ci_u32_e64 v11, null, v9, v11, vcc_lo
	global_store_b16 v[10:11], v22, off offset:32
	s_wait_alu 0xfffe
	s_or_b32 exec_lo, exec_lo, s28
	s_and_b32 exec_lo, exec_lo, s5
	s_cbranch_execz .LBB22_24
.LBB22_20:                              ;   in Loop: Header=BB22_4 Depth=1
	s_lshl_b64 s[28:29], s[6:7], 1
	v_lshlrev_b64_e32 v[10:11], 1, v[2:3]
	s_wait_alu 0xfffe
	v_add_co_u32 v8, vcc_lo, v8, s28
	s_wait_alu 0xfffd
	v_add_co_ci_u32_e64 v9, null, s29, v9, vcc_lo
	s_delay_alu instid0(VALU_DEP_2) | instskip(SKIP_1) | instid1(VALU_DEP_2)
	v_add_co_u32 v8, vcc_lo, v8, v10
	s_wait_alu 0xfffd
	v_add_co_ci_u32_e64 v9, null, v9, v11, vcc_lo
	s_and_saveexec_b32 s28, s3
	s_cbranch_execz .LBB22_22
; %bb.21:                               ;   in Loop: Header=BB22_4 Depth=1
	v_mul_f16_e32 v10, s38, v20
	global_store_b16 v[8:9], v10, off
.LBB22_22:                              ;   in Loop: Header=BB22_4 Depth=1
	s_wait_alu 0xfffe
	s_or_b32 exec_lo, exec_lo, s28
	s_delay_alu instid0(SALU_CYCLE_1)
	s_and_b32 exec_lo, exec_lo, s4
	s_cbranch_execz .LBB22_24
; %bb.23:                               ;   in Loop: Header=BB22_4 Depth=1
	v_lshrrev_b32_e32 v10, 16, v20
	s_delay_alu instid0(VALU_DEP_1)
	v_mul_f16_e32 v10, s38, v10
	global_store_b16 v[8:9], v10, off offset:32
.LBB22_24:                              ;   in Loop: Header=BB22_4 Depth=1
	s_wait_alu 0xfffe
	s_or_b32 exec_lo, exec_lo, s25
	s_cbranch_execnz .LBB22_3
.LBB22_25:                              ;   in Loop: Header=BB22_4 Depth=1
	s_and_saveexec_b32 s25, s2
	s_cbranch_execz .LBB22_2
; %bb.26:                               ;   in Loop: Header=BB22_4 Depth=1
	s_mul_u64 s[28:29], s[12:13], s[34:35]
	v_lshlrev_b64_e32 v[22:23], 1, v[0:1]
	s_wait_alu 0xfffe
	s_lshl_b64 s[28:29], s[28:29], 1
	v_lshlrev_b64_e32 v[8:9], 1, v[2:3]
	s_wait_alu 0xfffe
	v_add_co_u32 v10, vcc_lo, v18, s28
	s_wait_alu 0xfffd
	v_add_co_ci_u32_e64 v11, null, s29, v19, vcc_lo
	v_add_co_u32 v22, vcc_lo, s22, v22
	s_wait_alu 0xfffd
	v_add_co_ci_u32_e64 v23, null, s23, v23, vcc_lo
	s_and_saveexec_b32 s22, s3
	s_cbranch_execnz .LBB22_29
; %bb.27:                               ;   in Loop: Header=BB22_4 Depth=1
	s_wait_alu 0xfffe
	s_or_b32 exec_lo, exec_lo, s22
	s_and_saveexec_b32 s22, s4
	s_cbranch_execnz .LBB22_30
.LBB22_28:                              ;   in Loop: Header=BB22_4 Depth=1
	s_wait_alu 0xfffe
	s_or_b32 exec_lo, exec_lo, s22
	s_delay_alu instid0(SALU_CYCLE_1)
	s_and_b32 exec_lo, exec_lo, s5
	s_cbranch_execz .LBB22_2
	s_branch .LBB22_31
.LBB22_29:                              ;   in Loop: Header=BB22_4 Depth=1
	v_add_co_u32 v24, vcc_lo, v10, v8
	s_wait_alu 0xfffd
	v_add_co_ci_u32_e64 v25, null, v11, v9, vcc_lo
	global_load_u16 v24, v[24:25], off
	s_wait_loadcnt 0x0
	v_mul_f16_e32 v26, s39, v24
	v_add_co_u32 v24, vcc_lo, v22, v8
	s_wait_alu 0xfffd
	v_add_co_ci_u32_e64 v25, null, v23, v9, vcc_lo
	s_delay_alu instid0(VALU_DEP_3)
	v_fmac_f16_e32 v26, s38, v21
	global_store_b16 v[24:25], v26, off
	s_wait_alu 0xfffe
	s_or_b32 exec_lo, exec_lo, s22
	s_and_saveexec_b32 s22, s4
	s_cbranch_execz .LBB22_28
.LBB22_30:                              ;   in Loop: Header=BB22_4 Depth=1
	v_add_co_u32 v24, vcc_lo, v10, v8
	s_wait_alu 0xfffd
	v_add_co_ci_u32_e64 v25, null, v11, v9, vcc_lo
	v_lshrrev_b32_e32 v21, 16, v21
	global_load_u16 v24, v[24:25], off offset:32
	s_wait_loadcnt 0x0
	v_mul_f16_e32 v26, s39, v24
	v_add_co_u32 v24, vcc_lo, v22, v8
	s_wait_alu 0xfffd
	v_add_co_ci_u32_e64 v25, null, v23, v9, vcc_lo
	s_delay_alu instid0(VALU_DEP_3) | instskip(SKIP_3) | instid1(SALU_CYCLE_1)
	v_fmac_f16_e32 v26, s38, v21
	global_store_b16 v[24:25], v26, off offset:32
	s_wait_alu 0xfffe
	s_or_b32 exec_lo, exec_lo, s22
	s_and_b32 exec_lo, exec_lo, s5
	s_cbranch_execz .LBB22_2
.LBB22_31:                              ;   in Loop: Header=BB22_4 Depth=1
	v_add_co_u32 v10, vcc_lo, v10, s20
	s_lshl_b64 s[22:23], s[6:7], 1
	s_wait_alu 0xfffd
	v_add_co_ci_u32_e64 v11, null, s21, v11, vcc_lo
	s_wait_alu 0xfffe
	v_add_co_u32 v21, vcc_lo, v22, s22
	s_wait_alu 0xfffd
	v_add_co_ci_u32_e64 v22, null, s23, v23, vcc_lo
	v_add_co_u32 v10, vcc_lo, v10, v8
	s_wait_alu 0xfffd
	v_add_co_ci_u32_e64 v11, null, v11, v9, vcc_lo
	;; [unrolled: 3-line block ×3, first 2 shown]
	s_and_saveexec_b32 s22, s3
	s_cbranch_execz .LBB22_33
; %bb.32:                               ;   in Loop: Header=BB22_4 Depth=1
	global_load_u16 v21, v[10:11], off
	s_wait_loadcnt 0x0
	v_mul_f16_e32 v21, s39, v21
	s_delay_alu instid0(VALU_DEP_1)
	v_fmac_f16_e32 v21, s38, v20
	global_store_b16 v[8:9], v21, off
.LBB22_33:                              ;   in Loop: Header=BB22_4 Depth=1
	s_wait_alu 0xfffe
	s_or_b32 exec_lo, exec_lo, s22
	s_delay_alu instid0(SALU_CYCLE_1)
	s_and_b32 exec_lo, exec_lo, s4
	s_cbranch_execz .LBB22_2
; %bb.34:                               ;   in Loop: Header=BB22_4 Depth=1
	global_load_u16 v10, v[10:11], off offset:32
	v_lshrrev_b32_e32 v11, 16, v20
	s_wait_loadcnt 0x0
	v_mul_f16_e32 v10, s39, v10
	s_delay_alu instid0(VALU_DEP_1)
	v_fmac_f16_e32 v10, s38, v11
	global_store_b16 v[8:9], v10, off offset:32
	s_branch .LBB22_2
.LBB22_35:
	s_endpgm
	.section	.rodata,"a",@progbits
	.p2align	6, 0x0
	.amdhsa_kernel _ZN12_GLOBAL__N_135rocblas_gemm_batched_general_kernelIDF16_Li16ELi16ELi32ELi32ELi8ELi32ELi8ELi8ELi32ELc78ELc84EKDF16_S1_DF16_EEvlllT_PT11_llS4_llS2_PT12_llPT13_lli
		.amdhsa_group_segment_fixed_size 1024
		.amdhsa_private_segment_fixed_size 0
		.amdhsa_kernarg_size 140
		.amdhsa_user_sgpr_count 2
		.amdhsa_user_sgpr_dispatch_ptr 0
		.amdhsa_user_sgpr_queue_ptr 0
		.amdhsa_user_sgpr_kernarg_segment_ptr 1
		.amdhsa_user_sgpr_dispatch_id 0
		.amdhsa_user_sgpr_private_segment_size 0
		.amdhsa_wavefront_size32 1
		.amdhsa_uses_dynamic_stack 0
		.amdhsa_enable_private_segment 0
		.amdhsa_system_sgpr_workgroup_id_x 1
		.amdhsa_system_sgpr_workgroup_id_y 1
		.amdhsa_system_sgpr_workgroup_id_z 1
		.amdhsa_system_sgpr_workgroup_info 0
		.amdhsa_system_vgpr_workitem_id 1
		.amdhsa_next_free_vgpr 38
		.amdhsa_next_free_sgpr 46
		.amdhsa_reserve_vcc 1
		.amdhsa_float_round_mode_32 0
		.amdhsa_float_round_mode_16_64 0
		.amdhsa_float_denorm_mode_32 3
		.amdhsa_float_denorm_mode_16_64 3
		.amdhsa_fp16_overflow 0
		.amdhsa_workgroup_processor_mode 1
		.amdhsa_memory_ordered 1
		.amdhsa_forward_progress 1
		.amdhsa_inst_pref_size 19
		.amdhsa_round_robin_scheduling 0
		.amdhsa_exception_fp_ieee_invalid_op 0
		.amdhsa_exception_fp_denorm_src 0
		.amdhsa_exception_fp_ieee_div_zero 0
		.amdhsa_exception_fp_ieee_overflow 0
		.amdhsa_exception_fp_ieee_underflow 0
		.amdhsa_exception_fp_ieee_inexact 0
		.amdhsa_exception_int_div_zero 0
	.end_amdhsa_kernel
	.section	.text._ZN12_GLOBAL__N_135rocblas_gemm_batched_general_kernelIDF16_Li16ELi16ELi32ELi32ELi8ELi32ELi8ELi8ELi32ELc78ELc84EKDF16_S1_DF16_EEvlllT_PT11_llS4_llS2_PT12_llPT13_lli,"axG",@progbits,_ZN12_GLOBAL__N_135rocblas_gemm_batched_general_kernelIDF16_Li16ELi16ELi32ELi32ELi8ELi32ELi8ELi8ELi32ELc78ELc84EKDF16_S1_DF16_EEvlllT_PT11_llS4_llS2_PT12_llPT13_lli,comdat
.Lfunc_end22:
	.size	_ZN12_GLOBAL__N_135rocblas_gemm_batched_general_kernelIDF16_Li16ELi16ELi32ELi32ELi8ELi32ELi8ELi8ELi32ELc78ELc84EKDF16_S1_DF16_EEvlllT_PT11_llS4_llS2_PT12_llPT13_lli, .Lfunc_end22-_ZN12_GLOBAL__N_135rocblas_gemm_batched_general_kernelIDF16_Li16ELi16ELi32ELi32ELi8ELi32ELi8ELi8ELi32ELc78ELc84EKDF16_S1_DF16_EEvlllT_PT11_llS4_llS2_PT12_llPT13_lli
                                        ; -- End function
	.set _ZN12_GLOBAL__N_135rocblas_gemm_batched_general_kernelIDF16_Li16ELi16ELi32ELi32ELi8ELi32ELi8ELi8ELi32ELc78ELc84EKDF16_S1_DF16_EEvlllT_PT11_llS4_llS2_PT12_llPT13_lli.num_vgpr, 38
	.set _ZN12_GLOBAL__N_135rocblas_gemm_batched_general_kernelIDF16_Li16ELi16ELi32ELi32ELi8ELi32ELi8ELi8ELi32ELc78ELc84EKDF16_S1_DF16_EEvlllT_PT11_llS4_llS2_PT12_llPT13_lli.num_agpr, 0
	.set _ZN12_GLOBAL__N_135rocblas_gemm_batched_general_kernelIDF16_Li16ELi16ELi32ELi32ELi8ELi32ELi8ELi8ELi32ELc78ELc84EKDF16_S1_DF16_EEvlllT_PT11_llS4_llS2_PT12_llPT13_lli.numbered_sgpr, 46
	.set _ZN12_GLOBAL__N_135rocblas_gemm_batched_general_kernelIDF16_Li16ELi16ELi32ELi32ELi8ELi32ELi8ELi8ELi32ELc78ELc84EKDF16_S1_DF16_EEvlllT_PT11_llS4_llS2_PT12_llPT13_lli.num_named_barrier, 0
	.set _ZN12_GLOBAL__N_135rocblas_gemm_batched_general_kernelIDF16_Li16ELi16ELi32ELi32ELi8ELi32ELi8ELi8ELi32ELc78ELc84EKDF16_S1_DF16_EEvlllT_PT11_llS4_llS2_PT12_llPT13_lli.private_seg_size, 0
	.set _ZN12_GLOBAL__N_135rocblas_gemm_batched_general_kernelIDF16_Li16ELi16ELi32ELi32ELi8ELi32ELi8ELi8ELi32ELc78ELc84EKDF16_S1_DF16_EEvlllT_PT11_llS4_llS2_PT12_llPT13_lli.uses_vcc, 1
	.set _ZN12_GLOBAL__N_135rocblas_gemm_batched_general_kernelIDF16_Li16ELi16ELi32ELi32ELi8ELi32ELi8ELi8ELi32ELc78ELc84EKDF16_S1_DF16_EEvlllT_PT11_llS4_llS2_PT12_llPT13_lli.uses_flat_scratch, 0
	.set _ZN12_GLOBAL__N_135rocblas_gemm_batched_general_kernelIDF16_Li16ELi16ELi32ELi32ELi8ELi32ELi8ELi8ELi32ELc78ELc84EKDF16_S1_DF16_EEvlllT_PT11_llS4_llS2_PT12_llPT13_lli.has_dyn_sized_stack, 0
	.set _ZN12_GLOBAL__N_135rocblas_gemm_batched_general_kernelIDF16_Li16ELi16ELi32ELi32ELi8ELi32ELi8ELi8ELi32ELc78ELc84EKDF16_S1_DF16_EEvlllT_PT11_llS4_llS2_PT12_llPT13_lli.has_recursion, 0
	.set _ZN12_GLOBAL__N_135rocblas_gemm_batched_general_kernelIDF16_Li16ELi16ELi32ELi32ELi8ELi32ELi8ELi8ELi32ELc78ELc84EKDF16_S1_DF16_EEvlllT_PT11_llS4_llS2_PT12_llPT13_lli.has_indirect_call, 0
	.section	.AMDGPU.csdata,"",@progbits
; Kernel info:
; codeLenInByte = 2324
; TotalNumSgprs: 48
; NumVgprs: 38
; ScratchSize: 0
; MemoryBound: 0
; FloatMode: 240
; IeeeMode: 1
; LDSByteSize: 1024 bytes/workgroup (compile time only)
; SGPRBlocks: 0
; VGPRBlocks: 4
; NumSGPRsForWavesPerEU: 48
; NumVGPRsForWavesPerEU: 38
; Occupancy: 16
; WaveLimiterHint : 0
; COMPUTE_PGM_RSRC2:SCRATCH_EN: 0
; COMPUTE_PGM_RSRC2:USER_SGPR: 2
; COMPUTE_PGM_RSRC2:TRAP_HANDLER: 0
; COMPUTE_PGM_RSRC2:TGID_X_EN: 1
; COMPUTE_PGM_RSRC2:TGID_Y_EN: 1
; COMPUTE_PGM_RSRC2:TGID_Z_EN: 1
; COMPUTE_PGM_RSRC2:TIDIG_COMP_CNT: 1
	.section	.text._ZN12_GLOBAL__N_135rocblas_gemm_batched_general_kernelIDF16_Li16ELi16ELi32ELi32ELi8ELi32ELi8ELi8ELi32ELc84ELc84EKDF16_S1_DF16_EEvlllT_PT11_llS4_llS2_PT12_llPT13_lli,"axG",@progbits,_ZN12_GLOBAL__N_135rocblas_gemm_batched_general_kernelIDF16_Li16ELi16ELi32ELi32ELi8ELi32ELi8ELi8ELi32ELc84ELc84EKDF16_S1_DF16_EEvlllT_PT11_llS4_llS2_PT12_llPT13_lli,comdat
	.globl	_ZN12_GLOBAL__N_135rocblas_gemm_batched_general_kernelIDF16_Li16ELi16ELi32ELi32ELi8ELi32ELi8ELi8ELi32ELc84ELc84EKDF16_S1_DF16_EEvlllT_PT11_llS4_llS2_PT12_llPT13_lli ; -- Begin function _ZN12_GLOBAL__N_135rocblas_gemm_batched_general_kernelIDF16_Li16ELi16ELi32ELi32ELi8ELi32ELi8ELi8ELi32ELc84ELc84EKDF16_S1_DF16_EEvlllT_PT11_llS4_llS2_PT12_llPT13_lli
	.p2align	8
	.type	_ZN12_GLOBAL__N_135rocblas_gemm_batched_general_kernelIDF16_Li16ELi16ELi32ELi32ELi8ELi32ELi8ELi8ELi32ELc84ELc84EKDF16_S1_DF16_EEvlllT_PT11_llS4_llS2_PT12_llPT13_lli,@function
_ZN12_GLOBAL__N_135rocblas_gemm_batched_general_kernelIDF16_Li16ELi16ELi32ELi32ELi8ELi32ELi8ELi8ELi32ELc84ELc84EKDF16_S1_DF16_EEvlllT_PT11_llS4_llS2_PT12_llPT13_lli: ; @_ZN12_GLOBAL__N_135rocblas_gemm_batched_general_kernelIDF16_Li16ELi16ELi32ELi32ELi8ELi32ELi8ELi8ELi32ELc84ELc84EKDF16_S1_DF16_EEvlllT_PT11_llS4_llS2_PT12_llPT13_lli
; %bb.0:
	s_load_b32 s33, s[0:1], 0x88
	s_lshr_b32 s34, ttmp7, 16
	s_wait_kmcnt 0x0
	s_cmp_ge_i32 s34, s33
	s_cbranch_scc1 .LBB23_35
; %bb.1:
	v_bfe_u32 v2, v0, 10, 10
	s_mov_b32 s2, ttmp9
	s_ashr_i32 s3, ttmp9, 31
	v_and_b32_e32 v3, 0x3ff, v0
	s_lshl_b64 s[40:41], s[2:3], 5
	s_delay_alu instid0(SALU_CYCLE_1)
	v_dual_mov_b32 v5, s41 :: v_dual_lshlrev_b32 v6, 4, v2
	s_clause 0x6
	s_load_b128 s[4:7], s[0:1], 0x0
	s_load_b96 s[36:38], s[0:1], 0x10
	s_load_b256 s[8:15], s[0:1], 0x58
	s_load_b256 s[16:23], s[0:1], 0x20
	s_load_b128 s[28:31], s[0:1], 0x40
	s_load_b32 s39, s[0:1], 0x50
	s_load_b128 s[24:27], s[0:1], 0x78
	v_add_nc_u32_e32 v1, v6, v3
	v_and_b32_e32 v12, 7, v0
	s_and_b32 s43, ttmp7, 0xffff
	v_add_nc_u32_e32 v17, 0x200, v6
	s_lshl_b32 s2, s43, 5
	v_and_b32_e32 v0, 31, v1
	v_lshrrev_b32_e32 v23, 3, v1
	v_lshlrev_b32_e32 v8, 1, v12
	v_lshrrev_b32_e32 v13, 5, v1
	s_mov_b32 s35, 0
	v_or_b32_e32 v4, s40, v0
	v_lshlrev_b32_e32 v7, 1, v0
	v_add_co_u32 v0, s0, v23, s2
	s_delay_alu instid0(VALU_DEP_1)
	v_add_co_ci_u32_e64 v1, null, 0, 0, s0
	v_lshl_or_b32 v8, v23, 4, v8
	s_wait_kmcnt 0x0
	v_cmp_gt_i64_e64 s0, s[4:5], v[4:5]
	v_add_co_u32 v5, s2, s2, v2
	v_lshl_or_b32 v14, v13, 6, v7
	v_add_nc_u32_e32 v15, 0x200, v8
	v_mad_co_u64_u32 v[9:10], null, s28, v12, 0
	s_delay_alu instid0(VALU_DEP_4)
	v_mad_co_u64_u32 v[7:8], null, v5, s10, 0
	v_cmp_gt_i64_e64 s1, s[6:7], v[0:1]
	v_mad_co_u64_u32 v[0:1], null, v5, s24, 0
	s_wait_alu 0xf1ff
	v_add_co_ci_u32_e64 v6, null, 0, 0, s2
	s_cmp_eq_f16 s39, 0
	v_mad_co_u64_u32 v[20:21], null, v5, s11, v[8:9]
	v_cmp_gt_i64_e64 s2, s[6:7], v[5:6]
	s_cselect_b32 s42, -1, 0
	v_mov_b32_e32 v8, v20
	v_add_co_u32 v2, s3, s40, v3
	v_lshlrev_b32_e32 v16, 1, v3
	s_wait_alu 0xf1ff
	v_add_co_ci_u32_e64 v3, null, s41, 0, s3
	s_delay_alu instid0(VALU_DEP_3) | instskip(SKIP_4) | instid1(VALU_DEP_4)
	v_mad_co_u64_u32 v[21:22], null, v5, s25, v[1:2]
	v_mov_b32_e32 v1, v10
	v_add_co_u32 v18, vcc_lo, v2, 16
	v_lshlrev_b64_e32 v[7:8], 1, v[7:8]
	v_add_co_ci_u32_e64 v19, null, 0, v3, vcc_lo
	v_mad_co_u64_u32 v[10:11], null, s29, v12, v[1:2]
	v_add_co_u32 v5, vcc_lo, v5, 16
	s_wait_alu 0xfffd
	v_add_co_ci_u32_e64 v6, null, 0, v6, vcc_lo
	v_cmp_gt_i64_e64 s3, s[4:5], v[2:3]
	v_cmp_gt_i64_e64 s4, s[4:5], v[18:19]
	v_add_co_u32 v18, vcc_lo, s8, v7
	s_delay_alu instid0(VALU_DEP_4)
	v_cmp_gt_i64_e64 s5, s[6:7], v[5:6]
	s_wait_alu 0xfffd
	v_add_co_ci_u32_e64 v19, null, s9, v8, vcc_lo
	v_lshlrev_b64_e32 v[5:6], 1, v[9:10]
	v_mul_lo_u32 v9, s19, v4
	v_mad_co_u64_u32 v[7:8], null, s18, v4, 0
	s_lshl_b32 s8, s43, 6
	v_lshlrev_b32_e32 v4, 1, v23
	s_mul_i32 s9, s18, s41
	s_wait_alu 0xfffe
	v_add_co_u32 v5, vcc_lo, v5, s8
	s_wait_alu 0xfffd
	v_add_co_ci_u32_e64 v6, null, 0, v6, vcc_lo
	v_add3_u32 v8, v8, s9, v9
	s_delay_alu instid0(VALU_DEP_3) | instskip(SKIP_1) | instid1(VALU_DEP_3)
	v_add_co_u32 v4, vcc_lo, v5, v4
	s_wait_alu 0xfffd
	v_add_co_ci_u32_e64 v5, null, 0, v6, vcc_lo
	s_delay_alu instid0(VALU_DEP_3) | instskip(SKIP_4) | instid1(VALU_DEP_3)
	v_lshlrev_b64_e32 v[6:7], 1, v[7:8]
	v_lshlrev_b32_e32 v8, 1, v13
	v_add_co_u32 v4, vcc_lo, s22, v4
	s_wait_alu 0xfffd
	v_add_co_ci_u32_e64 v5, null, s23, v5, vcc_lo
	v_add_co_u32 v6, vcc_lo, v6, v8
	s_wait_alu 0xfffd
	v_add_co_ci_u32_e64 v7, null, 0, v7, vcc_lo
	v_cmp_gt_i64_e64 s22, s[36:37], 0
	s_delay_alu instid0(VALU_DEP_3)
	v_add_co_u32 v6, vcc_lo, s16, v6
	v_mov_b32_e32 v1, v21
	s_wait_alu 0xfffd
	v_add_co_ci_u32_e64 v7, null, s17, v7, vcc_lo
	s_lshl_b64 s[6:7], s[24:25], 4
	s_lshl_b64 s[24:25], s[10:11], 4
	;; [unrolled: 1-line block ×5, first 2 shown]
	s_wait_alu 0xfffe
	s_lshl_b64 s[18:19], s[24:25], 1
	s_branch .LBB23_4
.LBB23_2:                               ;   in Loop: Header=BB23_4 Depth=1
	s_wait_alu 0xfffe
	s_or_b32 exec_lo, exec_lo, s23
.LBB23_3:                               ;   in Loop: Header=BB23_4 Depth=1
	s_add_co_i32 s34, s34, 0x10000
	s_wait_alu 0xfffe
	s_cmp_lt_i32 s34, s33
	s_cbranch_scc0 .LBB23_35
.LBB23_4:                               ; =>This Loop Header: Depth=1
                                        ;     Child Loop BB23_7 Depth 2
	s_and_not1_b32 vcc_lo, exec_lo, s22
	s_wait_alu 0xfffe
	s_cbranch_vccnz .LBB23_11
; %bb.5:                                ;   in Loop: Header=BB23_4 Depth=1
	v_mad_co_u64_u32 v[8:9], null, s8, s34, v[4:5]
	v_mad_co_u64_u32 v[10:11], null, s16, s34, v[6:7]
	s_mov_b64 s[20:21], 0
	v_mad_co_u64_u32 v[20:21], null, s9, s34, v[9:10]
	v_mad_co_u64_u32 v[22:23], null, s17, s34, v[11:12]
	v_mov_b32_e32 v21, 0
	s_delay_alu instid0(VALU_DEP_3) | instskip(NEXT) | instid1(VALU_DEP_3)
	v_dual_mov_b32 v9, v20 :: v_dual_mov_b32 v20, 0
	v_mov_b32_e32 v11, v22
	s_branch .LBB23_7
.LBB23_6:                               ;   in Loop: Header=BB23_7 Depth=2
	s_wait_alu 0xfffe
	s_or_b32 exec_lo, exec_lo, s23
	s_wait_loadcnt 0x0
	ds_store_b16 v15, v23
	s_wait_dscnt 0x0
	s_barrier_signal -1
	s_barrier_wait -1
	global_inv scope:SCOPE_SE
	ds_load_u16 v30, v16
	ds_load_u16 v31, v16 offset:64
	ds_load_u16 v32, v16 offset:128
	;; [unrolled: 1-line block ×7, first 2 shown]
	s_add_nc_u64 s[20:21], s[20:21], 8
	v_add_co_u32 v8, vcc_lo, v8, s10
	s_wait_alu 0xfffe
	v_cmp_lt_i64_e64 s23, s[20:21], s[36:37]
	s_wait_alu 0xfffd
	v_add_co_ci_u32_e64 v9, null, s11, v9, vcc_lo
	v_add_co_u32 v10, vcc_lo, v10, 16
	s_wait_alu 0xfffd
	v_add_co_ci_u32_e64 v11, null, 0, v11, vcc_lo
	s_and_b32 vcc_lo, exec_lo, s23
	s_wait_dscnt 0x7
	ds_load_u16_d16_hi v30, v16 offset:32
	ds_load_b128 v[22:25], v17
	ds_load_b128 v[26:29], v17 offset:256
	s_wait_dscnt 0x9
	ds_load_u16_d16_hi v31, v16 offset:96
	s_wait_dscnt 0x9
	ds_load_u16_d16_hi v32, v16 offset:160
	;; [unrolled: 2-line block ×7, first 2 shown]
	s_wait_loadcnt_dscnt 0x0
	s_barrier_signal -1
	s_barrier_wait -1
	global_inv scope:SCOPE_SE
	v_pk_fma_f16 v21, v30, v22, v21 op_sel_hi:[1,0,1]
	v_pk_fma_f16 v20, v30, v26, v20 op_sel_hi:[1,0,1]
	s_delay_alu instid0(VALU_DEP_2) | instskip(NEXT) | instid1(VALU_DEP_2)
	v_pk_fma_f16 v21, v31, v22, v21 op_sel:[0,1,0]
	v_pk_fma_f16 v20, v31, v26, v20 op_sel:[0,1,0]
	s_delay_alu instid0(VALU_DEP_2) | instskip(NEXT) | instid1(VALU_DEP_2)
	v_pk_fma_f16 v21, v32, v23, v21 op_sel_hi:[1,0,1]
	v_pk_fma_f16 v20, v32, v27, v20 op_sel_hi:[1,0,1]
	s_delay_alu instid0(VALU_DEP_2) | instskip(NEXT) | instid1(VALU_DEP_2)
	v_pk_fma_f16 v21, v33, v23, v21 op_sel:[0,1,0]
	v_pk_fma_f16 v20, v33, v27, v20 op_sel:[0,1,0]
	s_delay_alu instid0(VALU_DEP_2) | instskip(NEXT) | instid1(VALU_DEP_2)
	v_pk_fma_f16 v21, v34, v24, v21 op_sel_hi:[1,0,1]
	v_pk_fma_f16 v20, v34, v28, v20 op_sel_hi:[1,0,1]
	s_delay_alu instid0(VALU_DEP_2) | instskip(NEXT) | instid1(VALU_DEP_2)
	v_pk_fma_f16 v21, v35, v24, v21 op_sel:[0,1,0]
	v_pk_fma_f16 v20, v35, v28, v20 op_sel:[0,1,0]
	s_delay_alu instid0(VALU_DEP_2) | instskip(NEXT) | instid1(VALU_DEP_2)
	v_pk_fma_f16 v21, v36, v25, v21 op_sel_hi:[1,0,1]
	v_pk_fma_f16 v20, v36, v29, v20 op_sel_hi:[1,0,1]
	s_delay_alu instid0(VALU_DEP_2) | instskip(NEXT) | instid1(VALU_DEP_2)
	v_pk_fma_f16 v21, v37, v25, v21 op_sel:[0,1,0]
	v_pk_fma_f16 v20, v37, v29, v20 op_sel:[0,1,0]
	s_wait_alu 0xfffe
	s_cbranch_vccz .LBB23_12
.LBB23_7:                               ;   Parent Loop BB23_4 Depth=1
                                        ; =>  This Inner Loop Header: Depth=2
	s_wait_alu 0xfffe
	v_add_co_u32 v22, s23, v13, s20
	s_wait_alu 0xf1ff
	v_add_co_ci_u32_e64 v23, null, 0, s21, s23
	s_delay_alu instid0(VALU_DEP_1)
	v_cmp_gt_i64_e32 vcc_lo, s[36:37], v[22:23]
	v_mov_b32_e32 v22, 0
	s_and_b32 s24, s0, vcc_lo
	s_wait_alu 0xfffe
	s_and_saveexec_b32 s23, s24
	s_cbranch_execz .LBB23_9
; %bb.8:                                ;   in Loop: Header=BB23_7 Depth=2
	global_load_u16 v22, v[10:11], off
.LBB23_9:                               ;   in Loop: Header=BB23_7 Depth=2
	s_wait_alu 0xfffe
	s_or_b32 exec_lo, exec_lo, s23
	v_add_co_u32 v23, s23, v12, s20
	s_wait_alu 0xf1ff
	v_add_co_ci_u32_e64 v24, null, 0, s21, s23
	s_wait_loadcnt 0x0
	ds_store_b16 v14, v22
	v_cmp_gt_i64_e32 vcc_lo, s[36:37], v[23:24]
	v_mov_b32_e32 v23, 0
	s_and_b32 s24, vcc_lo, s1
	s_wait_alu 0xfffe
	s_and_saveexec_b32 s23, s24
	s_cbranch_execz .LBB23_6
; %bb.10:                               ;   in Loop: Header=BB23_7 Depth=2
	global_load_u16 v23, v[8:9], off
	s_branch .LBB23_6
.LBB23_11:                              ;   in Loop: Header=BB23_4 Depth=1
	v_dual_mov_b32 v21, 0 :: v_dual_mov_b32 v20, 0
.LBB23_12:                              ;   in Loop: Header=BB23_4 Depth=1
	s_mul_u64 s[20:21], s[26:27], s[34:35]
	s_and_not1_b32 vcc_lo, exec_lo, s42
	s_wait_alu 0xfffe
	s_lshl_b64 s[20:21], s[20:21], 1
	s_wait_alu 0xfffe
	s_add_nc_u64 s[20:21], s[14:15], s[20:21]
	s_cbranch_vccnz .LBB23_17
; %bb.13:                               ;   in Loop: Header=BB23_4 Depth=1
	s_and_saveexec_b32 s23, s2
	s_cbranch_execz .LBB23_24
; %bb.14:                               ;   in Loop: Header=BB23_4 Depth=1
	v_lshlrev_b64_e32 v[8:9], 1, v[0:1]
	s_wait_alu 0xfffe
	s_delay_alu instid0(VALU_DEP_1) | instskip(SKIP_1) | instid1(VALU_DEP_2)
	v_add_co_u32 v8, vcc_lo, s20, v8
	s_wait_alu 0xfffd
	v_add_co_ci_u32_e64 v9, null, s21, v9, vcc_lo
	s_and_saveexec_b32 s24, s3
	s_cbranch_execnz .LBB23_18
; %bb.15:                               ;   in Loop: Header=BB23_4 Depth=1
	s_wait_alu 0xfffe
	s_or_b32 exec_lo, exec_lo, s24
	s_and_saveexec_b32 s24, s4
	s_cbranch_execnz .LBB23_19
.LBB23_16:                              ;   in Loop: Header=BB23_4 Depth=1
	s_wait_alu 0xfffe
	s_or_b32 exec_lo, exec_lo, s24
	s_delay_alu instid0(SALU_CYCLE_1)
	s_and_b32 exec_lo, exec_lo, s5
	s_cbranch_execnz .LBB23_20
	s_branch .LBB23_24
.LBB23_17:                              ;   in Loop: Header=BB23_4 Depth=1
	s_branch .LBB23_25
.LBB23_18:                              ;   in Loop: Header=BB23_4 Depth=1
	v_lshlrev_b64_e32 v[10:11], 1, v[2:3]
	v_mul_f16_e32 v22, s38, v21
	s_delay_alu instid0(VALU_DEP_2) | instskip(SKIP_1) | instid1(VALU_DEP_3)
	v_add_co_u32 v10, vcc_lo, v8, v10
	s_wait_alu 0xfffd
	v_add_co_ci_u32_e64 v11, null, v9, v11, vcc_lo
	global_store_b16 v[10:11], v22, off
	s_wait_alu 0xfffe
	s_or_b32 exec_lo, exec_lo, s24
	s_and_saveexec_b32 s24, s4
	s_cbranch_execz .LBB23_16
.LBB23_19:                              ;   in Loop: Header=BB23_4 Depth=1
	v_lshlrev_b64_e32 v[10:11], 1, v[2:3]
	v_lshrrev_b32_e32 v22, 16, v21
	s_delay_alu instid0(VALU_DEP_1) | instskip(NEXT) | instid1(VALU_DEP_3)
	v_mul_f16_e32 v22, s38, v22
	v_add_co_u32 v10, vcc_lo, v8, v10
	s_wait_alu 0xfffd
	s_delay_alu instid0(VALU_DEP_4) | instskip(SKIP_3) | instid1(SALU_CYCLE_1)
	v_add_co_ci_u32_e64 v11, null, v9, v11, vcc_lo
	global_store_b16 v[10:11], v22, off offset:32
	s_wait_alu 0xfffe
	s_or_b32 exec_lo, exec_lo, s24
	s_and_b32 exec_lo, exec_lo, s5
	s_cbranch_execz .LBB23_24
.LBB23_20:                              ;   in Loop: Header=BB23_4 Depth=1
	s_lshl_b64 s[24:25], s[6:7], 1
	v_lshlrev_b64_e32 v[10:11], 1, v[2:3]
	s_wait_alu 0xfffe
	v_add_co_u32 v8, vcc_lo, v8, s24
	s_wait_alu 0xfffd
	v_add_co_ci_u32_e64 v9, null, s25, v9, vcc_lo
	s_delay_alu instid0(VALU_DEP_2) | instskip(SKIP_1) | instid1(VALU_DEP_2)
	v_add_co_u32 v8, vcc_lo, v8, v10
	s_wait_alu 0xfffd
	v_add_co_ci_u32_e64 v9, null, v9, v11, vcc_lo
	s_and_saveexec_b32 s24, s3
	s_cbranch_execz .LBB23_22
; %bb.21:                               ;   in Loop: Header=BB23_4 Depth=1
	v_mul_f16_e32 v10, s38, v20
	global_store_b16 v[8:9], v10, off
.LBB23_22:                              ;   in Loop: Header=BB23_4 Depth=1
	s_wait_alu 0xfffe
	s_or_b32 exec_lo, exec_lo, s24
	s_delay_alu instid0(SALU_CYCLE_1)
	s_and_b32 exec_lo, exec_lo, s4
	s_cbranch_execz .LBB23_24
; %bb.23:                               ;   in Loop: Header=BB23_4 Depth=1
	v_lshrrev_b32_e32 v10, 16, v20
	s_delay_alu instid0(VALU_DEP_1)
	v_mul_f16_e32 v10, s38, v10
	global_store_b16 v[8:9], v10, off offset:32
.LBB23_24:                              ;   in Loop: Header=BB23_4 Depth=1
	s_wait_alu 0xfffe
	s_or_b32 exec_lo, exec_lo, s23
	s_cbranch_execnz .LBB23_3
.LBB23_25:                              ;   in Loop: Header=BB23_4 Depth=1
	s_and_saveexec_b32 s23, s2
	s_cbranch_execz .LBB23_2
; %bb.26:                               ;   in Loop: Header=BB23_4 Depth=1
	s_mul_u64 s[24:25], s[12:13], s[34:35]
	v_lshlrev_b64_e32 v[22:23], 1, v[0:1]
	s_wait_alu 0xfffe
	s_lshl_b64 s[24:25], s[24:25], 1
	v_lshlrev_b64_e32 v[8:9], 1, v[2:3]
	s_wait_alu 0xfffe
	v_add_co_u32 v10, vcc_lo, v18, s24
	s_wait_alu 0xfffd
	v_add_co_ci_u32_e64 v11, null, s25, v19, vcc_lo
	v_add_co_u32 v22, vcc_lo, s20, v22
	s_wait_alu 0xfffd
	v_add_co_ci_u32_e64 v23, null, s21, v23, vcc_lo
	s_and_saveexec_b32 s20, s3
	s_cbranch_execnz .LBB23_29
; %bb.27:                               ;   in Loop: Header=BB23_4 Depth=1
	s_wait_alu 0xfffe
	s_or_b32 exec_lo, exec_lo, s20
	s_and_saveexec_b32 s20, s4
	s_cbranch_execnz .LBB23_30
.LBB23_28:                              ;   in Loop: Header=BB23_4 Depth=1
	s_wait_alu 0xfffe
	s_or_b32 exec_lo, exec_lo, s20
	s_delay_alu instid0(SALU_CYCLE_1)
	s_and_b32 exec_lo, exec_lo, s5
	s_cbranch_execz .LBB23_2
	s_branch .LBB23_31
.LBB23_29:                              ;   in Loop: Header=BB23_4 Depth=1
	v_add_co_u32 v24, vcc_lo, v10, v8
	s_wait_alu 0xfffd
	v_add_co_ci_u32_e64 v25, null, v11, v9, vcc_lo
	global_load_u16 v24, v[24:25], off
	s_wait_loadcnt 0x0
	v_mul_f16_e32 v26, s39, v24
	v_add_co_u32 v24, vcc_lo, v22, v8
	s_wait_alu 0xfffd
	v_add_co_ci_u32_e64 v25, null, v23, v9, vcc_lo
	s_delay_alu instid0(VALU_DEP_3)
	v_fmac_f16_e32 v26, s38, v21
	global_store_b16 v[24:25], v26, off
	s_wait_alu 0xfffe
	s_or_b32 exec_lo, exec_lo, s20
	s_and_saveexec_b32 s20, s4
	s_cbranch_execz .LBB23_28
.LBB23_30:                              ;   in Loop: Header=BB23_4 Depth=1
	v_add_co_u32 v24, vcc_lo, v10, v8
	s_wait_alu 0xfffd
	v_add_co_ci_u32_e64 v25, null, v11, v9, vcc_lo
	v_lshrrev_b32_e32 v21, 16, v21
	global_load_u16 v24, v[24:25], off offset:32
	s_wait_loadcnt 0x0
	v_mul_f16_e32 v26, s39, v24
	v_add_co_u32 v24, vcc_lo, v22, v8
	s_wait_alu 0xfffd
	v_add_co_ci_u32_e64 v25, null, v23, v9, vcc_lo
	s_delay_alu instid0(VALU_DEP_3) | instskip(SKIP_3) | instid1(SALU_CYCLE_1)
	v_fmac_f16_e32 v26, s38, v21
	global_store_b16 v[24:25], v26, off offset:32
	s_wait_alu 0xfffe
	s_or_b32 exec_lo, exec_lo, s20
	s_and_b32 exec_lo, exec_lo, s5
	s_cbranch_execz .LBB23_2
.LBB23_31:                              ;   in Loop: Header=BB23_4 Depth=1
	v_add_co_u32 v10, vcc_lo, v10, s18
	s_lshl_b64 s[20:21], s[6:7], 1
	s_wait_alu 0xfffd
	v_add_co_ci_u32_e64 v11, null, s19, v11, vcc_lo
	s_wait_alu 0xfffe
	v_add_co_u32 v21, vcc_lo, v22, s20
	s_wait_alu 0xfffd
	v_add_co_ci_u32_e64 v22, null, s21, v23, vcc_lo
	v_add_co_u32 v10, vcc_lo, v10, v8
	s_wait_alu 0xfffd
	v_add_co_ci_u32_e64 v11, null, v11, v9, vcc_lo
	;; [unrolled: 3-line block ×3, first 2 shown]
	s_and_saveexec_b32 s20, s3
	s_cbranch_execz .LBB23_33
; %bb.32:                               ;   in Loop: Header=BB23_4 Depth=1
	global_load_u16 v21, v[10:11], off
	s_wait_loadcnt 0x0
	v_mul_f16_e32 v21, s39, v21
	s_delay_alu instid0(VALU_DEP_1)
	v_fmac_f16_e32 v21, s38, v20
	global_store_b16 v[8:9], v21, off
.LBB23_33:                              ;   in Loop: Header=BB23_4 Depth=1
	s_wait_alu 0xfffe
	s_or_b32 exec_lo, exec_lo, s20
	s_delay_alu instid0(SALU_CYCLE_1)
	s_and_b32 exec_lo, exec_lo, s4
	s_cbranch_execz .LBB23_2
; %bb.34:                               ;   in Loop: Header=BB23_4 Depth=1
	global_load_u16 v10, v[10:11], off offset:32
	v_lshrrev_b32_e32 v11, 16, v20
	s_wait_loadcnt 0x0
	v_mul_f16_e32 v10, s39, v10
	s_delay_alu instid0(VALU_DEP_1)
	v_fmac_f16_e32 v10, s38, v11
	global_store_b16 v[8:9], v10, off offset:32
	s_branch .LBB23_2
.LBB23_35:
	s_endpgm
	.section	.rodata,"a",@progbits
	.p2align	6, 0x0
	.amdhsa_kernel _ZN12_GLOBAL__N_135rocblas_gemm_batched_general_kernelIDF16_Li16ELi16ELi32ELi32ELi8ELi32ELi8ELi8ELi32ELc84ELc84EKDF16_S1_DF16_EEvlllT_PT11_llS4_llS2_PT12_llPT13_lli
		.amdhsa_group_segment_fixed_size 1024
		.amdhsa_private_segment_fixed_size 0
		.amdhsa_kernarg_size 140
		.amdhsa_user_sgpr_count 2
		.amdhsa_user_sgpr_dispatch_ptr 0
		.amdhsa_user_sgpr_queue_ptr 0
		.amdhsa_user_sgpr_kernarg_segment_ptr 1
		.amdhsa_user_sgpr_dispatch_id 0
		.amdhsa_user_sgpr_private_segment_size 0
		.amdhsa_wavefront_size32 1
		.amdhsa_uses_dynamic_stack 0
		.amdhsa_enable_private_segment 0
		.amdhsa_system_sgpr_workgroup_id_x 1
		.amdhsa_system_sgpr_workgroup_id_y 1
		.amdhsa_system_sgpr_workgroup_id_z 1
		.amdhsa_system_sgpr_workgroup_info 0
		.amdhsa_system_vgpr_workitem_id 1
		.amdhsa_next_free_vgpr 38
		.amdhsa_next_free_sgpr 44
		.amdhsa_reserve_vcc 1
		.amdhsa_float_round_mode_32 0
		.amdhsa_float_round_mode_16_64 0
		.amdhsa_float_denorm_mode_32 3
		.amdhsa_float_denorm_mode_16_64 3
		.amdhsa_fp16_overflow 0
		.amdhsa_workgroup_processor_mode 1
		.amdhsa_memory_ordered 1
		.amdhsa_forward_progress 1
		.amdhsa_inst_pref_size 18
		.amdhsa_round_robin_scheduling 0
		.amdhsa_exception_fp_ieee_invalid_op 0
		.amdhsa_exception_fp_denorm_src 0
		.amdhsa_exception_fp_ieee_div_zero 0
		.amdhsa_exception_fp_ieee_overflow 0
		.amdhsa_exception_fp_ieee_underflow 0
		.amdhsa_exception_fp_ieee_inexact 0
		.amdhsa_exception_int_div_zero 0
	.end_amdhsa_kernel
	.section	.text._ZN12_GLOBAL__N_135rocblas_gemm_batched_general_kernelIDF16_Li16ELi16ELi32ELi32ELi8ELi32ELi8ELi8ELi32ELc84ELc84EKDF16_S1_DF16_EEvlllT_PT11_llS4_llS2_PT12_llPT13_lli,"axG",@progbits,_ZN12_GLOBAL__N_135rocblas_gemm_batched_general_kernelIDF16_Li16ELi16ELi32ELi32ELi8ELi32ELi8ELi8ELi32ELc84ELc84EKDF16_S1_DF16_EEvlllT_PT11_llS4_llS2_PT12_llPT13_lli,comdat
.Lfunc_end23:
	.size	_ZN12_GLOBAL__N_135rocblas_gemm_batched_general_kernelIDF16_Li16ELi16ELi32ELi32ELi8ELi32ELi8ELi8ELi32ELc84ELc84EKDF16_S1_DF16_EEvlllT_PT11_llS4_llS2_PT12_llPT13_lli, .Lfunc_end23-_ZN12_GLOBAL__N_135rocblas_gemm_batched_general_kernelIDF16_Li16ELi16ELi32ELi32ELi8ELi32ELi8ELi8ELi32ELc84ELc84EKDF16_S1_DF16_EEvlllT_PT11_llS4_llS2_PT12_llPT13_lli
                                        ; -- End function
	.set _ZN12_GLOBAL__N_135rocblas_gemm_batched_general_kernelIDF16_Li16ELi16ELi32ELi32ELi8ELi32ELi8ELi8ELi32ELc84ELc84EKDF16_S1_DF16_EEvlllT_PT11_llS4_llS2_PT12_llPT13_lli.num_vgpr, 38
	.set _ZN12_GLOBAL__N_135rocblas_gemm_batched_general_kernelIDF16_Li16ELi16ELi32ELi32ELi8ELi32ELi8ELi8ELi32ELc84ELc84EKDF16_S1_DF16_EEvlllT_PT11_llS4_llS2_PT12_llPT13_lli.num_agpr, 0
	.set _ZN12_GLOBAL__N_135rocblas_gemm_batched_general_kernelIDF16_Li16ELi16ELi32ELi32ELi8ELi32ELi8ELi8ELi32ELc84ELc84EKDF16_S1_DF16_EEvlllT_PT11_llS4_llS2_PT12_llPT13_lli.numbered_sgpr, 44
	.set _ZN12_GLOBAL__N_135rocblas_gemm_batched_general_kernelIDF16_Li16ELi16ELi32ELi32ELi8ELi32ELi8ELi8ELi32ELc84ELc84EKDF16_S1_DF16_EEvlllT_PT11_llS4_llS2_PT12_llPT13_lli.num_named_barrier, 0
	.set _ZN12_GLOBAL__N_135rocblas_gemm_batched_general_kernelIDF16_Li16ELi16ELi32ELi32ELi8ELi32ELi8ELi8ELi32ELc84ELc84EKDF16_S1_DF16_EEvlllT_PT11_llS4_llS2_PT12_llPT13_lli.private_seg_size, 0
	.set _ZN12_GLOBAL__N_135rocblas_gemm_batched_general_kernelIDF16_Li16ELi16ELi32ELi32ELi8ELi32ELi8ELi8ELi32ELc84ELc84EKDF16_S1_DF16_EEvlllT_PT11_llS4_llS2_PT12_llPT13_lli.uses_vcc, 1
	.set _ZN12_GLOBAL__N_135rocblas_gemm_batched_general_kernelIDF16_Li16ELi16ELi32ELi32ELi8ELi32ELi8ELi8ELi32ELc84ELc84EKDF16_S1_DF16_EEvlllT_PT11_llS4_llS2_PT12_llPT13_lli.uses_flat_scratch, 0
	.set _ZN12_GLOBAL__N_135rocblas_gemm_batched_general_kernelIDF16_Li16ELi16ELi32ELi32ELi8ELi32ELi8ELi8ELi32ELc84ELc84EKDF16_S1_DF16_EEvlllT_PT11_llS4_llS2_PT12_llPT13_lli.has_dyn_sized_stack, 0
	.set _ZN12_GLOBAL__N_135rocblas_gemm_batched_general_kernelIDF16_Li16ELi16ELi32ELi32ELi8ELi32ELi8ELi8ELi32ELc84ELc84EKDF16_S1_DF16_EEvlllT_PT11_llS4_llS2_PT12_llPT13_lli.has_recursion, 0
	.set _ZN12_GLOBAL__N_135rocblas_gemm_batched_general_kernelIDF16_Li16ELi16ELi32ELi32ELi8ELi32ELi8ELi8ELi32ELc84ELc84EKDF16_S1_DF16_EEvlllT_PT11_llS4_llS2_PT12_llPT13_lli.has_indirect_call, 0
	.section	.AMDGPU.csdata,"",@progbits
; Kernel info:
; codeLenInByte = 2292
; TotalNumSgprs: 46
; NumVgprs: 38
; ScratchSize: 0
; MemoryBound: 0
; FloatMode: 240
; IeeeMode: 1
; LDSByteSize: 1024 bytes/workgroup (compile time only)
; SGPRBlocks: 0
; VGPRBlocks: 4
; NumSGPRsForWavesPerEU: 46
; NumVGPRsForWavesPerEU: 38
; Occupancy: 16
; WaveLimiterHint : 0
; COMPUTE_PGM_RSRC2:SCRATCH_EN: 0
; COMPUTE_PGM_RSRC2:USER_SGPR: 2
; COMPUTE_PGM_RSRC2:TRAP_HANDLER: 0
; COMPUTE_PGM_RSRC2:TGID_X_EN: 1
; COMPUTE_PGM_RSRC2:TGID_Y_EN: 1
; COMPUTE_PGM_RSRC2:TGID_Z_EN: 1
; COMPUTE_PGM_RSRC2:TIDIG_COMP_CNT: 1
	.section	.text._ZN12_GLOBAL__N_135rocblas_gemm_batched_general_kernelIDF16_Li16ELi16ELi32ELi32ELi8ELi32ELi8ELi8ELi32ELc67ELc67EKDF16_S1_DF16_EEvlllT_PT11_llS4_llS2_PT12_llPT13_lli,"axG",@progbits,_ZN12_GLOBAL__N_135rocblas_gemm_batched_general_kernelIDF16_Li16ELi16ELi32ELi32ELi8ELi32ELi8ELi8ELi32ELc67ELc67EKDF16_S1_DF16_EEvlllT_PT11_llS4_llS2_PT12_llPT13_lli,comdat
	.globl	_ZN12_GLOBAL__N_135rocblas_gemm_batched_general_kernelIDF16_Li16ELi16ELi32ELi32ELi8ELi32ELi8ELi8ELi32ELc67ELc67EKDF16_S1_DF16_EEvlllT_PT11_llS4_llS2_PT12_llPT13_lli ; -- Begin function _ZN12_GLOBAL__N_135rocblas_gemm_batched_general_kernelIDF16_Li16ELi16ELi32ELi32ELi8ELi32ELi8ELi8ELi32ELc67ELc67EKDF16_S1_DF16_EEvlllT_PT11_llS4_llS2_PT12_llPT13_lli
	.p2align	8
	.type	_ZN12_GLOBAL__N_135rocblas_gemm_batched_general_kernelIDF16_Li16ELi16ELi32ELi32ELi8ELi32ELi8ELi8ELi32ELc67ELc67EKDF16_S1_DF16_EEvlllT_PT11_llS4_llS2_PT12_llPT13_lli,@function
_ZN12_GLOBAL__N_135rocblas_gemm_batched_general_kernelIDF16_Li16ELi16ELi32ELi32ELi8ELi32ELi8ELi8ELi32ELc67ELc67EKDF16_S1_DF16_EEvlllT_PT11_llS4_llS2_PT12_llPT13_lli: ; @_ZN12_GLOBAL__N_135rocblas_gemm_batched_general_kernelIDF16_Li16ELi16ELi32ELi32ELi8ELi32ELi8ELi8ELi32ELc67ELc67EKDF16_S1_DF16_EEvlllT_PT11_llS4_llS2_PT12_llPT13_lli
; %bb.0:
	s_load_b32 s33, s[0:1], 0x88
	s_lshr_b32 s34, ttmp7, 16
	s_wait_kmcnt 0x0
	s_cmp_ge_i32 s34, s33
	s_cbranch_scc1 .LBB24_35
; %bb.1:
	v_bfe_u32 v2, v0, 10, 10
	s_mov_b32 s2, ttmp9
	s_ashr_i32 s3, ttmp9, 31
	v_and_b32_e32 v3, 0x3ff, v0
	s_lshl_b64 s[40:41], s[2:3], 5
	s_delay_alu instid0(SALU_CYCLE_1)
	v_dual_mov_b32 v5, s41 :: v_dual_lshlrev_b32 v6, 4, v2
	s_clause 0x6
	s_load_b128 s[4:7], s[0:1], 0x0
	s_load_b96 s[36:38], s[0:1], 0x10
	s_load_b256 s[8:15], s[0:1], 0x58
	s_load_b256 s[16:23], s[0:1], 0x20
	s_load_b128 s[28:31], s[0:1], 0x40
	s_load_b32 s39, s[0:1], 0x50
	s_load_b128 s[24:27], s[0:1], 0x78
	v_add_nc_u32_e32 v1, v6, v3
	v_and_b32_e32 v12, 7, v0
	s_and_b32 s43, ttmp7, 0xffff
	v_add_nc_u32_e32 v17, 0x200, v6
	s_lshl_b32 s2, s43, 5
	v_and_b32_e32 v0, 31, v1
	v_lshrrev_b32_e32 v23, 3, v1
	v_lshlrev_b32_e32 v8, 1, v12
	v_lshrrev_b32_e32 v13, 5, v1
	s_mov_b32 s35, 0
	v_or_b32_e32 v4, s40, v0
	v_lshlrev_b32_e32 v7, 1, v0
	v_add_co_u32 v0, s0, v23, s2
	s_delay_alu instid0(VALU_DEP_1)
	v_add_co_ci_u32_e64 v1, null, 0, 0, s0
	v_lshl_or_b32 v8, v23, 4, v8
	s_wait_kmcnt 0x0
	v_cmp_gt_i64_e64 s0, s[4:5], v[4:5]
	v_add_co_u32 v5, s2, s2, v2
	v_lshl_or_b32 v14, v13, 6, v7
	v_add_nc_u32_e32 v15, 0x200, v8
	v_mad_co_u64_u32 v[9:10], null, s28, v12, 0
	s_delay_alu instid0(VALU_DEP_4)
	v_mad_co_u64_u32 v[7:8], null, v5, s10, 0
	v_cmp_gt_i64_e64 s1, s[6:7], v[0:1]
	v_mad_co_u64_u32 v[0:1], null, v5, s24, 0
	s_wait_alu 0xf1ff
	v_add_co_ci_u32_e64 v6, null, 0, 0, s2
	s_cmp_eq_f16 s39, 0
	v_mad_co_u64_u32 v[20:21], null, v5, s11, v[8:9]
	v_cmp_gt_i64_e64 s2, s[6:7], v[5:6]
	s_cselect_b32 s42, -1, 0
	v_mov_b32_e32 v8, v20
	v_add_co_u32 v2, s3, s40, v3
	v_lshlrev_b32_e32 v16, 1, v3
	s_wait_alu 0xf1ff
	v_add_co_ci_u32_e64 v3, null, s41, 0, s3
	s_delay_alu instid0(VALU_DEP_3) | instskip(SKIP_4) | instid1(VALU_DEP_4)
	v_mad_co_u64_u32 v[21:22], null, v5, s25, v[1:2]
	v_mov_b32_e32 v1, v10
	v_add_co_u32 v18, vcc_lo, v2, 16
	v_lshlrev_b64_e32 v[7:8], 1, v[7:8]
	v_add_co_ci_u32_e64 v19, null, 0, v3, vcc_lo
	v_mad_co_u64_u32 v[10:11], null, s29, v12, v[1:2]
	v_add_co_u32 v5, vcc_lo, v5, 16
	s_wait_alu 0xfffd
	v_add_co_ci_u32_e64 v6, null, 0, v6, vcc_lo
	v_cmp_gt_i64_e64 s3, s[4:5], v[2:3]
	v_cmp_gt_i64_e64 s4, s[4:5], v[18:19]
	v_add_co_u32 v18, vcc_lo, s8, v7
	s_delay_alu instid0(VALU_DEP_4)
	v_cmp_gt_i64_e64 s5, s[6:7], v[5:6]
	s_wait_alu 0xfffd
	v_add_co_ci_u32_e64 v19, null, s9, v8, vcc_lo
	v_lshlrev_b64_e32 v[5:6], 1, v[9:10]
	v_mul_lo_u32 v9, s19, v4
	v_mad_co_u64_u32 v[7:8], null, s18, v4, 0
	s_lshl_b32 s8, s43, 6
	v_lshlrev_b32_e32 v4, 1, v23
	s_mul_i32 s9, s18, s41
	s_wait_alu 0xfffe
	v_add_co_u32 v5, vcc_lo, v5, s8
	s_wait_alu 0xfffd
	v_add_co_ci_u32_e64 v6, null, 0, v6, vcc_lo
	v_add3_u32 v8, v8, s9, v9
	s_delay_alu instid0(VALU_DEP_3) | instskip(SKIP_1) | instid1(VALU_DEP_3)
	v_add_co_u32 v4, vcc_lo, v5, v4
	s_wait_alu 0xfffd
	v_add_co_ci_u32_e64 v5, null, 0, v6, vcc_lo
	s_delay_alu instid0(VALU_DEP_3) | instskip(SKIP_4) | instid1(VALU_DEP_3)
	v_lshlrev_b64_e32 v[6:7], 1, v[7:8]
	v_lshlrev_b32_e32 v8, 1, v13
	v_add_co_u32 v4, vcc_lo, s22, v4
	s_wait_alu 0xfffd
	v_add_co_ci_u32_e64 v5, null, s23, v5, vcc_lo
	v_add_co_u32 v6, vcc_lo, v6, v8
	s_wait_alu 0xfffd
	v_add_co_ci_u32_e64 v7, null, 0, v7, vcc_lo
	v_cmp_gt_i64_e64 s22, s[36:37], 0
	s_delay_alu instid0(VALU_DEP_3)
	v_add_co_u32 v6, vcc_lo, s16, v6
	v_mov_b32_e32 v1, v21
	s_wait_alu 0xfffd
	v_add_co_ci_u32_e64 v7, null, s17, v7, vcc_lo
	s_lshl_b64 s[6:7], s[24:25], 4
	s_lshl_b64 s[24:25], s[10:11], 4
	;; [unrolled: 1-line block ×5, first 2 shown]
	s_wait_alu 0xfffe
	s_lshl_b64 s[18:19], s[24:25], 1
	s_branch .LBB24_4
.LBB24_2:                               ;   in Loop: Header=BB24_4 Depth=1
	s_wait_alu 0xfffe
	s_or_b32 exec_lo, exec_lo, s23
.LBB24_3:                               ;   in Loop: Header=BB24_4 Depth=1
	s_add_co_i32 s34, s34, 0x10000
	s_wait_alu 0xfffe
	s_cmp_lt_i32 s34, s33
	s_cbranch_scc0 .LBB24_35
.LBB24_4:                               ; =>This Loop Header: Depth=1
                                        ;     Child Loop BB24_7 Depth 2
	s_and_not1_b32 vcc_lo, exec_lo, s22
	s_wait_alu 0xfffe
	s_cbranch_vccnz .LBB24_11
; %bb.5:                                ;   in Loop: Header=BB24_4 Depth=1
	v_mad_co_u64_u32 v[8:9], null, s8, s34, v[4:5]
	v_mad_co_u64_u32 v[10:11], null, s16, s34, v[6:7]
	s_mov_b64 s[20:21], 0
	v_mad_co_u64_u32 v[20:21], null, s9, s34, v[9:10]
	v_mad_co_u64_u32 v[22:23], null, s17, s34, v[11:12]
	v_mov_b32_e32 v21, 0
	s_delay_alu instid0(VALU_DEP_3) | instskip(NEXT) | instid1(VALU_DEP_3)
	v_dual_mov_b32 v9, v20 :: v_dual_mov_b32 v20, 0
	v_mov_b32_e32 v11, v22
	s_branch .LBB24_7
.LBB24_6:                               ;   in Loop: Header=BB24_7 Depth=2
	s_wait_alu 0xfffe
	s_or_b32 exec_lo, exec_lo, s23
	s_wait_loadcnt 0x0
	ds_store_b16 v15, v23
	s_wait_dscnt 0x0
	s_barrier_signal -1
	s_barrier_wait -1
	global_inv scope:SCOPE_SE
	ds_load_u16 v30, v16
	ds_load_u16 v31, v16 offset:64
	ds_load_u16 v32, v16 offset:128
	;; [unrolled: 1-line block ×7, first 2 shown]
	s_add_nc_u64 s[20:21], s[20:21], 8
	v_add_co_u32 v8, vcc_lo, v8, s10
	s_wait_alu 0xfffe
	v_cmp_lt_i64_e64 s23, s[20:21], s[36:37]
	s_wait_alu 0xfffd
	v_add_co_ci_u32_e64 v9, null, s11, v9, vcc_lo
	v_add_co_u32 v10, vcc_lo, v10, 16
	s_wait_alu 0xfffd
	v_add_co_ci_u32_e64 v11, null, 0, v11, vcc_lo
	s_and_b32 vcc_lo, exec_lo, s23
	s_wait_dscnt 0x7
	ds_load_u16_d16_hi v30, v16 offset:32
	ds_load_b128 v[22:25], v17
	ds_load_b128 v[26:29], v17 offset:256
	s_wait_dscnt 0x9
	ds_load_u16_d16_hi v31, v16 offset:96
	s_wait_dscnt 0x9
	ds_load_u16_d16_hi v32, v16 offset:160
	;; [unrolled: 2-line block ×7, first 2 shown]
	s_wait_loadcnt_dscnt 0x0
	s_barrier_signal -1
	s_barrier_wait -1
	global_inv scope:SCOPE_SE
	v_pk_fma_f16 v21, v30, v22, v21 op_sel_hi:[1,0,1]
	v_pk_fma_f16 v20, v30, v26, v20 op_sel_hi:[1,0,1]
	s_delay_alu instid0(VALU_DEP_2) | instskip(NEXT) | instid1(VALU_DEP_2)
	v_pk_fma_f16 v21, v31, v22, v21 op_sel:[0,1,0]
	v_pk_fma_f16 v20, v31, v26, v20 op_sel:[0,1,0]
	s_delay_alu instid0(VALU_DEP_2) | instskip(NEXT) | instid1(VALU_DEP_2)
	v_pk_fma_f16 v21, v32, v23, v21 op_sel_hi:[1,0,1]
	v_pk_fma_f16 v20, v32, v27, v20 op_sel_hi:[1,0,1]
	s_delay_alu instid0(VALU_DEP_2) | instskip(NEXT) | instid1(VALU_DEP_2)
	v_pk_fma_f16 v21, v33, v23, v21 op_sel:[0,1,0]
	v_pk_fma_f16 v20, v33, v27, v20 op_sel:[0,1,0]
	s_delay_alu instid0(VALU_DEP_2) | instskip(NEXT) | instid1(VALU_DEP_2)
	;; [unrolled: 6-line block ×3, first 2 shown]
	v_pk_fma_f16 v21, v36, v25, v21 op_sel_hi:[1,0,1]
	v_pk_fma_f16 v20, v36, v29, v20 op_sel_hi:[1,0,1]
	s_delay_alu instid0(VALU_DEP_2) | instskip(NEXT) | instid1(VALU_DEP_2)
	v_pk_fma_f16 v21, v37, v25, v21 op_sel:[0,1,0]
	v_pk_fma_f16 v20, v37, v29, v20 op_sel:[0,1,0]
	s_wait_alu 0xfffe
	s_cbranch_vccz .LBB24_12
.LBB24_7:                               ;   Parent Loop BB24_4 Depth=1
                                        ; =>  This Inner Loop Header: Depth=2
	s_wait_alu 0xfffe
	v_add_co_u32 v22, s23, v13, s20
	s_wait_alu 0xf1ff
	v_add_co_ci_u32_e64 v23, null, 0, s21, s23
	s_delay_alu instid0(VALU_DEP_1)
	v_cmp_gt_i64_e32 vcc_lo, s[36:37], v[22:23]
	v_mov_b32_e32 v22, 0
	s_and_b32 s24, s0, vcc_lo
	s_wait_alu 0xfffe
	s_and_saveexec_b32 s23, s24
	s_cbranch_execz .LBB24_9
; %bb.8:                                ;   in Loop: Header=BB24_7 Depth=2
	global_load_u16 v22, v[10:11], off
.LBB24_9:                               ;   in Loop: Header=BB24_7 Depth=2
	s_wait_alu 0xfffe
	s_or_b32 exec_lo, exec_lo, s23
	v_add_co_u32 v23, s23, v12, s20
	s_wait_alu 0xf1ff
	v_add_co_ci_u32_e64 v24, null, 0, s21, s23
	s_wait_loadcnt 0x0
	ds_store_b16 v14, v22
	v_cmp_gt_i64_e32 vcc_lo, s[36:37], v[23:24]
	v_mov_b32_e32 v23, 0
	s_and_b32 s24, vcc_lo, s1
	s_wait_alu 0xfffe
	s_and_saveexec_b32 s23, s24
	s_cbranch_execz .LBB24_6
; %bb.10:                               ;   in Loop: Header=BB24_7 Depth=2
	global_load_u16 v23, v[8:9], off
	s_branch .LBB24_6
.LBB24_11:                              ;   in Loop: Header=BB24_4 Depth=1
	v_dual_mov_b32 v21, 0 :: v_dual_mov_b32 v20, 0
.LBB24_12:                              ;   in Loop: Header=BB24_4 Depth=1
	s_mul_u64 s[20:21], s[26:27], s[34:35]
	s_and_not1_b32 vcc_lo, exec_lo, s42
	s_wait_alu 0xfffe
	s_lshl_b64 s[20:21], s[20:21], 1
	s_wait_alu 0xfffe
	s_add_nc_u64 s[20:21], s[14:15], s[20:21]
	s_cbranch_vccnz .LBB24_17
; %bb.13:                               ;   in Loop: Header=BB24_4 Depth=1
	s_and_saveexec_b32 s23, s2
	s_cbranch_execz .LBB24_24
; %bb.14:                               ;   in Loop: Header=BB24_4 Depth=1
	v_lshlrev_b64_e32 v[8:9], 1, v[0:1]
	s_wait_alu 0xfffe
	s_delay_alu instid0(VALU_DEP_1) | instskip(SKIP_1) | instid1(VALU_DEP_2)
	v_add_co_u32 v8, vcc_lo, s20, v8
	s_wait_alu 0xfffd
	v_add_co_ci_u32_e64 v9, null, s21, v9, vcc_lo
	s_and_saveexec_b32 s24, s3
	s_cbranch_execnz .LBB24_18
; %bb.15:                               ;   in Loop: Header=BB24_4 Depth=1
	s_wait_alu 0xfffe
	s_or_b32 exec_lo, exec_lo, s24
	s_and_saveexec_b32 s24, s4
	s_cbranch_execnz .LBB24_19
.LBB24_16:                              ;   in Loop: Header=BB24_4 Depth=1
	s_wait_alu 0xfffe
	s_or_b32 exec_lo, exec_lo, s24
	s_delay_alu instid0(SALU_CYCLE_1)
	s_and_b32 exec_lo, exec_lo, s5
	s_cbranch_execnz .LBB24_20
	s_branch .LBB24_24
.LBB24_17:                              ;   in Loop: Header=BB24_4 Depth=1
	s_branch .LBB24_25
.LBB24_18:                              ;   in Loop: Header=BB24_4 Depth=1
	v_lshlrev_b64_e32 v[10:11], 1, v[2:3]
	v_mul_f16_e32 v22, s38, v21
	s_delay_alu instid0(VALU_DEP_2) | instskip(SKIP_1) | instid1(VALU_DEP_3)
	v_add_co_u32 v10, vcc_lo, v8, v10
	s_wait_alu 0xfffd
	v_add_co_ci_u32_e64 v11, null, v9, v11, vcc_lo
	global_store_b16 v[10:11], v22, off
	s_wait_alu 0xfffe
	s_or_b32 exec_lo, exec_lo, s24
	s_and_saveexec_b32 s24, s4
	s_cbranch_execz .LBB24_16
.LBB24_19:                              ;   in Loop: Header=BB24_4 Depth=1
	v_lshlrev_b64_e32 v[10:11], 1, v[2:3]
	v_lshrrev_b32_e32 v22, 16, v21
	s_delay_alu instid0(VALU_DEP_1) | instskip(NEXT) | instid1(VALU_DEP_3)
	v_mul_f16_e32 v22, s38, v22
	v_add_co_u32 v10, vcc_lo, v8, v10
	s_wait_alu 0xfffd
	s_delay_alu instid0(VALU_DEP_4) | instskip(SKIP_3) | instid1(SALU_CYCLE_1)
	v_add_co_ci_u32_e64 v11, null, v9, v11, vcc_lo
	global_store_b16 v[10:11], v22, off offset:32
	s_wait_alu 0xfffe
	s_or_b32 exec_lo, exec_lo, s24
	s_and_b32 exec_lo, exec_lo, s5
	s_cbranch_execz .LBB24_24
.LBB24_20:                              ;   in Loop: Header=BB24_4 Depth=1
	s_lshl_b64 s[24:25], s[6:7], 1
	v_lshlrev_b64_e32 v[10:11], 1, v[2:3]
	s_wait_alu 0xfffe
	v_add_co_u32 v8, vcc_lo, v8, s24
	s_wait_alu 0xfffd
	v_add_co_ci_u32_e64 v9, null, s25, v9, vcc_lo
	s_delay_alu instid0(VALU_DEP_2) | instskip(SKIP_1) | instid1(VALU_DEP_2)
	v_add_co_u32 v8, vcc_lo, v8, v10
	s_wait_alu 0xfffd
	v_add_co_ci_u32_e64 v9, null, v9, v11, vcc_lo
	s_and_saveexec_b32 s24, s3
	s_cbranch_execz .LBB24_22
; %bb.21:                               ;   in Loop: Header=BB24_4 Depth=1
	v_mul_f16_e32 v10, s38, v20
	global_store_b16 v[8:9], v10, off
.LBB24_22:                              ;   in Loop: Header=BB24_4 Depth=1
	s_wait_alu 0xfffe
	s_or_b32 exec_lo, exec_lo, s24
	s_delay_alu instid0(SALU_CYCLE_1)
	s_and_b32 exec_lo, exec_lo, s4
	s_cbranch_execz .LBB24_24
; %bb.23:                               ;   in Loop: Header=BB24_4 Depth=1
	v_lshrrev_b32_e32 v10, 16, v20
	s_delay_alu instid0(VALU_DEP_1)
	v_mul_f16_e32 v10, s38, v10
	global_store_b16 v[8:9], v10, off offset:32
.LBB24_24:                              ;   in Loop: Header=BB24_4 Depth=1
	s_wait_alu 0xfffe
	s_or_b32 exec_lo, exec_lo, s23
	s_cbranch_execnz .LBB24_3
.LBB24_25:                              ;   in Loop: Header=BB24_4 Depth=1
	s_and_saveexec_b32 s23, s2
	s_cbranch_execz .LBB24_2
; %bb.26:                               ;   in Loop: Header=BB24_4 Depth=1
	s_mul_u64 s[24:25], s[12:13], s[34:35]
	v_lshlrev_b64_e32 v[22:23], 1, v[0:1]
	s_wait_alu 0xfffe
	s_lshl_b64 s[24:25], s[24:25], 1
	v_lshlrev_b64_e32 v[8:9], 1, v[2:3]
	s_wait_alu 0xfffe
	v_add_co_u32 v10, vcc_lo, v18, s24
	s_wait_alu 0xfffd
	v_add_co_ci_u32_e64 v11, null, s25, v19, vcc_lo
	v_add_co_u32 v22, vcc_lo, s20, v22
	s_wait_alu 0xfffd
	v_add_co_ci_u32_e64 v23, null, s21, v23, vcc_lo
	s_and_saveexec_b32 s20, s3
	s_cbranch_execnz .LBB24_29
; %bb.27:                               ;   in Loop: Header=BB24_4 Depth=1
	s_wait_alu 0xfffe
	s_or_b32 exec_lo, exec_lo, s20
	s_and_saveexec_b32 s20, s4
	s_cbranch_execnz .LBB24_30
.LBB24_28:                              ;   in Loop: Header=BB24_4 Depth=1
	s_wait_alu 0xfffe
	s_or_b32 exec_lo, exec_lo, s20
	s_delay_alu instid0(SALU_CYCLE_1)
	s_and_b32 exec_lo, exec_lo, s5
	s_cbranch_execz .LBB24_2
	s_branch .LBB24_31
.LBB24_29:                              ;   in Loop: Header=BB24_4 Depth=1
	v_add_co_u32 v24, vcc_lo, v10, v8
	s_wait_alu 0xfffd
	v_add_co_ci_u32_e64 v25, null, v11, v9, vcc_lo
	global_load_u16 v24, v[24:25], off
	s_wait_loadcnt 0x0
	v_mul_f16_e32 v26, s39, v24
	v_add_co_u32 v24, vcc_lo, v22, v8
	s_wait_alu 0xfffd
	v_add_co_ci_u32_e64 v25, null, v23, v9, vcc_lo
	s_delay_alu instid0(VALU_DEP_3)
	v_fmac_f16_e32 v26, s38, v21
	global_store_b16 v[24:25], v26, off
	s_wait_alu 0xfffe
	s_or_b32 exec_lo, exec_lo, s20
	s_and_saveexec_b32 s20, s4
	s_cbranch_execz .LBB24_28
.LBB24_30:                              ;   in Loop: Header=BB24_4 Depth=1
	v_add_co_u32 v24, vcc_lo, v10, v8
	s_wait_alu 0xfffd
	v_add_co_ci_u32_e64 v25, null, v11, v9, vcc_lo
	v_lshrrev_b32_e32 v21, 16, v21
	global_load_u16 v24, v[24:25], off offset:32
	s_wait_loadcnt 0x0
	v_mul_f16_e32 v26, s39, v24
	v_add_co_u32 v24, vcc_lo, v22, v8
	s_wait_alu 0xfffd
	v_add_co_ci_u32_e64 v25, null, v23, v9, vcc_lo
	s_delay_alu instid0(VALU_DEP_3) | instskip(SKIP_3) | instid1(SALU_CYCLE_1)
	v_fmac_f16_e32 v26, s38, v21
	global_store_b16 v[24:25], v26, off offset:32
	s_wait_alu 0xfffe
	s_or_b32 exec_lo, exec_lo, s20
	s_and_b32 exec_lo, exec_lo, s5
	s_cbranch_execz .LBB24_2
.LBB24_31:                              ;   in Loop: Header=BB24_4 Depth=1
	v_add_co_u32 v10, vcc_lo, v10, s18
	s_lshl_b64 s[20:21], s[6:7], 1
	s_wait_alu 0xfffd
	v_add_co_ci_u32_e64 v11, null, s19, v11, vcc_lo
	s_wait_alu 0xfffe
	v_add_co_u32 v21, vcc_lo, v22, s20
	s_wait_alu 0xfffd
	v_add_co_ci_u32_e64 v22, null, s21, v23, vcc_lo
	v_add_co_u32 v10, vcc_lo, v10, v8
	s_wait_alu 0xfffd
	v_add_co_ci_u32_e64 v11, null, v11, v9, vcc_lo
	;; [unrolled: 3-line block ×3, first 2 shown]
	s_and_saveexec_b32 s20, s3
	s_cbranch_execz .LBB24_33
; %bb.32:                               ;   in Loop: Header=BB24_4 Depth=1
	global_load_u16 v21, v[10:11], off
	s_wait_loadcnt 0x0
	v_mul_f16_e32 v21, s39, v21
	s_delay_alu instid0(VALU_DEP_1)
	v_fmac_f16_e32 v21, s38, v20
	global_store_b16 v[8:9], v21, off
.LBB24_33:                              ;   in Loop: Header=BB24_4 Depth=1
	s_wait_alu 0xfffe
	s_or_b32 exec_lo, exec_lo, s20
	s_delay_alu instid0(SALU_CYCLE_1)
	s_and_b32 exec_lo, exec_lo, s4
	s_cbranch_execz .LBB24_2
; %bb.34:                               ;   in Loop: Header=BB24_4 Depth=1
	global_load_u16 v10, v[10:11], off offset:32
	v_lshrrev_b32_e32 v11, 16, v20
	s_wait_loadcnt 0x0
	v_mul_f16_e32 v10, s39, v10
	s_delay_alu instid0(VALU_DEP_1)
	v_fmac_f16_e32 v10, s38, v11
	global_store_b16 v[8:9], v10, off offset:32
	s_branch .LBB24_2
.LBB24_35:
	s_endpgm
	.section	.rodata,"a",@progbits
	.p2align	6, 0x0
	.amdhsa_kernel _ZN12_GLOBAL__N_135rocblas_gemm_batched_general_kernelIDF16_Li16ELi16ELi32ELi32ELi8ELi32ELi8ELi8ELi32ELc67ELc67EKDF16_S1_DF16_EEvlllT_PT11_llS4_llS2_PT12_llPT13_lli
		.amdhsa_group_segment_fixed_size 1024
		.amdhsa_private_segment_fixed_size 0
		.amdhsa_kernarg_size 140
		.amdhsa_user_sgpr_count 2
		.amdhsa_user_sgpr_dispatch_ptr 0
		.amdhsa_user_sgpr_queue_ptr 0
		.amdhsa_user_sgpr_kernarg_segment_ptr 1
		.amdhsa_user_sgpr_dispatch_id 0
		.amdhsa_user_sgpr_private_segment_size 0
		.amdhsa_wavefront_size32 1
		.amdhsa_uses_dynamic_stack 0
		.amdhsa_enable_private_segment 0
		.amdhsa_system_sgpr_workgroup_id_x 1
		.amdhsa_system_sgpr_workgroup_id_y 1
		.amdhsa_system_sgpr_workgroup_id_z 1
		.amdhsa_system_sgpr_workgroup_info 0
		.amdhsa_system_vgpr_workitem_id 1
		.amdhsa_next_free_vgpr 38
		.amdhsa_next_free_sgpr 44
		.amdhsa_reserve_vcc 1
		.amdhsa_float_round_mode_32 0
		.amdhsa_float_round_mode_16_64 0
		.amdhsa_float_denorm_mode_32 3
		.amdhsa_float_denorm_mode_16_64 3
		.amdhsa_fp16_overflow 0
		.amdhsa_workgroup_processor_mode 1
		.amdhsa_memory_ordered 1
		.amdhsa_forward_progress 1
		.amdhsa_inst_pref_size 18
		.amdhsa_round_robin_scheduling 0
		.amdhsa_exception_fp_ieee_invalid_op 0
		.amdhsa_exception_fp_denorm_src 0
		.amdhsa_exception_fp_ieee_div_zero 0
		.amdhsa_exception_fp_ieee_overflow 0
		.amdhsa_exception_fp_ieee_underflow 0
		.amdhsa_exception_fp_ieee_inexact 0
		.amdhsa_exception_int_div_zero 0
	.end_amdhsa_kernel
	.section	.text._ZN12_GLOBAL__N_135rocblas_gemm_batched_general_kernelIDF16_Li16ELi16ELi32ELi32ELi8ELi32ELi8ELi8ELi32ELc67ELc67EKDF16_S1_DF16_EEvlllT_PT11_llS4_llS2_PT12_llPT13_lli,"axG",@progbits,_ZN12_GLOBAL__N_135rocblas_gemm_batched_general_kernelIDF16_Li16ELi16ELi32ELi32ELi8ELi32ELi8ELi8ELi32ELc67ELc67EKDF16_S1_DF16_EEvlllT_PT11_llS4_llS2_PT12_llPT13_lli,comdat
.Lfunc_end24:
	.size	_ZN12_GLOBAL__N_135rocblas_gemm_batched_general_kernelIDF16_Li16ELi16ELi32ELi32ELi8ELi32ELi8ELi8ELi32ELc67ELc67EKDF16_S1_DF16_EEvlllT_PT11_llS4_llS2_PT12_llPT13_lli, .Lfunc_end24-_ZN12_GLOBAL__N_135rocblas_gemm_batched_general_kernelIDF16_Li16ELi16ELi32ELi32ELi8ELi32ELi8ELi8ELi32ELc67ELc67EKDF16_S1_DF16_EEvlllT_PT11_llS4_llS2_PT12_llPT13_lli
                                        ; -- End function
	.set _ZN12_GLOBAL__N_135rocblas_gemm_batched_general_kernelIDF16_Li16ELi16ELi32ELi32ELi8ELi32ELi8ELi8ELi32ELc67ELc67EKDF16_S1_DF16_EEvlllT_PT11_llS4_llS2_PT12_llPT13_lli.num_vgpr, 38
	.set _ZN12_GLOBAL__N_135rocblas_gemm_batched_general_kernelIDF16_Li16ELi16ELi32ELi32ELi8ELi32ELi8ELi8ELi32ELc67ELc67EKDF16_S1_DF16_EEvlllT_PT11_llS4_llS2_PT12_llPT13_lli.num_agpr, 0
	.set _ZN12_GLOBAL__N_135rocblas_gemm_batched_general_kernelIDF16_Li16ELi16ELi32ELi32ELi8ELi32ELi8ELi8ELi32ELc67ELc67EKDF16_S1_DF16_EEvlllT_PT11_llS4_llS2_PT12_llPT13_lli.numbered_sgpr, 44
	.set _ZN12_GLOBAL__N_135rocblas_gemm_batched_general_kernelIDF16_Li16ELi16ELi32ELi32ELi8ELi32ELi8ELi8ELi32ELc67ELc67EKDF16_S1_DF16_EEvlllT_PT11_llS4_llS2_PT12_llPT13_lli.num_named_barrier, 0
	.set _ZN12_GLOBAL__N_135rocblas_gemm_batched_general_kernelIDF16_Li16ELi16ELi32ELi32ELi8ELi32ELi8ELi8ELi32ELc67ELc67EKDF16_S1_DF16_EEvlllT_PT11_llS4_llS2_PT12_llPT13_lli.private_seg_size, 0
	.set _ZN12_GLOBAL__N_135rocblas_gemm_batched_general_kernelIDF16_Li16ELi16ELi32ELi32ELi8ELi32ELi8ELi8ELi32ELc67ELc67EKDF16_S1_DF16_EEvlllT_PT11_llS4_llS2_PT12_llPT13_lli.uses_vcc, 1
	.set _ZN12_GLOBAL__N_135rocblas_gemm_batched_general_kernelIDF16_Li16ELi16ELi32ELi32ELi8ELi32ELi8ELi8ELi32ELc67ELc67EKDF16_S1_DF16_EEvlllT_PT11_llS4_llS2_PT12_llPT13_lli.uses_flat_scratch, 0
	.set _ZN12_GLOBAL__N_135rocblas_gemm_batched_general_kernelIDF16_Li16ELi16ELi32ELi32ELi8ELi32ELi8ELi8ELi32ELc67ELc67EKDF16_S1_DF16_EEvlllT_PT11_llS4_llS2_PT12_llPT13_lli.has_dyn_sized_stack, 0
	.set _ZN12_GLOBAL__N_135rocblas_gemm_batched_general_kernelIDF16_Li16ELi16ELi32ELi32ELi8ELi32ELi8ELi8ELi32ELc67ELc67EKDF16_S1_DF16_EEvlllT_PT11_llS4_llS2_PT12_llPT13_lli.has_recursion, 0
	.set _ZN12_GLOBAL__N_135rocblas_gemm_batched_general_kernelIDF16_Li16ELi16ELi32ELi32ELi8ELi32ELi8ELi8ELi32ELc67ELc67EKDF16_S1_DF16_EEvlllT_PT11_llS4_llS2_PT12_llPT13_lli.has_indirect_call, 0
	.section	.AMDGPU.csdata,"",@progbits
; Kernel info:
; codeLenInByte = 2292
; TotalNumSgprs: 46
; NumVgprs: 38
; ScratchSize: 0
; MemoryBound: 0
; FloatMode: 240
; IeeeMode: 1
; LDSByteSize: 1024 bytes/workgroup (compile time only)
; SGPRBlocks: 0
; VGPRBlocks: 4
; NumSGPRsForWavesPerEU: 46
; NumVGPRsForWavesPerEU: 38
; Occupancy: 16
; WaveLimiterHint : 0
; COMPUTE_PGM_RSRC2:SCRATCH_EN: 0
; COMPUTE_PGM_RSRC2:USER_SGPR: 2
; COMPUTE_PGM_RSRC2:TRAP_HANDLER: 0
; COMPUTE_PGM_RSRC2:TGID_X_EN: 1
; COMPUTE_PGM_RSRC2:TGID_Y_EN: 1
; COMPUTE_PGM_RSRC2:TGID_Z_EN: 1
; COMPUTE_PGM_RSRC2:TIDIG_COMP_CNT: 1
	.section	.text._ZN12_GLOBAL__N_135rocblas_gemm_batched_general_kernelIDF16_Li16ELi16ELi32ELi32ELi8ELi32ELi8ELi8ELi32ELc67ELc78EKDF16_S1_DF16_EEvlllT_PT11_llS4_llS2_PT12_llPT13_lli,"axG",@progbits,_ZN12_GLOBAL__N_135rocblas_gemm_batched_general_kernelIDF16_Li16ELi16ELi32ELi32ELi8ELi32ELi8ELi8ELi32ELc67ELc78EKDF16_S1_DF16_EEvlllT_PT11_llS4_llS2_PT12_llPT13_lli,comdat
	.globl	_ZN12_GLOBAL__N_135rocblas_gemm_batched_general_kernelIDF16_Li16ELi16ELi32ELi32ELi8ELi32ELi8ELi8ELi32ELc67ELc78EKDF16_S1_DF16_EEvlllT_PT11_llS4_llS2_PT12_llPT13_lli ; -- Begin function _ZN12_GLOBAL__N_135rocblas_gemm_batched_general_kernelIDF16_Li16ELi16ELi32ELi32ELi8ELi32ELi8ELi8ELi32ELc67ELc78EKDF16_S1_DF16_EEvlllT_PT11_llS4_llS2_PT12_llPT13_lli
	.p2align	8
	.type	_ZN12_GLOBAL__N_135rocblas_gemm_batched_general_kernelIDF16_Li16ELi16ELi32ELi32ELi8ELi32ELi8ELi8ELi32ELc67ELc78EKDF16_S1_DF16_EEvlllT_PT11_llS4_llS2_PT12_llPT13_lli,@function
_ZN12_GLOBAL__N_135rocblas_gemm_batched_general_kernelIDF16_Li16ELi16ELi32ELi32ELi8ELi32ELi8ELi8ELi32ELc67ELc78EKDF16_S1_DF16_EEvlllT_PT11_llS4_llS2_PT12_llPT13_lli: ; @_ZN12_GLOBAL__N_135rocblas_gemm_batched_general_kernelIDF16_Li16ELi16ELi32ELi32ELi8ELi32ELi8ELi8ELi32ELc67ELc78EKDF16_S1_DF16_EEvlllT_PT11_llS4_llS2_PT12_llPT13_lli
; %bb.0:
	s_load_b32 s33, s[0:1], 0x88
	s_lshr_b32 s34, ttmp7, 16
	s_wait_kmcnt 0x0
	s_cmp_ge_i32 s34, s33
	s_cbranch_scc1 .LBB25_35
; %bb.1:
	v_bfe_u32 v1, v0, 10, 10
	s_mov_b32 s2, ttmp9
	s_ashr_i32 s3, ttmp9, 31
	s_clause 0x1
	s_load_b128 s[28:31], s[0:1], 0x0
	s_load_b96 s[36:38], s[0:1], 0x10
	s_lshl_b64 s[40:41], s[2:3], 5
	s_delay_alu instid0(SALU_CYCLE_1)
	v_dual_mov_b32 v5, s41 :: v_dual_and_b32 v2, 0x3ff, v0
	v_lshlrev_b32_e32 v3, 4, v1
	s_clause 0x4
	s_load_b256 s[16:23], s[0:1], 0x20
	s_load_b128 s[4:7], s[0:1], 0x40
	s_load_b32 s39, s[0:1], 0x50
	s_load_b128 s[24:27], s[0:1], 0x78
	s_load_b256 s[8:15], s[0:1], 0x58
	s_and_b32 s0, ttmp7, 0xffff
	v_lshlrev_b32_e32 v16, 1, v2
	v_add_nc_u32_e32 v4, v3, v2
	s_lshl_b32 s2, s0, 5
	v_add_nc_u32_e32 v17, 0x200, v3
	s_mov_b32 s35, 0
	s_delay_alu instid0(VALU_DEP_2) | instskip(SKIP_1) | instid1(VALU_DEP_2)
	v_lshrrev_b32_e32 v8, 3, v4
	v_lshrrev_b32_e32 v13, 5, v4
	v_add_co_u32 v6, s0, v8, s2
	s_delay_alu instid0(VALU_DEP_1) | instskip(SKIP_1) | instid1(VALU_DEP_2)
	v_add_co_ci_u32_e64 v7, null, 0, 0, s0
	s_wait_kmcnt 0x0
	v_mad_co_u64_u32 v[18:19], null, s4, v6, 0
	v_and_b32_e32 v12, 7, v0
	v_and_b32_e32 v0, 31, v4
	v_cmp_gt_i64_e64 s1, s[30:31], v[6:7]
	v_add_co_u32 v7, s2, s2, v1
	s_cmp_eq_f16 s39, 0
	v_or_b32_e32 v4, s40, v0
	v_mad_co_u64_u32 v[9:10], null, v7, s10, 0
	s_cselect_b32 s42, -1, 0
	v_cmp_gt_i64_e64 s0, s[28:29], v[4:5]
	v_dual_mov_b32 v5, v19 :: v_dual_lshlrev_b32 v24, 1, v12
	s_lshl_b64 s[6:7], s[6:7], 1
	s_delay_alu instid0(VALU_DEP_1) | instskip(SKIP_1) | instid1(VALU_DEP_3)
	v_mad_co_u64_u32 v[5:6], null, s5, v6, v[5:6]
	v_lshlrev_b32_e32 v0, 1, v0
	v_lshl_or_b32 v8, v8, 4, v24
	s_delay_alu instid0(VALU_DEP_3) | instskip(NEXT) | instid1(VALU_DEP_3)
	v_mov_b32_e32 v19, v5
	v_lshl_or_b32 v14, v13, 6, v0
	v_mad_co_u64_u32 v[0:1], null, v7, s24, 0
	s_delay_alu instid0(VALU_DEP_4)
	v_add_nc_u32_e32 v15, 0x200, v8
	s_wait_alu 0xf1ff
	v_add_co_ci_u32_e64 v8, null, 0, 0, s2
	v_add_co_u32 v2, s2, s40, v2
	s_wait_alu 0xf1ff
	v_add_co_ci_u32_e64 v3, null, s41, 0, s2
	s_delay_alu instid0(VALU_DEP_3) | instskip(NEXT) | instid1(VALU_DEP_3)
	v_cmp_gt_i64_e64 s2, s[30:31], v[7:8]
	v_mad_co_u64_u32 v[22:23], null, v7, s25, v[1:2]
	v_mov_b32_e32 v1, v10
	v_add_co_u32 v20, vcc_lo, v2, 16
	s_delay_alu instid0(VALU_DEP_1) | instskip(NEXT) | instid1(VALU_DEP_3)
	v_add_co_ci_u32_e64 v21, null, 0, v3, vcc_lo
	v_mad_co_u64_u32 v[10:11], null, v7, s11, v[1:2]
	v_add_co_u32 v6, vcc_lo, v7, 16
	s_delay_alu instid0(VALU_DEP_3)
	v_cmp_gt_i64_e64 s4, s[28:29], v[20:21]
	s_wait_alu 0xfffd
	v_add_co_ci_u32_e64 v7, null, 0, v8, vcc_lo
	v_mul_lo_u32 v8, s19, v4
	v_mad_co_u64_u32 v[20:21], null, s18, v4, 0
	v_lshlrev_b64_e32 v[4:5], 1, v[9:10]
	s_mul_i32 s18, s18, s41
	v_cmp_gt_i64_e64 s5, s[30:31], v[6:7]
	v_lshlrev_b64_e32 v[6:7], 1, v[18:19]
	v_cmp_gt_i64_e64 s3, s[28:29], v[2:3]
	v_mov_b32_e32 v1, v22
	s_wait_alu 0xfffe
	v_add3_u32 v21, v21, s18, v8
	v_add_co_u32 v18, vcc_lo, s8, v4
	s_wait_alu 0xfffd
	v_add_co_ci_u32_e64 v19, null, s9, v5, vcc_lo
	s_delay_alu instid0(VALU_DEP_3) | instskip(SKIP_4) | instid1(VALU_DEP_3)
	v_lshlrev_b64_e32 v[4:5], 1, v[20:21]
	v_lshlrev_b32_e32 v8, 1, v13
	v_add_co_u32 v6, vcc_lo, v6, v24
	s_wait_alu 0xfffd
	v_add_co_ci_u32_e64 v7, null, 0, v7, vcc_lo
	v_add_co_u32 v8, vcc_lo, v4, v8
	s_wait_alu 0xfffd
	v_add_co_ci_u32_e64 v9, null, 0, v5, vcc_lo
	;; [unrolled: 3-line block ×3, first 2 shown]
	v_add_co_u32 v6, vcc_lo, s16, v8
	v_cmp_gt_i64_e64 s18, s[36:37], 0
	s_wait_alu 0xfffd
	v_add_co_ci_u32_e64 v7, null, s17, v9, vcc_lo
	s_lshl_b64 s[10:11], s[10:11], 4
	s_lshl_b64 s[24:25], s[24:25], 4
	;; [unrolled: 1-line block ×3, first 2 shown]
	s_wait_alu 0xfffe
	s_lshl_b64 s[10:11], s[10:11], 1
	s_branch .LBB25_4
.LBB25_2:                               ;   in Loop: Header=BB25_4 Depth=1
	s_wait_alu 0xfffe
	s_or_b32 exec_lo, exec_lo, s19
.LBB25_3:                               ;   in Loop: Header=BB25_4 Depth=1
	s_add_co_i32 s34, s34, 0x10000
	s_wait_alu 0xfffe
	s_cmp_lt_i32 s34, s33
	s_cbranch_scc0 .LBB25_35
.LBB25_4:                               ; =>This Loop Header: Depth=1
                                        ;     Child Loop BB25_7 Depth 2
	s_and_not1_b32 vcc_lo, exec_lo, s18
	s_wait_alu 0xfffe
	s_cbranch_vccnz .LBB25_11
; %bb.5:                                ;   in Loop: Header=BB25_4 Depth=1
	v_mad_co_u64_u32 v[8:9], null, s6, s34, v[4:5]
	v_mad_co_u64_u32 v[10:11], null, s8, s34, v[6:7]
	s_mov_b64 s[16:17], 0
	v_mad_co_u64_u32 v[20:21], null, s7, s34, v[9:10]
	v_mad_co_u64_u32 v[22:23], null, s9, s34, v[11:12]
	v_mov_b32_e32 v21, 0
	s_delay_alu instid0(VALU_DEP_3) | instskip(NEXT) | instid1(VALU_DEP_3)
	v_dual_mov_b32 v9, v20 :: v_dual_mov_b32 v20, 0
	v_mov_b32_e32 v11, v22
	s_branch .LBB25_7
.LBB25_6:                               ;   in Loop: Header=BB25_7 Depth=2
	s_wait_alu 0xfffe
	s_or_b32 exec_lo, exec_lo, s19
	s_wait_loadcnt 0x0
	ds_store_b16 v15, v23
	s_wait_dscnt 0x0
	s_barrier_signal -1
	s_barrier_wait -1
	global_inv scope:SCOPE_SE
	ds_load_u16 v30, v16
	ds_load_u16 v31, v16 offset:64
	ds_load_u16 v32, v16 offset:128
	;; [unrolled: 1-line block ×7, first 2 shown]
	s_add_nc_u64 s[16:17], s[16:17], 8
	v_add_co_u32 v8, vcc_lo, v8, 16
	s_wait_alu 0xfffe
	v_cmp_lt_i64_e64 s19, s[16:17], s[36:37]
	s_wait_alu 0xfffd
	v_add_co_ci_u32_e64 v9, null, 0, v9, vcc_lo
	v_add_co_u32 v10, vcc_lo, v10, 16
	s_wait_alu 0xfffd
	v_add_co_ci_u32_e64 v11, null, 0, v11, vcc_lo
	s_and_b32 vcc_lo, exec_lo, s19
	s_wait_dscnt 0x7
	ds_load_u16_d16_hi v30, v16 offset:32
	ds_load_b128 v[22:25], v17
	ds_load_b128 v[26:29], v17 offset:256
	s_wait_dscnt 0x9
	ds_load_u16_d16_hi v31, v16 offset:96
	s_wait_dscnt 0x9
	ds_load_u16_d16_hi v32, v16 offset:160
	;; [unrolled: 2-line block ×7, first 2 shown]
	s_wait_loadcnt_dscnt 0x0
	s_barrier_signal -1
	s_barrier_wait -1
	global_inv scope:SCOPE_SE
	v_pk_fma_f16 v21, v30, v22, v21 op_sel_hi:[1,0,1]
	v_pk_fma_f16 v20, v30, v26, v20 op_sel_hi:[1,0,1]
	s_delay_alu instid0(VALU_DEP_2) | instskip(NEXT) | instid1(VALU_DEP_2)
	v_pk_fma_f16 v21, v31, v22, v21 op_sel:[0,1,0]
	v_pk_fma_f16 v20, v31, v26, v20 op_sel:[0,1,0]
	s_delay_alu instid0(VALU_DEP_2) | instskip(NEXT) | instid1(VALU_DEP_2)
	v_pk_fma_f16 v21, v32, v23, v21 op_sel_hi:[1,0,1]
	v_pk_fma_f16 v20, v32, v27, v20 op_sel_hi:[1,0,1]
	s_delay_alu instid0(VALU_DEP_2) | instskip(NEXT) | instid1(VALU_DEP_2)
	v_pk_fma_f16 v21, v33, v23, v21 op_sel:[0,1,0]
	v_pk_fma_f16 v20, v33, v27, v20 op_sel:[0,1,0]
	s_delay_alu instid0(VALU_DEP_2) | instskip(NEXT) | instid1(VALU_DEP_2)
	;; [unrolled: 6-line block ×3, first 2 shown]
	v_pk_fma_f16 v21, v36, v25, v21 op_sel_hi:[1,0,1]
	v_pk_fma_f16 v20, v36, v29, v20 op_sel_hi:[1,0,1]
	s_delay_alu instid0(VALU_DEP_2) | instskip(NEXT) | instid1(VALU_DEP_2)
	v_pk_fma_f16 v21, v37, v25, v21 op_sel:[0,1,0]
	v_pk_fma_f16 v20, v37, v29, v20 op_sel:[0,1,0]
	s_wait_alu 0xfffe
	s_cbranch_vccz .LBB25_12
.LBB25_7:                               ;   Parent Loop BB25_4 Depth=1
                                        ; =>  This Inner Loop Header: Depth=2
	s_wait_alu 0xfffe
	v_add_co_u32 v22, s19, v13, s16
	s_wait_alu 0xf1ff
	v_add_co_ci_u32_e64 v23, null, 0, s17, s19
	s_delay_alu instid0(VALU_DEP_1)
	v_cmp_gt_i64_e32 vcc_lo, s[36:37], v[22:23]
	v_mov_b32_e32 v22, 0
	s_and_b32 s20, s0, vcc_lo
	s_wait_alu 0xfffe
	s_and_saveexec_b32 s19, s20
	s_cbranch_execz .LBB25_9
; %bb.8:                                ;   in Loop: Header=BB25_7 Depth=2
	global_load_u16 v22, v[10:11], off
.LBB25_9:                               ;   in Loop: Header=BB25_7 Depth=2
	s_wait_alu 0xfffe
	s_or_b32 exec_lo, exec_lo, s19
	v_add_co_u32 v23, s19, v12, s16
	s_wait_alu 0xf1ff
	v_add_co_ci_u32_e64 v24, null, 0, s17, s19
	s_wait_loadcnt 0x0
	ds_store_b16 v14, v22
	v_cmp_gt_i64_e32 vcc_lo, s[36:37], v[23:24]
	v_mov_b32_e32 v23, 0
	s_and_b32 s20, vcc_lo, s1
	s_wait_alu 0xfffe
	s_and_saveexec_b32 s19, s20
	s_cbranch_execz .LBB25_6
; %bb.10:                               ;   in Loop: Header=BB25_7 Depth=2
	global_load_u16 v23, v[8:9], off
	s_branch .LBB25_6
.LBB25_11:                              ;   in Loop: Header=BB25_4 Depth=1
	v_dual_mov_b32 v21, 0 :: v_dual_mov_b32 v20, 0
.LBB25_12:                              ;   in Loop: Header=BB25_4 Depth=1
	s_mul_u64 s[16:17], s[26:27], s[34:35]
	s_and_not1_b32 vcc_lo, exec_lo, s42
	s_wait_alu 0xfffe
	s_lshl_b64 s[16:17], s[16:17], 1
	s_wait_alu 0xfffe
	s_add_nc_u64 s[16:17], s[14:15], s[16:17]
	s_cbranch_vccnz .LBB25_17
; %bb.13:                               ;   in Loop: Header=BB25_4 Depth=1
	s_and_saveexec_b32 s19, s2
	s_cbranch_execz .LBB25_24
; %bb.14:                               ;   in Loop: Header=BB25_4 Depth=1
	v_lshlrev_b64_e32 v[8:9], 1, v[0:1]
	s_wait_alu 0xfffe
	s_delay_alu instid0(VALU_DEP_1) | instskip(SKIP_1) | instid1(VALU_DEP_2)
	v_add_co_u32 v8, vcc_lo, s16, v8
	s_wait_alu 0xfffd
	v_add_co_ci_u32_e64 v9, null, s17, v9, vcc_lo
	s_and_saveexec_b32 s20, s3
	s_cbranch_execnz .LBB25_18
; %bb.15:                               ;   in Loop: Header=BB25_4 Depth=1
	s_wait_alu 0xfffe
	s_or_b32 exec_lo, exec_lo, s20
	s_and_saveexec_b32 s20, s4
	s_cbranch_execnz .LBB25_19
.LBB25_16:                              ;   in Loop: Header=BB25_4 Depth=1
	s_wait_alu 0xfffe
	s_or_b32 exec_lo, exec_lo, s20
	s_delay_alu instid0(SALU_CYCLE_1)
	s_and_b32 exec_lo, exec_lo, s5
	s_cbranch_execnz .LBB25_20
	s_branch .LBB25_24
.LBB25_17:                              ;   in Loop: Header=BB25_4 Depth=1
	s_branch .LBB25_25
.LBB25_18:                              ;   in Loop: Header=BB25_4 Depth=1
	v_lshlrev_b64_e32 v[10:11], 1, v[2:3]
	v_mul_f16_e32 v22, s38, v21
	s_delay_alu instid0(VALU_DEP_2) | instskip(SKIP_1) | instid1(VALU_DEP_3)
	v_add_co_u32 v10, vcc_lo, v8, v10
	s_wait_alu 0xfffd
	v_add_co_ci_u32_e64 v11, null, v9, v11, vcc_lo
	global_store_b16 v[10:11], v22, off
	s_wait_alu 0xfffe
	s_or_b32 exec_lo, exec_lo, s20
	s_and_saveexec_b32 s20, s4
	s_cbranch_execz .LBB25_16
.LBB25_19:                              ;   in Loop: Header=BB25_4 Depth=1
	v_lshlrev_b64_e32 v[10:11], 1, v[2:3]
	v_lshrrev_b32_e32 v22, 16, v21
	s_delay_alu instid0(VALU_DEP_1) | instskip(NEXT) | instid1(VALU_DEP_3)
	v_mul_f16_e32 v22, s38, v22
	v_add_co_u32 v10, vcc_lo, v8, v10
	s_wait_alu 0xfffd
	s_delay_alu instid0(VALU_DEP_4) | instskip(SKIP_3) | instid1(SALU_CYCLE_1)
	v_add_co_ci_u32_e64 v11, null, v9, v11, vcc_lo
	global_store_b16 v[10:11], v22, off offset:32
	s_wait_alu 0xfffe
	s_or_b32 exec_lo, exec_lo, s20
	s_and_b32 exec_lo, exec_lo, s5
	s_cbranch_execz .LBB25_24
.LBB25_20:                              ;   in Loop: Header=BB25_4 Depth=1
	s_lshl_b64 s[20:21], s[24:25], 1
	v_lshlrev_b64_e32 v[10:11], 1, v[2:3]
	s_wait_alu 0xfffe
	v_add_co_u32 v8, vcc_lo, v8, s20
	s_wait_alu 0xfffd
	v_add_co_ci_u32_e64 v9, null, s21, v9, vcc_lo
	s_delay_alu instid0(VALU_DEP_2) | instskip(SKIP_1) | instid1(VALU_DEP_2)
	v_add_co_u32 v8, vcc_lo, v8, v10
	s_wait_alu 0xfffd
	v_add_co_ci_u32_e64 v9, null, v9, v11, vcc_lo
	s_and_saveexec_b32 s20, s3
	s_cbranch_execz .LBB25_22
; %bb.21:                               ;   in Loop: Header=BB25_4 Depth=1
	v_mul_f16_e32 v10, s38, v20
	global_store_b16 v[8:9], v10, off
.LBB25_22:                              ;   in Loop: Header=BB25_4 Depth=1
	s_wait_alu 0xfffe
	s_or_b32 exec_lo, exec_lo, s20
	s_delay_alu instid0(SALU_CYCLE_1)
	s_and_b32 exec_lo, exec_lo, s4
	s_cbranch_execz .LBB25_24
; %bb.23:                               ;   in Loop: Header=BB25_4 Depth=1
	v_lshrrev_b32_e32 v10, 16, v20
	s_delay_alu instid0(VALU_DEP_1)
	v_mul_f16_e32 v10, s38, v10
	global_store_b16 v[8:9], v10, off offset:32
.LBB25_24:                              ;   in Loop: Header=BB25_4 Depth=1
	s_wait_alu 0xfffe
	s_or_b32 exec_lo, exec_lo, s19
	s_cbranch_execnz .LBB25_3
.LBB25_25:                              ;   in Loop: Header=BB25_4 Depth=1
	s_and_saveexec_b32 s19, s2
	s_cbranch_execz .LBB25_2
; %bb.26:                               ;   in Loop: Header=BB25_4 Depth=1
	s_mul_u64 s[20:21], s[12:13], s[34:35]
	v_lshlrev_b64_e32 v[22:23], 1, v[0:1]
	s_wait_alu 0xfffe
	s_lshl_b64 s[20:21], s[20:21], 1
	v_lshlrev_b64_e32 v[8:9], 1, v[2:3]
	s_wait_alu 0xfffe
	v_add_co_u32 v10, vcc_lo, v18, s20
	s_wait_alu 0xfffd
	v_add_co_ci_u32_e64 v11, null, s21, v19, vcc_lo
	v_add_co_u32 v22, vcc_lo, s16, v22
	s_wait_alu 0xfffd
	v_add_co_ci_u32_e64 v23, null, s17, v23, vcc_lo
	s_and_saveexec_b32 s16, s3
	s_cbranch_execnz .LBB25_29
; %bb.27:                               ;   in Loop: Header=BB25_4 Depth=1
	s_wait_alu 0xfffe
	s_or_b32 exec_lo, exec_lo, s16
	s_and_saveexec_b32 s16, s4
	s_cbranch_execnz .LBB25_30
.LBB25_28:                              ;   in Loop: Header=BB25_4 Depth=1
	s_wait_alu 0xfffe
	s_or_b32 exec_lo, exec_lo, s16
	s_delay_alu instid0(SALU_CYCLE_1)
	s_and_b32 exec_lo, exec_lo, s5
	s_cbranch_execz .LBB25_2
	s_branch .LBB25_31
.LBB25_29:                              ;   in Loop: Header=BB25_4 Depth=1
	v_add_co_u32 v24, vcc_lo, v10, v8
	s_wait_alu 0xfffd
	v_add_co_ci_u32_e64 v25, null, v11, v9, vcc_lo
	global_load_u16 v24, v[24:25], off
	s_wait_loadcnt 0x0
	v_mul_f16_e32 v26, s39, v24
	v_add_co_u32 v24, vcc_lo, v22, v8
	s_wait_alu 0xfffd
	v_add_co_ci_u32_e64 v25, null, v23, v9, vcc_lo
	s_delay_alu instid0(VALU_DEP_3)
	v_fmac_f16_e32 v26, s38, v21
	global_store_b16 v[24:25], v26, off
	s_wait_alu 0xfffe
	s_or_b32 exec_lo, exec_lo, s16
	s_and_saveexec_b32 s16, s4
	s_cbranch_execz .LBB25_28
.LBB25_30:                              ;   in Loop: Header=BB25_4 Depth=1
	v_add_co_u32 v24, vcc_lo, v10, v8
	s_wait_alu 0xfffd
	v_add_co_ci_u32_e64 v25, null, v11, v9, vcc_lo
	v_lshrrev_b32_e32 v21, 16, v21
	global_load_u16 v24, v[24:25], off offset:32
	s_wait_loadcnt 0x0
	v_mul_f16_e32 v26, s39, v24
	v_add_co_u32 v24, vcc_lo, v22, v8
	s_wait_alu 0xfffd
	v_add_co_ci_u32_e64 v25, null, v23, v9, vcc_lo
	s_delay_alu instid0(VALU_DEP_3) | instskip(SKIP_3) | instid1(SALU_CYCLE_1)
	v_fmac_f16_e32 v26, s38, v21
	global_store_b16 v[24:25], v26, off offset:32
	s_wait_alu 0xfffe
	s_or_b32 exec_lo, exec_lo, s16
	s_and_b32 exec_lo, exec_lo, s5
	s_cbranch_execz .LBB25_2
.LBB25_31:                              ;   in Loop: Header=BB25_4 Depth=1
	v_add_co_u32 v10, vcc_lo, v10, s10
	s_lshl_b64 s[16:17], s[24:25], 1
	s_wait_alu 0xfffd
	v_add_co_ci_u32_e64 v11, null, s11, v11, vcc_lo
	s_wait_alu 0xfffe
	v_add_co_u32 v21, vcc_lo, v22, s16
	s_wait_alu 0xfffd
	v_add_co_ci_u32_e64 v22, null, s17, v23, vcc_lo
	v_add_co_u32 v10, vcc_lo, v10, v8
	s_wait_alu 0xfffd
	v_add_co_ci_u32_e64 v11, null, v11, v9, vcc_lo
	;; [unrolled: 3-line block ×3, first 2 shown]
	s_and_saveexec_b32 s16, s3
	s_cbranch_execz .LBB25_33
; %bb.32:                               ;   in Loop: Header=BB25_4 Depth=1
	global_load_u16 v21, v[10:11], off
	s_wait_loadcnt 0x0
	v_mul_f16_e32 v21, s39, v21
	s_delay_alu instid0(VALU_DEP_1)
	v_fmac_f16_e32 v21, s38, v20
	global_store_b16 v[8:9], v21, off
.LBB25_33:                              ;   in Loop: Header=BB25_4 Depth=1
	s_wait_alu 0xfffe
	s_or_b32 exec_lo, exec_lo, s16
	s_delay_alu instid0(SALU_CYCLE_1)
	s_and_b32 exec_lo, exec_lo, s4
	s_cbranch_execz .LBB25_2
; %bb.34:                               ;   in Loop: Header=BB25_4 Depth=1
	global_load_u16 v10, v[10:11], off offset:32
	v_lshrrev_b32_e32 v11, 16, v20
	s_wait_loadcnt 0x0
	v_mul_f16_e32 v10, s39, v10
	s_delay_alu instid0(VALU_DEP_1)
	v_fmac_f16_e32 v10, s38, v11
	global_store_b16 v[8:9], v10, off offset:32
	s_branch .LBB25_2
.LBB25_35:
	s_endpgm
	.section	.rodata,"a",@progbits
	.p2align	6, 0x0
	.amdhsa_kernel _ZN12_GLOBAL__N_135rocblas_gemm_batched_general_kernelIDF16_Li16ELi16ELi32ELi32ELi8ELi32ELi8ELi8ELi32ELc67ELc78EKDF16_S1_DF16_EEvlllT_PT11_llS4_llS2_PT12_llPT13_lli
		.amdhsa_group_segment_fixed_size 1024
		.amdhsa_private_segment_fixed_size 0
		.amdhsa_kernarg_size 140
		.amdhsa_user_sgpr_count 2
		.amdhsa_user_sgpr_dispatch_ptr 0
		.amdhsa_user_sgpr_queue_ptr 0
		.amdhsa_user_sgpr_kernarg_segment_ptr 1
		.amdhsa_user_sgpr_dispatch_id 0
		.amdhsa_user_sgpr_private_segment_size 0
		.amdhsa_wavefront_size32 1
		.amdhsa_uses_dynamic_stack 0
		.amdhsa_enable_private_segment 0
		.amdhsa_system_sgpr_workgroup_id_x 1
		.amdhsa_system_sgpr_workgroup_id_y 1
		.amdhsa_system_sgpr_workgroup_id_z 1
		.amdhsa_system_sgpr_workgroup_info 0
		.amdhsa_system_vgpr_workitem_id 1
		.amdhsa_next_free_vgpr 38
		.amdhsa_next_free_sgpr 43
		.amdhsa_reserve_vcc 1
		.amdhsa_float_round_mode_32 0
		.amdhsa_float_round_mode_16_64 0
		.amdhsa_float_denorm_mode_32 3
		.amdhsa_float_denorm_mode_16_64 3
		.amdhsa_fp16_overflow 0
		.amdhsa_workgroup_processor_mode 1
		.amdhsa_memory_ordered 1
		.amdhsa_forward_progress 1
		.amdhsa_inst_pref_size 18
		.amdhsa_round_robin_scheduling 0
		.amdhsa_exception_fp_ieee_invalid_op 0
		.amdhsa_exception_fp_denorm_src 0
		.amdhsa_exception_fp_ieee_div_zero 0
		.amdhsa_exception_fp_ieee_overflow 0
		.amdhsa_exception_fp_ieee_underflow 0
		.amdhsa_exception_fp_ieee_inexact 0
		.amdhsa_exception_int_div_zero 0
	.end_amdhsa_kernel
	.section	.text._ZN12_GLOBAL__N_135rocblas_gemm_batched_general_kernelIDF16_Li16ELi16ELi32ELi32ELi8ELi32ELi8ELi8ELi32ELc67ELc78EKDF16_S1_DF16_EEvlllT_PT11_llS4_llS2_PT12_llPT13_lli,"axG",@progbits,_ZN12_GLOBAL__N_135rocblas_gemm_batched_general_kernelIDF16_Li16ELi16ELi32ELi32ELi8ELi32ELi8ELi8ELi32ELc67ELc78EKDF16_S1_DF16_EEvlllT_PT11_llS4_llS2_PT12_llPT13_lli,comdat
.Lfunc_end25:
	.size	_ZN12_GLOBAL__N_135rocblas_gemm_batched_general_kernelIDF16_Li16ELi16ELi32ELi32ELi8ELi32ELi8ELi8ELi32ELc67ELc78EKDF16_S1_DF16_EEvlllT_PT11_llS4_llS2_PT12_llPT13_lli, .Lfunc_end25-_ZN12_GLOBAL__N_135rocblas_gemm_batched_general_kernelIDF16_Li16ELi16ELi32ELi32ELi8ELi32ELi8ELi8ELi32ELc67ELc78EKDF16_S1_DF16_EEvlllT_PT11_llS4_llS2_PT12_llPT13_lli
                                        ; -- End function
	.set _ZN12_GLOBAL__N_135rocblas_gemm_batched_general_kernelIDF16_Li16ELi16ELi32ELi32ELi8ELi32ELi8ELi8ELi32ELc67ELc78EKDF16_S1_DF16_EEvlllT_PT11_llS4_llS2_PT12_llPT13_lli.num_vgpr, 38
	.set _ZN12_GLOBAL__N_135rocblas_gemm_batched_general_kernelIDF16_Li16ELi16ELi32ELi32ELi8ELi32ELi8ELi8ELi32ELc67ELc78EKDF16_S1_DF16_EEvlllT_PT11_llS4_llS2_PT12_llPT13_lli.num_agpr, 0
	.set _ZN12_GLOBAL__N_135rocblas_gemm_batched_general_kernelIDF16_Li16ELi16ELi32ELi32ELi8ELi32ELi8ELi8ELi32ELc67ELc78EKDF16_S1_DF16_EEvlllT_PT11_llS4_llS2_PT12_llPT13_lli.numbered_sgpr, 43
	.set _ZN12_GLOBAL__N_135rocblas_gemm_batched_general_kernelIDF16_Li16ELi16ELi32ELi32ELi8ELi32ELi8ELi8ELi32ELc67ELc78EKDF16_S1_DF16_EEvlllT_PT11_llS4_llS2_PT12_llPT13_lli.num_named_barrier, 0
	.set _ZN12_GLOBAL__N_135rocblas_gemm_batched_general_kernelIDF16_Li16ELi16ELi32ELi32ELi8ELi32ELi8ELi8ELi32ELc67ELc78EKDF16_S1_DF16_EEvlllT_PT11_llS4_llS2_PT12_llPT13_lli.private_seg_size, 0
	.set _ZN12_GLOBAL__N_135rocblas_gemm_batched_general_kernelIDF16_Li16ELi16ELi32ELi32ELi8ELi32ELi8ELi8ELi32ELc67ELc78EKDF16_S1_DF16_EEvlllT_PT11_llS4_llS2_PT12_llPT13_lli.uses_vcc, 1
	.set _ZN12_GLOBAL__N_135rocblas_gemm_batched_general_kernelIDF16_Li16ELi16ELi32ELi32ELi8ELi32ELi8ELi8ELi32ELc67ELc78EKDF16_S1_DF16_EEvlllT_PT11_llS4_llS2_PT12_llPT13_lli.uses_flat_scratch, 0
	.set _ZN12_GLOBAL__N_135rocblas_gemm_batched_general_kernelIDF16_Li16ELi16ELi32ELi32ELi8ELi32ELi8ELi8ELi32ELc67ELc78EKDF16_S1_DF16_EEvlllT_PT11_llS4_llS2_PT12_llPT13_lli.has_dyn_sized_stack, 0
	.set _ZN12_GLOBAL__N_135rocblas_gemm_batched_general_kernelIDF16_Li16ELi16ELi32ELi32ELi8ELi32ELi8ELi8ELi32ELc67ELc78EKDF16_S1_DF16_EEvlllT_PT11_llS4_llS2_PT12_llPT13_lli.has_recursion, 0
	.set _ZN12_GLOBAL__N_135rocblas_gemm_batched_general_kernelIDF16_Li16ELi16ELi32ELi32ELi8ELi32ELi8ELi8ELi32ELc67ELc78EKDF16_S1_DF16_EEvlllT_PT11_llS4_llS2_PT12_llPT13_lli.has_indirect_call, 0
	.section	.AMDGPU.csdata,"",@progbits
; Kernel info:
; codeLenInByte = 2276
; TotalNumSgprs: 45
; NumVgprs: 38
; ScratchSize: 0
; MemoryBound: 0
; FloatMode: 240
; IeeeMode: 1
; LDSByteSize: 1024 bytes/workgroup (compile time only)
; SGPRBlocks: 0
; VGPRBlocks: 4
; NumSGPRsForWavesPerEU: 45
; NumVGPRsForWavesPerEU: 38
; Occupancy: 16
; WaveLimiterHint : 0
; COMPUTE_PGM_RSRC2:SCRATCH_EN: 0
; COMPUTE_PGM_RSRC2:USER_SGPR: 2
; COMPUTE_PGM_RSRC2:TRAP_HANDLER: 0
; COMPUTE_PGM_RSRC2:TGID_X_EN: 1
; COMPUTE_PGM_RSRC2:TGID_Y_EN: 1
; COMPUTE_PGM_RSRC2:TGID_Z_EN: 1
; COMPUTE_PGM_RSRC2:TIDIG_COMP_CNT: 1
	.section	.text._ZN12_GLOBAL__N_135rocblas_gemm_batched_general_kernelIDF16_Li16ELi16ELi32ELi32ELi8ELi32ELi8ELi8ELi32ELc67ELc84EKDF16_S1_DF16_EEvlllT_PT11_llS4_llS2_PT12_llPT13_lli,"axG",@progbits,_ZN12_GLOBAL__N_135rocblas_gemm_batched_general_kernelIDF16_Li16ELi16ELi32ELi32ELi8ELi32ELi8ELi8ELi32ELc67ELc84EKDF16_S1_DF16_EEvlllT_PT11_llS4_llS2_PT12_llPT13_lli,comdat
	.globl	_ZN12_GLOBAL__N_135rocblas_gemm_batched_general_kernelIDF16_Li16ELi16ELi32ELi32ELi8ELi32ELi8ELi8ELi32ELc67ELc84EKDF16_S1_DF16_EEvlllT_PT11_llS4_llS2_PT12_llPT13_lli ; -- Begin function _ZN12_GLOBAL__N_135rocblas_gemm_batched_general_kernelIDF16_Li16ELi16ELi32ELi32ELi8ELi32ELi8ELi8ELi32ELc67ELc84EKDF16_S1_DF16_EEvlllT_PT11_llS4_llS2_PT12_llPT13_lli
	.p2align	8
	.type	_ZN12_GLOBAL__N_135rocblas_gemm_batched_general_kernelIDF16_Li16ELi16ELi32ELi32ELi8ELi32ELi8ELi8ELi32ELc67ELc84EKDF16_S1_DF16_EEvlllT_PT11_llS4_llS2_PT12_llPT13_lli,@function
_ZN12_GLOBAL__N_135rocblas_gemm_batched_general_kernelIDF16_Li16ELi16ELi32ELi32ELi8ELi32ELi8ELi8ELi32ELc67ELc84EKDF16_S1_DF16_EEvlllT_PT11_llS4_llS2_PT12_llPT13_lli: ; @_ZN12_GLOBAL__N_135rocblas_gemm_batched_general_kernelIDF16_Li16ELi16ELi32ELi32ELi8ELi32ELi8ELi8ELi32ELc67ELc84EKDF16_S1_DF16_EEvlllT_PT11_llS4_llS2_PT12_llPT13_lli
; %bb.0:
	s_load_b32 s33, s[0:1], 0x88
	s_lshr_b32 s34, ttmp7, 16
	s_wait_kmcnt 0x0
	s_cmp_ge_i32 s34, s33
	s_cbranch_scc1 .LBB26_35
; %bb.1:
	v_bfe_u32 v2, v0, 10, 10
	s_mov_b32 s2, ttmp9
	s_ashr_i32 s3, ttmp9, 31
	v_and_b32_e32 v3, 0x3ff, v0
	s_lshl_b64 s[40:41], s[2:3], 5
	s_delay_alu instid0(SALU_CYCLE_1)
	v_dual_mov_b32 v5, s41 :: v_dual_lshlrev_b32 v6, 4, v2
	s_clause 0x6
	s_load_b128 s[4:7], s[0:1], 0x0
	s_load_b96 s[36:38], s[0:1], 0x10
	s_load_b256 s[8:15], s[0:1], 0x58
	s_load_b256 s[16:23], s[0:1], 0x20
	s_load_b128 s[28:31], s[0:1], 0x40
	s_load_b32 s39, s[0:1], 0x50
	s_load_b128 s[24:27], s[0:1], 0x78
	v_add_nc_u32_e32 v1, v6, v3
	v_and_b32_e32 v12, 7, v0
	s_and_b32 s43, ttmp7, 0xffff
	v_add_nc_u32_e32 v17, 0x200, v6
	s_lshl_b32 s2, s43, 5
	v_and_b32_e32 v0, 31, v1
	v_lshrrev_b32_e32 v23, 3, v1
	v_lshlrev_b32_e32 v8, 1, v12
	v_lshrrev_b32_e32 v13, 5, v1
	s_mov_b32 s35, 0
	v_or_b32_e32 v4, s40, v0
	v_lshlrev_b32_e32 v7, 1, v0
	v_add_co_u32 v0, s0, v23, s2
	s_delay_alu instid0(VALU_DEP_1)
	v_add_co_ci_u32_e64 v1, null, 0, 0, s0
	v_lshl_or_b32 v8, v23, 4, v8
	s_wait_kmcnt 0x0
	v_cmp_gt_i64_e64 s0, s[4:5], v[4:5]
	v_add_co_u32 v5, s2, s2, v2
	v_lshl_or_b32 v14, v13, 6, v7
	v_add_nc_u32_e32 v15, 0x200, v8
	v_mad_co_u64_u32 v[9:10], null, s28, v12, 0
	s_delay_alu instid0(VALU_DEP_4)
	v_mad_co_u64_u32 v[7:8], null, v5, s10, 0
	v_cmp_gt_i64_e64 s1, s[6:7], v[0:1]
	v_mad_co_u64_u32 v[0:1], null, v5, s24, 0
	s_wait_alu 0xf1ff
	v_add_co_ci_u32_e64 v6, null, 0, 0, s2
	s_cmp_eq_f16 s39, 0
	v_mad_co_u64_u32 v[20:21], null, v5, s11, v[8:9]
	v_cmp_gt_i64_e64 s2, s[6:7], v[5:6]
	s_cselect_b32 s42, -1, 0
	v_mov_b32_e32 v8, v20
	v_add_co_u32 v2, s3, s40, v3
	v_lshlrev_b32_e32 v16, 1, v3
	s_wait_alu 0xf1ff
	v_add_co_ci_u32_e64 v3, null, s41, 0, s3
	s_delay_alu instid0(VALU_DEP_3) | instskip(SKIP_4) | instid1(VALU_DEP_4)
	v_mad_co_u64_u32 v[21:22], null, v5, s25, v[1:2]
	v_mov_b32_e32 v1, v10
	v_add_co_u32 v18, vcc_lo, v2, 16
	v_lshlrev_b64_e32 v[7:8], 1, v[7:8]
	v_add_co_ci_u32_e64 v19, null, 0, v3, vcc_lo
	v_mad_co_u64_u32 v[10:11], null, s29, v12, v[1:2]
	v_add_co_u32 v5, vcc_lo, v5, 16
	s_wait_alu 0xfffd
	v_add_co_ci_u32_e64 v6, null, 0, v6, vcc_lo
	v_cmp_gt_i64_e64 s3, s[4:5], v[2:3]
	v_cmp_gt_i64_e64 s4, s[4:5], v[18:19]
	v_add_co_u32 v18, vcc_lo, s8, v7
	s_delay_alu instid0(VALU_DEP_4)
	v_cmp_gt_i64_e64 s5, s[6:7], v[5:6]
	s_wait_alu 0xfffd
	v_add_co_ci_u32_e64 v19, null, s9, v8, vcc_lo
	v_lshlrev_b64_e32 v[5:6], 1, v[9:10]
	v_mul_lo_u32 v9, s19, v4
	v_mad_co_u64_u32 v[7:8], null, s18, v4, 0
	s_lshl_b32 s8, s43, 6
	v_lshlrev_b32_e32 v4, 1, v23
	s_mul_i32 s9, s18, s41
	s_wait_alu 0xfffe
	v_add_co_u32 v5, vcc_lo, v5, s8
	s_wait_alu 0xfffd
	v_add_co_ci_u32_e64 v6, null, 0, v6, vcc_lo
	v_add3_u32 v8, v8, s9, v9
	s_delay_alu instid0(VALU_DEP_3) | instskip(SKIP_1) | instid1(VALU_DEP_3)
	v_add_co_u32 v4, vcc_lo, v5, v4
	s_wait_alu 0xfffd
	v_add_co_ci_u32_e64 v5, null, 0, v6, vcc_lo
	s_delay_alu instid0(VALU_DEP_3) | instskip(SKIP_4) | instid1(VALU_DEP_3)
	v_lshlrev_b64_e32 v[6:7], 1, v[7:8]
	v_lshlrev_b32_e32 v8, 1, v13
	v_add_co_u32 v4, vcc_lo, s22, v4
	s_wait_alu 0xfffd
	v_add_co_ci_u32_e64 v5, null, s23, v5, vcc_lo
	v_add_co_u32 v6, vcc_lo, v6, v8
	s_wait_alu 0xfffd
	v_add_co_ci_u32_e64 v7, null, 0, v7, vcc_lo
	v_cmp_gt_i64_e64 s22, s[36:37], 0
	s_delay_alu instid0(VALU_DEP_3)
	v_add_co_u32 v6, vcc_lo, s16, v6
	v_mov_b32_e32 v1, v21
	s_wait_alu 0xfffd
	v_add_co_ci_u32_e64 v7, null, s17, v7, vcc_lo
	s_lshl_b64 s[6:7], s[24:25], 4
	s_lshl_b64 s[24:25], s[10:11], 4
	;; [unrolled: 1-line block ×5, first 2 shown]
	s_wait_alu 0xfffe
	s_lshl_b64 s[18:19], s[24:25], 1
	s_branch .LBB26_4
.LBB26_2:                               ;   in Loop: Header=BB26_4 Depth=1
	s_wait_alu 0xfffe
	s_or_b32 exec_lo, exec_lo, s23
.LBB26_3:                               ;   in Loop: Header=BB26_4 Depth=1
	s_add_co_i32 s34, s34, 0x10000
	s_wait_alu 0xfffe
	s_cmp_lt_i32 s34, s33
	s_cbranch_scc0 .LBB26_35
.LBB26_4:                               ; =>This Loop Header: Depth=1
                                        ;     Child Loop BB26_7 Depth 2
	s_and_not1_b32 vcc_lo, exec_lo, s22
	s_wait_alu 0xfffe
	s_cbranch_vccnz .LBB26_11
; %bb.5:                                ;   in Loop: Header=BB26_4 Depth=1
	v_mad_co_u64_u32 v[8:9], null, s8, s34, v[4:5]
	v_mad_co_u64_u32 v[10:11], null, s16, s34, v[6:7]
	s_mov_b64 s[20:21], 0
	v_mad_co_u64_u32 v[20:21], null, s9, s34, v[9:10]
	v_mad_co_u64_u32 v[22:23], null, s17, s34, v[11:12]
	v_mov_b32_e32 v21, 0
	s_delay_alu instid0(VALU_DEP_3) | instskip(NEXT) | instid1(VALU_DEP_3)
	v_dual_mov_b32 v9, v20 :: v_dual_mov_b32 v20, 0
	v_mov_b32_e32 v11, v22
	s_branch .LBB26_7
.LBB26_6:                               ;   in Loop: Header=BB26_7 Depth=2
	s_wait_alu 0xfffe
	s_or_b32 exec_lo, exec_lo, s23
	s_wait_loadcnt 0x0
	ds_store_b16 v15, v23
	s_wait_dscnt 0x0
	s_barrier_signal -1
	s_barrier_wait -1
	global_inv scope:SCOPE_SE
	ds_load_u16 v30, v16
	ds_load_u16 v31, v16 offset:64
	ds_load_u16 v32, v16 offset:128
	ds_load_u16 v33, v16 offset:192
	ds_load_u16 v34, v16 offset:256
	ds_load_u16 v35, v16 offset:320
	ds_load_u16 v36, v16 offset:384
	ds_load_u16 v37, v16 offset:448
	s_add_nc_u64 s[20:21], s[20:21], 8
	v_add_co_u32 v8, vcc_lo, v8, s10
	s_wait_alu 0xfffe
	v_cmp_lt_i64_e64 s23, s[20:21], s[36:37]
	s_wait_alu 0xfffd
	v_add_co_ci_u32_e64 v9, null, s11, v9, vcc_lo
	v_add_co_u32 v10, vcc_lo, v10, 16
	s_wait_alu 0xfffd
	v_add_co_ci_u32_e64 v11, null, 0, v11, vcc_lo
	s_and_b32 vcc_lo, exec_lo, s23
	s_wait_dscnt 0x7
	ds_load_u16_d16_hi v30, v16 offset:32
	ds_load_b128 v[22:25], v17
	ds_load_b128 v[26:29], v17 offset:256
	s_wait_dscnt 0x9
	ds_load_u16_d16_hi v31, v16 offset:96
	s_wait_dscnt 0x9
	ds_load_u16_d16_hi v32, v16 offset:160
	;; [unrolled: 2-line block ×7, first 2 shown]
	s_wait_loadcnt_dscnt 0x0
	s_barrier_signal -1
	s_barrier_wait -1
	global_inv scope:SCOPE_SE
	v_pk_fma_f16 v21, v30, v22, v21 op_sel_hi:[1,0,1]
	v_pk_fma_f16 v20, v30, v26, v20 op_sel_hi:[1,0,1]
	s_delay_alu instid0(VALU_DEP_2) | instskip(NEXT) | instid1(VALU_DEP_2)
	v_pk_fma_f16 v21, v31, v22, v21 op_sel:[0,1,0]
	v_pk_fma_f16 v20, v31, v26, v20 op_sel:[0,1,0]
	s_delay_alu instid0(VALU_DEP_2) | instskip(NEXT) | instid1(VALU_DEP_2)
	v_pk_fma_f16 v21, v32, v23, v21 op_sel_hi:[1,0,1]
	v_pk_fma_f16 v20, v32, v27, v20 op_sel_hi:[1,0,1]
	s_delay_alu instid0(VALU_DEP_2) | instskip(NEXT) | instid1(VALU_DEP_2)
	v_pk_fma_f16 v21, v33, v23, v21 op_sel:[0,1,0]
	v_pk_fma_f16 v20, v33, v27, v20 op_sel:[0,1,0]
	s_delay_alu instid0(VALU_DEP_2) | instskip(NEXT) | instid1(VALU_DEP_2)
	;; [unrolled: 6-line block ×3, first 2 shown]
	v_pk_fma_f16 v21, v36, v25, v21 op_sel_hi:[1,0,1]
	v_pk_fma_f16 v20, v36, v29, v20 op_sel_hi:[1,0,1]
	s_delay_alu instid0(VALU_DEP_2) | instskip(NEXT) | instid1(VALU_DEP_2)
	v_pk_fma_f16 v21, v37, v25, v21 op_sel:[0,1,0]
	v_pk_fma_f16 v20, v37, v29, v20 op_sel:[0,1,0]
	s_wait_alu 0xfffe
	s_cbranch_vccz .LBB26_12
.LBB26_7:                               ;   Parent Loop BB26_4 Depth=1
                                        ; =>  This Inner Loop Header: Depth=2
	s_wait_alu 0xfffe
	v_add_co_u32 v22, s23, v13, s20
	s_wait_alu 0xf1ff
	v_add_co_ci_u32_e64 v23, null, 0, s21, s23
	s_delay_alu instid0(VALU_DEP_1)
	v_cmp_gt_i64_e32 vcc_lo, s[36:37], v[22:23]
	v_mov_b32_e32 v22, 0
	s_and_b32 s24, s0, vcc_lo
	s_wait_alu 0xfffe
	s_and_saveexec_b32 s23, s24
	s_cbranch_execz .LBB26_9
; %bb.8:                                ;   in Loop: Header=BB26_7 Depth=2
	global_load_u16 v22, v[10:11], off
.LBB26_9:                               ;   in Loop: Header=BB26_7 Depth=2
	s_wait_alu 0xfffe
	s_or_b32 exec_lo, exec_lo, s23
	v_add_co_u32 v23, s23, v12, s20
	s_wait_alu 0xf1ff
	v_add_co_ci_u32_e64 v24, null, 0, s21, s23
	s_wait_loadcnt 0x0
	ds_store_b16 v14, v22
	v_cmp_gt_i64_e32 vcc_lo, s[36:37], v[23:24]
	v_mov_b32_e32 v23, 0
	s_and_b32 s24, vcc_lo, s1
	s_wait_alu 0xfffe
	s_and_saveexec_b32 s23, s24
	s_cbranch_execz .LBB26_6
; %bb.10:                               ;   in Loop: Header=BB26_7 Depth=2
	global_load_u16 v23, v[8:9], off
	s_branch .LBB26_6
.LBB26_11:                              ;   in Loop: Header=BB26_4 Depth=1
	v_dual_mov_b32 v21, 0 :: v_dual_mov_b32 v20, 0
.LBB26_12:                              ;   in Loop: Header=BB26_4 Depth=1
	s_mul_u64 s[20:21], s[26:27], s[34:35]
	s_and_not1_b32 vcc_lo, exec_lo, s42
	s_wait_alu 0xfffe
	s_lshl_b64 s[20:21], s[20:21], 1
	s_wait_alu 0xfffe
	s_add_nc_u64 s[20:21], s[14:15], s[20:21]
	s_cbranch_vccnz .LBB26_17
; %bb.13:                               ;   in Loop: Header=BB26_4 Depth=1
	s_and_saveexec_b32 s23, s2
	s_cbranch_execz .LBB26_24
; %bb.14:                               ;   in Loop: Header=BB26_4 Depth=1
	v_lshlrev_b64_e32 v[8:9], 1, v[0:1]
	s_wait_alu 0xfffe
	s_delay_alu instid0(VALU_DEP_1) | instskip(SKIP_1) | instid1(VALU_DEP_2)
	v_add_co_u32 v8, vcc_lo, s20, v8
	s_wait_alu 0xfffd
	v_add_co_ci_u32_e64 v9, null, s21, v9, vcc_lo
	s_and_saveexec_b32 s24, s3
	s_cbranch_execnz .LBB26_18
; %bb.15:                               ;   in Loop: Header=BB26_4 Depth=1
	s_wait_alu 0xfffe
	s_or_b32 exec_lo, exec_lo, s24
	s_and_saveexec_b32 s24, s4
	s_cbranch_execnz .LBB26_19
.LBB26_16:                              ;   in Loop: Header=BB26_4 Depth=1
	s_wait_alu 0xfffe
	s_or_b32 exec_lo, exec_lo, s24
	s_delay_alu instid0(SALU_CYCLE_1)
	s_and_b32 exec_lo, exec_lo, s5
	s_cbranch_execnz .LBB26_20
	s_branch .LBB26_24
.LBB26_17:                              ;   in Loop: Header=BB26_4 Depth=1
	s_branch .LBB26_25
.LBB26_18:                              ;   in Loop: Header=BB26_4 Depth=1
	v_lshlrev_b64_e32 v[10:11], 1, v[2:3]
	v_mul_f16_e32 v22, s38, v21
	s_delay_alu instid0(VALU_DEP_2) | instskip(SKIP_1) | instid1(VALU_DEP_3)
	v_add_co_u32 v10, vcc_lo, v8, v10
	s_wait_alu 0xfffd
	v_add_co_ci_u32_e64 v11, null, v9, v11, vcc_lo
	global_store_b16 v[10:11], v22, off
	s_wait_alu 0xfffe
	s_or_b32 exec_lo, exec_lo, s24
	s_and_saveexec_b32 s24, s4
	s_cbranch_execz .LBB26_16
.LBB26_19:                              ;   in Loop: Header=BB26_4 Depth=1
	v_lshlrev_b64_e32 v[10:11], 1, v[2:3]
	v_lshrrev_b32_e32 v22, 16, v21
	s_delay_alu instid0(VALU_DEP_1) | instskip(NEXT) | instid1(VALU_DEP_3)
	v_mul_f16_e32 v22, s38, v22
	v_add_co_u32 v10, vcc_lo, v8, v10
	s_wait_alu 0xfffd
	s_delay_alu instid0(VALU_DEP_4) | instskip(SKIP_3) | instid1(SALU_CYCLE_1)
	v_add_co_ci_u32_e64 v11, null, v9, v11, vcc_lo
	global_store_b16 v[10:11], v22, off offset:32
	s_wait_alu 0xfffe
	s_or_b32 exec_lo, exec_lo, s24
	s_and_b32 exec_lo, exec_lo, s5
	s_cbranch_execz .LBB26_24
.LBB26_20:                              ;   in Loop: Header=BB26_4 Depth=1
	s_lshl_b64 s[24:25], s[6:7], 1
	v_lshlrev_b64_e32 v[10:11], 1, v[2:3]
	s_wait_alu 0xfffe
	v_add_co_u32 v8, vcc_lo, v8, s24
	s_wait_alu 0xfffd
	v_add_co_ci_u32_e64 v9, null, s25, v9, vcc_lo
	s_delay_alu instid0(VALU_DEP_2) | instskip(SKIP_1) | instid1(VALU_DEP_2)
	v_add_co_u32 v8, vcc_lo, v8, v10
	s_wait_alu 0xfffd
	v_add_co_ci_u32_e64 v9, null, v9, v11, vcc_lo
	s_and_saveexec_b32 s24, s3
	s_cbranch_execz .LBB26_22
; %bb.21:                               ;   in Loop: Header=BB26_4 Depth=1
	v_mul_f16_e32 v10, s38, v20
	global_store_b16 v[8:9], v10, off
.LBB26_22:                              ;   in Loop: Header=BB26_4 Depth=1
	s_wait_alu 0xfffe
	s_or_b32 exec_lo, exec_lo, s24
	s_delay_alu instid0(SALU_CYCLE_1)
	s_and_b32 exec_lo, exec_lo, s4
	s_cbranch_execz .LBB26_24
; %bb.23:                               ;   in Loop: Header=BB26_4 Depth=1
	v_lshrrev_b32_e32 v10, 16, v20
	s_delay_alu instid0(VALU_DEP_1)
	v_mul_f16_e32 v10, s38, v10
	global_store_b16 v[8:9], v10, off offset:32
.LBB26_24:                              ;   in Loop: Header=BB26_4 Depth=1
	s_wait_alu 0xfffe
	s_or_b32 exec_lo, exec_lo, s23
	s_cbranch_execnz .LBB26_3
.LBB26_25:                              ;   in Loop: Header=BB26_4 Depth=1
	s_and_saveexec_b32 s23, s2
	s_cbranch_execz .LBB26_2
; %bb.26:                               ;   in Loop: Header=BB26_4 Depth=1
	s_mul_u64 s[24:25], s[12:13], s[34:35]
	v_lshlrev_b64_e32 v[22:23], 1, v[0:1]
	s_wait_alu 0xfffe
	s_lshl_b64 s[24:25], s[24:25], 1
	v_lshlrev_b64_e32 v[8:9], 1, v[2:3]
	s_wait_alu 0xfffe
	v_add_co_u32 v10, vcc_lo, v18, s24
	s_wait_alu 0xfffd
	v_add_co_ci_u32_e64 v11, null, s25, v19, vcc_lo
	v_add_co_u32 v22, vcc_lo, s20, v22
	s_wait_alu 0xfffd
	v_add_co_ci_u32_e64 v23, null, s21, v23, vcc_lo
	s_and_saveexec_b32 s20, s3
	s_cbranch_execnz .LBB26_29
; %bb.27:                               ;   in Loop: Header=BB26_4 Depth=1
	s_wait_alu 0xfffe
	s_or_b32 exec_lo, exec_lo, s20
	s_and_saveexec_b32 s20, s4
	s_cbranch_execnz .LBB26_30
.LBB26_28:                              ;   in Loop: Header=BB26_4 Depth=1
	s_wait_alu 0xfffe
	s_or_b32 exec_lo, exec_lo, s20
	s_delay_alu instid0(SALU_CYCLE_1)
	s_and_b32 exec_lo, exec_lo, s5
	s_cbranch_execz .LBB26_2
	s_branch .LBB26_31
.LBB26_29:                              ;   in Loop: Header=BB26_4 Depth=1
	v_add_co_u32 v24, vcc_lo, v10, v8
	s_wait_alu 0xfffd
	v_add_co_ci_u32_e64 v25, null, v11, v9, vcc_lo
	global_load_u16 v24, v[24:25], off
	s_wait_loadcnt 0x0
	v_mul_f16_e32 v26, s39, v24
	v_add_co_u32 v24, vcc_lo, v22, v8
	s_wait_alu 0xfffd
	v_add_co_ci_u32_e64 v25, null, v23, v9, vcc_lo
	s_delay_alu instid0(VALU_DEP_3)
	v_fmac_f16_e32 v26, s38, v21
	global_store_b16 v[24:25], v26, off
	s_wait_alu 0xfffe
	s_or_b32 exec_lo, exec_lo, s20
	s_and_saveexec_b32 s20, s4
	s_cbranch_execz .LBB26_28
.LBB26_30:                              ;   in Loop: Header=BB26_4 Depth=1
	v_add_co_u32 v24, vcc_lo, v10, v8
	s_wait_alu 0xfffd
	v_add_co_ci_u32_e64 v25, null, v11, v9, vcc_lo
	v_lshrrev_b32_e32 v21, 16, v21
	global_load_u16 v24, v[24:25], off offset:32
	s_wait_loadcnt 0x0
	v_mul_f16_e32 v26, s39, v24
	v_add_co_u32 v24, vcc_lo, v22, v8
	s_wait_alu 0xfffd
	v_add_co_ci_u32_e64 v25, null, v23, v9, vcc_lo
	s_delay_alu instid0(VALU_DEP_3) | instskip(SKIP_3) | instid1(SALU_CYCLE_1)
	v_fmac_f16_e32 v26, s38, v21
	global_store_b16 v[24:25], v26, off offset:32
	s_wait_alu 0xfffe
	s_or_b32 exec_lo, exec_lo, s20
	s_and_b32 exec_lo, exec_lo, s5
	s_cbranch_execz .LBB26_2
.LBB26_31:                              ;   in Loop: Header=BB26_4 Depth=1
	v_add_co_u32 v10, vcc_lo, v10, s18
	s_lshl_b64 s[20:21], s[6:7], 1
	s_wait_alu 0xfffd
	v_add_co_ci_u32_e64 v11, null, s19, v11, vcc_lo
	s_wait_alu 0xfffe
	v_add_co_u32 v21, vcc_lo, v22, s20
	s_wait_alu 0xfffd
	v_add_co_ci_u32_e64 v22, null, s21, v23, vcc_lo
	v_add_co_u32 v10, vcc_lo, v10, v8
	s_wait_alu 0xfffd
	v_add_co_ci_u32_e64 v11, null, v11, v9, vcc_lo
	v_add_co_u32 v8, vcc_lo, v21, v8
	s_wait_alu 0xfffd
	v_add_co_ci_u32_e64 v9, null, v22, v9, vcc_lo
	s_and_saveexec_b32 s20, s3
	s_cbranch_execz .LBB26_33
; %bb.32:                               ;   in Loop: Header=BB26_4 Depth=1
	global_load_u16 v21, v[10:11], off
	s_wait_loadcnt 0x0
	v_mul_f16_e32 v21, s39, v21
	s_delay_alu instid0(VALU_DEP_1)
	v_fmac_f16_e32 v21, s38, v20
	global_store_b16 v[8:9], v21, off
.LBB26_33:                              ;   in Loop: Header=BB26_4 Depth=1
	s_wait_alu 0xfffe
	s_or_b32 exec_lo, exec_lo, s20
	s_delay_alu instid0(SALU_CYCLE_1)
	s_and_b32 exec_lo, exec_lo, s4
	s_cbranch_execz .LBB26_2
; %bb.34:                               ;   in Loop: Header=BB26_4 Depth=1
	global_load_u16 v10, v[10:11], off offset:32
	v_lshrrev_b32_e32 v11, 16, v20
	s_wait_loadcnt 0x0
	v_mul_f16_e32 v10, s39, v10
	s_delay_alu instid0(VALU_DEP_1)
	v_fmac_f16_e32 v10, s38, v11
	global_store_b16 v[8:9], v10, off offset:32
	s_branch .LBB26_2
.LBB26_35:
	s_endpgm
	.section	.rodata,"a",@progbits
	.p2align	6, 0x0
	.amdhsa_kernel _ZN12_GLOBAL__N_135rocblas_gemm_batched_general_kernelIDF16_Li16ELi16ELi32ELi32ELi8ELi32ELi8ELi8ELi32ELc67ELc84EKDF16_S1_DF16_EEvlllT_PT11_llS4_llS2_PT12_llPT13_lli
		.amdhsa_group_segment_fixed_size 1024
		.amdhsa_private_segment_fixed_size 0
		.amdhsa_kernarg_size 140
		.amdhsa_user_sgpr_count 2
		.amdhsa_user_sgpr_dispatch_ptr 0
		.amdhsa_user_sgpr_queue_ptr 0
		.amdhsa_user_sgpr_kernarg_segment_ptr 1
		.amdhsa_user_sgpr_dispatch_id 0
		.amdhsa_user_sgpr_private_segment_size 0
		.amdhsa_wavefront_size32 1
		.amdhsa_uses_dynamic_stack 0
		.amdhsa_enable_private_segment 0
		.amdhsa_system_sgpr_workgroup_id_x 1
		.amdhsa_system_sgpr_workgroup_id_y 1
		.amdhsa_system_sgpr_workgroup_id_z 1
		.amdhsa_system_sgpr_workgroup_info 0
		.amdhsa_system_vgpr_workitem_id 1
		.amdhsa_next_free_vgpr 38
		.amdhsa_next_free_sgpr 44
		.amdhsa_reserve_vcc 1
		.amdhsa_float_round_mode_32 0
		.amdhsa_float_round_mode_16_64 0
		.amdhsa_float_denorm_mode_32 3
		.amdhsa_float_denorm_mode_16_64 3
		.amdhsa_fp16_overflow 0
		.amdhsa_workgroup_processor_mode 1
		.amdhsa_memory_ordered 1
		.amdhsa_forward_progress 1
		.amdhsa_inst_pref_size 18
		.amdhsa_round_robin_scheduling 0
		.amdhsa_exception_fp_ieee_invalid_op 0
		.amdhsa_exception_fp_denorm_src 0
		.amdhsa_exception_fp_ieee_div_zero 0
		.amdhsa_exception_fp_ieee_overflow 0
		.amdhsa_exception_fp_ieee_underflow 0
		.amdhsa_exception_fp_ieee_inexact 0
		.amdhsa_exception_int_div_zero 0
	.end_amdhsa_kernel
	.section	.text._ZN12_GLOBAL__N_135rocblas_gemm_batched_general_kernelIDF16_Li16ELi16ELi32ELi32ELi8ELi32ELi8ELi8ELi32ELc67ELc84EKDF16_S1_DF16_EEvlllT_PT11_llS4_llS2_PT12_llPT13_lli,"axG",@progbits,_ZN12_GLOBAL__N_135rocblas_gemm_batched_general_kernelIDF16_Li16ELi16ELi32ELi32ELi8ELi32ELi8ELi8ELi32ELc67ELc84EKDF16_S1_DF16_EEvlllT_PT11_llS4_llS2_PT12_llPT13_lli,comdat
.Lfunc_end26:
	.size	_ZN12_GLOBAL__N_135rocblas_gemm_batched_general_kernelIDF16_Li16ELi16ELi32ELi32ELi8ELi32ELi8ELi8ELi32ELc67ELc84EKDF16_S1_DF16_EEvlllT_PT11_llS4_llS2_PT12_llPT13_lli, .Lfunc_end26-_ZN12_GLOBAL__N_135rocblas_gemm_batched_general_kernelIDF16_Li16ELi16ELi32ELi32ELi8ELi32ELi8ELi8ELi32ELc67ELc84EKDF16_S1_DF16_EEvlllT_PT11_llS4_llS2_PT12_llPT13_lli
                                        ; -- End function
	.set _ZN12_GLOBAL__N_135rocblas_gemm_batched_general_kernelIDF16_Li16ELi16ELi32ELi32ELi8ELi32ELi8ELi8ELi32ELc67ELc84EKDF16_S1_DF16_EEvlllT_PT11_llS4_llS2_PT12_llPT13_lli.num_vgpr, 38
	.set _ZN12_GLOBAL__N_135rocblas_gemm_batched_general_kernelIDF16_Li16ELi16ELi32ELi32ELi8ELi32ELi8ELi8ELi32ELc67ELc84EKDF16_S1_DF16_EEvlllT_PT11_llS4_llS2_PT12_llPT13_lli.num_agpr, 0
	.set _ZN12_GLOBAL__N_135rocblas_gemm_batched_general_kernelIDF16_Li16ELi16ELi32ELi32ELi8ELi32ELi8ELi8ELi32ELc67ELc84EKDF16_S1_DF16_EEvlllT_PT11_llS4_llS2_PT12_llPT13_lli.numbered_sgpr, 44
	.set _ZN12_GLOBAL__N_135rocblas_gemm_batched_general_kernelIDF16_Li16ELi16ELi32ELi32ELi8ELi32ELi8ELi8ELi32ELc67ELc84EKDF16_S1_DF16_EEvlllT_PT11_llS4_llS2_PT12_llPT13_lli.num_named_barrier, 0
	.set _ZN12_GLOBAL__N_135rocblas_gemm_batched_general_kernelIDF16_Li16ELi16ELi32ELi32ELi8ELi32ELi8ELi8ELi32ELc67ELc84EKDF16_S1_DF16_EEvlllT_PT11_llS4_llS2_PT12_llPT13_lli.private_seg_size, 0
	.set _ZN12_GLOBAL__N_135rocblas_gemm_batched_general_kernelIDF16_Li16ELi16ELi32ELi32ELi8ELi32ELi8ELi8ELi32ELc67ELc84EKDF16_S1_DF16_EEvlllT_PT11_llS4_llS2_PT12_llPT13_lli.uses_vcc, 1
	.set _ZN12_GLOBAL__N_135rocblas_gemm_batched_general_kernelIDF16_Li16ELi16ELi32ELi32ELi8ELi32ELi8ELi8ELi32ELc67ELc84EKDF16_S1_DF16_EEvlllT_PT11_llS4_llS2_PT12_llPT13_lli.uses_flat_scratch, 0
	.set _ZN12_GLOBAL__N_135rocblas_gemm_batched_general_kernelIDF16_Li16ELi16ELi32ELi32ELi8ELi32ELi8ELi8ELi32ELc67ELc84EKDF16_S1_DF16_EEvlllT_PT11_llS4_llS2_PT12_llPT13_lli.has_dyn_sized_stack, 0
	.set _ZN12_GLOBAL__N_135rocblas_gemm_batched_general_kernelIDF16_Li16ELi16ELi32ELi32ELi8ELi32ELi8ELi8ELi32ELc67ELc84EKDF16_S1_DF16_EEvlllT_PT11_llS4_llS2_PT12_llPT13_lli.has_recursion, 0
	.set _ZN12_GLOBAL__N_135rocblas_gemm_batched_general_kernelIDF16_Li16ELi16ELi32ELi32ELi8ELi32ELi8ELi8ELi32ELc67ELc84EKDF16_S1_DF16_EEvlllT_PT11_llS4_llS2_PT12_llPT13_lli.has_indirect_call, 0
	.section	.AMDGPU.csdata,"",@progbits
; Kernel info:
; codeLenInByte = 2292
; TotalNumSgprs: 46
; NumVgprs: 38
; ScratchSize: 0
; MemoryBound: 0
; FloatMode: 240
; IeeeMode: 1
; LDSByteSize: 1024 bytes/workgroup (compile time only)
; SGPRBlocks: 0
; VGPRBlocks: 4
; NumSGPRsForWavesPerEU: 46
; NumVGPRsForWavesPerEU: 38
; Occupancy: 16
; WaveLimiterHint : 0
; COMPUTE_PGM_RSRC2:SCRATCH_EN: 0
; COMPUTE_PGM_RSRC2:USER_SGPR: 2
; COMPUTE_PGM_RSRC2:TRAP_HANDLER: 0
; COMPUTE_PGM_RSRC2:TGID_X_EN: 1
; COMPUTE_PGM_RSRC2:TGID_Y_EN: 1
; COMPUTE_PGM_RSRC2:TGID_Z_EN: 1
; COMPUTE_PGM_RSRC2:TIDIG_COMP_CNT: 1
	.section	.text._ZN12_GLOBAL__N_135rocblas_gemm_batched_general_kernelIDF16_Li16ELi16ELi32ELi32ELi8ELi32ELi8ELi8ELi32ELc78ELc67EKDF16_S1_DF16_EEvlllT_PT11_llS4_llS2_PT12_llPT13_lli,"axG",@progbits,_ZN12_GLOBAL__N_135rocblas_gemm_batched_general_kernelIDF16_Li16ELi16ELi32ELi32ELi8ELi32ELi8ELi8ELi32ELc78ELc67EKDF16_S1_DF16_EEvlllT_PT11_llS4_llS2_PT12_llPT13_lli,comdat
	.globl	_ZN12_GLOBAL__N_135rocblas_gemm_batched_general_kernelIDF16_Li16ELi16ELi32ELi32ELi8ELi32ELi8ELi8ELi32ELc78ELc67EKDF16_S1_DF16_EEvlllT_PT11_llS4_llS2_PT12_llPT13_lli ; -- Begin function _ZN12_GLOBAL__N_135rocblas_gemm_batched_general_kernelIDF16_Li16ELi16ELi32ELi32ELi8ELi32ELi8ELi8ELi32ELc78ELc67EKDF16_S1_DF16_EEvlllT_PT11_llS4_llS2_PT12_llPT13_lli
	.p2align	8
	.type	_ZN12_GLOBAL__N_135rocblas_gemm_batched_general_kernelIDF16_Li16ELi16ELi32ELi32ELi8ELi32ELi8ELi8ELi32ELc78ELc67EKDF16_S1_DF16_EEvlllT_PT11_llS4_llS2_PT12_llPT13_lli,@function
_ZN12_GLOBAL__N_135rocblas_gemm_batched_general_kernelIDF16_Li16ELi16ELi32ELi32ELi8ELi32ELi8ELi8ELi32ELc78ELc67EKDF16_S1_DF16_EEvlllT_PT11_llS4_llS2_PT12_llPT13_lli: ; @_ZN12_GLOBAL__N_135rocblas_gemm_batched_general_kernelIDF16_Li16ELi16ELi32ELi32ELi8ELi32ELi8ELi8ELi32ELc78ELc67EKDF16_S1_DF16_EEvlllT_PT11_llS4_llS2_PT12_llPT13_lli
; %bb.0:
	s_load_b32 s33, s[0:1], 0x88
	s_lshr_b32 s34, ttmp7, 16
	s_wait_kmcnt 0x0
	s_cmp_ge_i32 s34, s33
	s_cbranch_scc1 .LBB27_35
; %bb.1:
	s_clause 0x5
	s_load_b128 s[4:7], s[0:1], 0x0
	s_load_b96 s[36:38], s[0:1], 0x10
	s_load_b256 s[16:23], s[0:1], 0x20
	s_load_b128 s[28:31], s[0:1], 0x40
	s_load_b32 s39, s[0:1], 0x50
	s_load_b128 s[24:27], s[0:1], 0x78
	v_bfe_u32 v4, v0, 10, 10
	s_mov_b32 s40, ttmp9
	s_ashr_i32 s41, ttmp9, 31
	v_and_b32_e32 v12, 7, v0
	s_lshl_b64 s[44:45], s[40:41], 5
	s_delay_alu instid0(SALU_CYCLE_1)
	v_dual_mov_b32 v1, s45 :: v_dual_and_b32 v6, 0x3ff, v0
	v_lshlrev_b32_e32 v7, 4, v4
	s_load_b256 s[8:15], s[0:1], 0x58
	s_and_b32 s43, ttmp7, 0xffff
	s_mov_b32 s35, 0
	s_lshl_b32 s2, s43, 5
	v_add_nc_u32_e32 v17, 0x200, v7
	s_wait_kmcnt 0x0
	v_mad_co_u64_u32 v[8:9], null, s28, v12, 0
	v_add_nc_u32_e32 v2, v7, v6
	s_cmp_eq_f16 s39, 0
	s_delay_alu instid0(VALU_DEP_1) | instskip(SKIP_3) | instid1(VALU_DEP_3)
	v_and_b32_e32 v3, 31, v2
	v_lshrrev_b32_e32 v24, 3, v2
	v_lshrrev_b32_e32 v13, 5, v2
	s_cselect_b32 s42, -1, 0
	v_or_b32_e32 v0, s44, v3
	s_delay_alu instid0(VALU_DEP_3) | instskip(SKIP_4) | instid1(VALU_DEP_4)
	v_add_co_u32 v2, s0, v24, s2
	v_add_co_u32 v4, s2, s2, v4
	v_lshlrev_b32_e32 v25, 1, v3
	v_add_co_ci_u32_e64 v3, null, 0, 0, s0
	v_cmp_gt_i64_e64 s0, s[4:5], v[0:1]
	v_mad_co_u64_u32 v[0:1], null, v4, s24, 0
	s_delay_alu instid0(VALU_DEP_3) | instskip(SKIP_4) | instid1(VALU_DEP_3)
	v_cmp_gt_i64_e64 s1, s[6:7], v[2:3]
	v_add_co_u32 v2, s3, s44, v6
	s_wait_alu 0xf1ff
	v_add_co_ci_u32_e64 v3, null, s45, 0, s3
	v_lshl_or_b32 v14, v13, 6, v25
	v_mad_co_u64_u32 v[18:19], null, v4, s25, v[1:2]
	v_lshlrev_b32_e32 v16, 1, v6
	v_mad_co_u64_u32 v[6:7], null, v4, s10, 0
	v_add_co_u32 v10, vcc_lo, v2, 16
	s_delay_alu instid0(VALU_DEP_1) | instskip(SKIP_1) | instid1(VALU_DEP_4)
	v_add_co_ci_u32_e64 v11, null, 0, v3, vcc_lo
	v_add_co_u32 v19, vcc_lo, v4, 16
	v_mov_b32_e32 v1, v7
	v_lshlrev_b32_e32 v5, 1, v12
	v_mov_b32_e32 v7, v9
	v_cmp_gt_i64_e64 s3, s[4:5], v[2:3]
	v_cmp_gt_i64_e64 s4, s[4:5], v[10:11]
	s_lshl_b64 s[44:45], s[10:11], 4
	v_lshl_or_b32 v5, v24, 4, v5
	v_mad_co_u64_u32 v[21:22], null, s29, v12, v[7:8]
	v_mad_co_u64_u32 v[22:23], null, s18, v13, 0
	s_delay_alu instid0(VALU_DEP_3) | instskip(SKIP_1) | instid1(VALU_DEP_4)
	v_add_nc_u32_e32 v15, 0x200, v5
	v_add_co_ci_u32_e64 v5, null, 0, 0, s2
	v_mov_b32_e32 v9, v21
	s_delay_alu instid0(VALU_DEP_2) | instskip(SKIP_4) | instid1(VALU_DEP_3)
	v_cmp_gt_i64_e64 s2, s[6:7], v[4:5]
	s_wait_alu 0xfffd
	v_add_co_ci_u32_e64 v20, null, 0, v5, vcc_lo
	v_mad_co_u64_u32 v[4:5], null, v4, s11, v[1:2]
	v_mov_b32_e32 v1, v18
	v_cmp_gt_i64_e64 s5, s[6:7], v[19:20]
	s_lshl_b64 s[6:7], s[24:25], 4
	v_cmp_gt_i64_e64 s24, s[36:37], 0
	s_lshl_b64 s[10:11], s[28:29], 4
	v_dual_mov_b32 v7, v4 :: v_dual_mov_b32 v4, v23
	s_delay_alu instid0(VALU_DEP_1) | instskip(SKIP_1) | instid1(VALU_DEP_2)
	v_lshlrev_b64_e32 v[5:6], 1, v[6:7]
	v_lshlrev_b64_e32 v[7:8], 1, v[8:9]
	v_mad_co_u64_u32 v[9:10], null, s19, v13, v[4:5]
	v_add_co_u32 v18, vcc_lo, s8, v5
	s_lshl_b32 s8, s43, 6
	s_wait_alu 0xfffd
	v_add_co_ci_u32_e64 v19, null, s9, v6, vcc_lo
	v_lshlrev_b32_e32 v4, 1, v24
	s_wait_alu 0xfffe
	v_add_co_u32 v5, vcc_lo, v7, s8
	s_wait_alu 0xfffd
	v_add_co_ci_u32_e64 v6, null, 0, v8, vcc_lo
	v_mov_b32_e32 v23, v9
	s_delay_alu instid0(VALU_DEP_3) | instskip(SKIP_1) | instid1(VALU_DEP_3)
	v_add_co_u32 v4, vcc_lo, v5, v4
	s_wait_alu 0xfffd
	v_add_co_ci_u32_e64 v5, null, 0, v6, vcc_lo
	s_delay_alu instid0(VALU_DEP_3) | instskip(NEXT) | instid1(VALU_DEP_3)
	v_lshlrev_b64_e32 v[6:7], 1, v[22:23]
	v_add_co_u32 v4, vcc_lo, s22, v4
	s_lshl_b64 s[8:9], s[40:41], 6
	s_wait_alu 0xfffd
	v_add_co_ci_u32_e64 v5, null, s23, v5, vcc_lo
	s_wait_alu 0xfffe
	v_add_co_u32 v6, vcc_lo, v6, s8
	s_wait_alu 0xfffd
	v_add_co_ci_u32_e64 v7, null, s9, v7, vcc_lo
	s_lshl_b64 s[8:9], s[30:31], 1
	v_add_co_u32 v6, vcc_lo, v6, v25
	s_wait_alu 0xfffd
	v_add_co_ci_u32_e64 v7, null, 0, v7, vcc_lo
	s_lshl_b64 s[18:19], s[18:19], 4
	v_add_co_u32 v6, vcc_lo, s16, v6
	s_wait_alu 0xfffd
	v_add_co_ci_u32_e64 v7, null, s17, v7, vcc_lo
	s_lshl_b64 s[16:17], s[20:21], 1
	s_lshl_b64 s[20:21], s[44:45], 1
	s_branch .LBB27_4
.LBB27_2:                               ;   in Loop: Header=BB27_4 Depth=1
	s_wait_alu 0xfffe
	s_or_b32 exec_lo, exec_lo, s25
.LBB27_3:                               ;   in Loop: Header=BB27_4 Depth=1
	s_add_co_i32 s34, s34, 0x10000
	s_wait_alu 0xfffe
	s_cmp_lt_i32 s34, s33
	s_cbranch_scc0 .LBB27_35
.LBB27_4:                               ; =>This Loop Header: Depth=1
                                        ;     Child Loop BB27_7 Depth 2
	s_and_not1_b32 vcc_lo, exec_lo, s24
	s_wait_alu 0xfffe
	s_cbranch_vccnz .LBB27_11
; %bb.5:                                ;   in Loop: Header=BB27_4 Depth=1
	v_mad_co_u64_u32 v[8:9], null, s8, s34, v[4:5]
	v_mad_co_u64_u32 v[10:11], null, s16, s34, v[6:7]
	s_mov_b64 s[22:23], 0
	v_mad_co_u64_u32 v[20:21], null, s9, s34, v[9:10]
	v_mad_co_u64_u32 v[22:23], null, s17, s34, v[11:12]
	v_mov_b32_e32 v21, 0
	s_delay_alu instid0(VALU_DEP_3) | instskip(NEXT) | instid1(VALU_DEP_3)
	v_dual_mov_b32 v9, v20 :: v_dual_mov_b32 v20, 0
	v_mov_b32_e32 v11, v22
	s_branch .LBB27_7
.LBB27_6:                               ;   in Loop: Header=BB27_7 Depth=2
	s_wait_alu 0xfffe
	s_or_b32 exec_lo, exec_lo, s25
	s_wait_loadcnt 0x0
	ds_store_b16 v15, v23
	s_wait_dscnt 0x0
	s_barrier_signal -1
	s_barrier_wait -1
	global_inv scope:SCOPE_SE
	ds_load_u16 v30, v16
	ds_load_u16 v31, v16 offset:64
	ds_load_u16 v32, v16 offset:128
	;; [unrolled: 1-line block ×7, first 2 shown]
	s_add_nc_u64 s[22:23], s[22:23], 8
	v_add_co_u32 v8, vcc_lo, v8, s10
	s_wait_alu 0xfffe
	v_cmp_lt_i64_e64 s25, s[22:23], s[36:37]
	s_wait_alu 0xfffd
	v_add_co_ci_u32_e64 v9, null, s11, v9, vcc_lo
	v_add_co_u32 v10, vcc_lo, v10, s18
	s_wait_alu 0xfffd
	v_add_co_ci_u32_e64 v11, null, s19, v11, vcc_lo
	s_and_b32 vcc_lo, exec_lo, s25
	s_wait_dscnt 0x7
	ds_load_u16_d16_hi v30, v16 offset:32
	ds_load_b128 v[22:25], v17
	ds_load_b128 v[26:29], v17 offset:256
	s_wait_dscnt 0x9
	ds_load_u16_d16_hi v31, v16 offset:96
	s_wait_dscnt 0x9
	ds_load_u16_d16_hi v32, v16 offset:160
	;; [unrolled: 2-line block ×7, first 2 shown]
	s_wait_loadcnt_dscnt 0x0
	s_barrier_signal -1
	s_barrier_wait -1
	global_inv scope:SCOPE_SE
	v_pk_fma_f16 v21, v30, v22, v21 op_sel_hi:[1,0,1]
	v_pk_fma_f16 v20, v30, v26, v20 op_sel_hi:[1,0,1]
	s_delay_alu instid0(VALU_DEP_2) | instskip(NEXT) | instid1(VALU_DEP_2)
	v_pk_fma_f16 v21, v31, v22, v21 op_sel:[0,1,0]
	v_pk_fma_f16 v20, v31, v26, v20 op_sel:[0,1,0]
	s_delay_alu instid0(VALU_DEP_2) | instskip(NEXT) | instid1(VALU_DEP_2)
	v_pk_fma_f16 v21, v32, v23, v21 op_sel_hi:[1,0,1]
	v_pk_fma_f16 v20, v32, v27, v20 op_sel_hi:[1,0,1]
	s_delay_alu instid0(VALU_DEP_2) | instskip(NEXT) | instid1(VALU_DEP_2)
	v_pk_fma_f16 v21, v33, v23, v21 op_sel:[0,1,0]
	v_pk_fma_f16 v20, v33, v27, v20 op_sel:[0,1,0]
	s_delay_alu instid0(VALU_DEP_2) | instskip(NEXT) | instid1(VALU_DEP_2)
	;; [unrolled: 6-line block ×3, first 2 shown]
	v_pk_fma_f16 v21, v36, v25, v21 op_sel_hi:[1,0,1]
	v_pk_fma_f16 v20, v36, v29, v20 op_sel_hi:[1,0,1]
	s_delay_alu instid0(VALU_DEP_2) | instskip(NEXT) | instid1(VALU_DEP_2)
	v_pk_fma_f16 v21, v37, v25, v21 op_sel:[0,1,0]
	v_pk_fma_f16 v20, v37, v29, v20 op_sel:[0,1,0]
	s_wait_alu 0xfffe
	s_cbranch_vccz .LBB27_12
.LBB27_7:                               ;   Parent Loop BB27_4 Depth=1
                                        ; =>  This Inner Loop Header: Depth=2
	s_wait_alu 0xfffe
	v_add_co_u32 v22, s25, v13, s22
	s_wait_alu 0xf1ff
	v_add_co_ci_u32_e64 v23, null, 0, s23, s25
	s_delay_alu instid0(VALU_DEP_1)
	v_cmp_gt_i64_e32 vcc_lo, s[36:37], v[22:23]
	v_mov_b32_e32 v22, 0
	s_and_b32 s28, s0, vcc_lo
	s_wait_alu 0xfffe
	s_and_saveexec_b32 s25, s28
	s_cbranch_execz .LBB27_9
; %bb.8:                                ;   in Loop: Header=BB27_7 Depth=2
	global_load_u16 v22, v[10:11], off
.LBB27_9:                               ;   in Loop: Header=BB27_7 Depth=2
	s_wait_alu 0xfffe
	s_or_b32 exec_lo, exec_lo, s25
	v_add_co_u32 v23, s25, v12, s22
	s_wait_alu 0xf1ff
	v_add_co_ci_u32_e64 v24, null, 0, s23, s25
	s_wait_loadcnt 0x0
	ds_store_b16 v14, v22
	v_cmp_gt_i64_e32 vcc_lo, s[36:37], v[23:24]
	v_mov_b32_e32 v23, 0
	s_and_b32 s28, vcc_lo, s1
	s_wait_alu 0xfffe
	s_and_saveexec_b32 s25, s28
	s_cbranch_execz .LBB27_6
; %bb.10:                               ;   in Loop: Header=BB27_7 Depth=2
	global_load_u16 v23, v[8:9], off
	s_branch .LBB27_6
.LBB27_11:                              ;   in Loop: Header=BB27_4 Depth=1
	v_dual_mov_b32 v21, 0 :: v_dual_mov_b32 v20, 0
.LBB27_12:                              ;   in Loop: Header=BB27_4 Depth=1
	s_mul_u64 s[22:23], s[26:27], s[34:35]
	s_and_not1_b32 vcc_lo, exec_lo, s42
	s_wait_alu 0xfffe
	s_lshl_b64 s[22:23], s[22:23], 1
	s_wait_alu 0xfffe
	s_add_nc_u64 s[22:23], s[14:15], s[22:23]
	s_cbranch_vccnz .LBB27_17
; %bb.13:                               ;   in Loop: Header=BB27_4 Depth=1
	s_and_saveexec_b32 s25, s2
	s_cbranch_execz .LBB27_24
; %bb.14:                               ;   in Loop: Header=BB27_4 Depth=1
	v_lshlrev_b64_e32 v[8:9], 1, v[0:1]
	s_wait_alu 0xfffe
	s_delay_alu instid0(VALU_DEP_1) | instskip(SKIP_1) | instid1(VALU_DEP_2)
	v_add_co_u32 v8, vcc_lo, s22, v8
	s_wait_alu 0xfffd
	v_add_co_ci_u32_e64 v9, null, s23, v9, vcc_lo
	s_and_saveexec_b32 s28, s3
	s_cbranch_execnz .LBB27_18
; %bb.15:                               ;   in Loop: Header=BB27_4 Depth=1
	s_wait_alu 0xfffe
	s_or_b32 exec_lo, exec_lo, s28
	s_and_saveexec_b32 s28, s4
	s_cbranch_execnz .LBB27_19
.LBB27_16:                              ;   in Loop: Header=BB27_4 Depth=1
	s_wait_alu 0xfffe
	s_or_b32 exec_lo, exec_lo, s28
	s_delay_alu instid0(SALU_CYCLE_1)
	s_and_b32 exec_lo, exec_lo, s5
	s_cbranch_execnz .LBB27_20
	s_branch .LBB27_24
.LBB27_17:                              ;   in Loop: Header=BB27_4 Depth=1
	s_branch .LBB27_25
.LBB27_18:                              ;   in Loop: Header=BB27_4 Depth=1
	v_lshlrev_b64_e32 v[10:11], 1, v[2:3]
	v_mul_f16_e32 v22, s38, v21
	s_delay_alu instid0(VALU_DEP_2) | instskip(SKIP_1) | instid1(VALU_DEP_3)
	v_add_co_u32 v10, vcc_lo, v8, v10
	s_wait_alu 0xfffd
	v_add_co_ci_u32_e64 v11, null, v9, v11, vcc_lo
	global_store_b16 v[10:11], v22, off
	s_wait_alu 0xfffe
	s_or_b32 exec_lo, exec_lo, s28
	s_and_saveexec_b32 s28, s4
	s_cbranch_execz .LBB27_16
.LBB27_19:                              ;   in Loop: Header=BB27_4 Depth=1
	v_lshlrev_b64_e32 v[10:11], 1, v[2:3]
	v_lshrrev_b32_e32 v22, 16, v21
	s_delay_alu instid0(VALU_DEP_1) | instskip(NEXT) | instid1(VALU_DEP_3)
	v_mul_f16_e32 v22, s38, v22
	v_add_co_u32 v10, vcc_lo, v8, v10
	s_wait_alu 0xfffd
	s_delay_alu instid0(VALU_DEP_4) | instskip(SKIP_3) | instid1(SALU_CYCLE_1)
	v_add_co_ci_u32_e64 v11, null, v9, v11, vcc_lo
	global_store_b16 v[10:11], v22, off offset:32
	s_wait_alu 0xfffe
	s_or_b32 exec_lo, exec_lo, s28
	s_and_b32 exec_lo, exec_lo, s5
	s_cbranch_execz .LBB27_24
.LBB27_20:                              ;   in Loop: Header=BB27_4 Depth=1
	s_lshl_b64 s[28:29], s[6:7], 1
	v_lshlrev_b64_e32 v[10:11], 1, v[2:3]
	s_wait_alu 0xfffe
	v_add_co_u32 v8, vcc_lo, v8, s28
	s_wait_alu 0xfffd
	v_add_co_ci_u32_e64 v9, null, s29, v9, vcc_lo
	s_delay_alu instid0(VALU_DEP_2) | instskip(SKIP_1) | instid1(VALU_DEP_2)
	v_add_co_u32 v8, vcc_lo, v8, v10
	s_wait_alu 0xfffd
	v_add_co_ci_u32_e64 v9, null, v9, v11, vcc_lo
	s_and_saveexec_b32 s28, s3
	s_cbranch_execz .LBB27_22
; %bb.21:                               ;   in Loop: Header=BB27_4 Depth=1
	v_mul_f16_e32 v10, s38, v20
	global_store_b16 v[8:9], v10, off
.LBB27_22:                              ;   in Loop: Header=BB27_4 Depth=1
	s_wait_alu 0xfffe
	s_or_b32 exec_lo, exec_lo, s28
	s_delay_alu instid0(SALU_CYCLE_1)
	s_and_b32 exec_lo, exec_lo, s4
	s_cbranch_execz .LBB27_24
; %bb.23:                               ;   in Loop: Header=BB27_4 Depth=1
	v_lshrrev_b32_e32 v10, 16, v20
	s_delay_alu instid0(VALU_DEP_1)
	v_mul_f16_e32 v10, s38, v10
	global_store_b16 v[8:9], v10, off offset:32
.LBB27_24:                              ;   in Loop: Header=BB27_4 Depth=1
	s_wait_alu 0xfffe
	s_or_b32 exec_lo, exec_lo, s25
	s_cbranch_execnz .LBB27_3
.LBB27_25:                              ;   in Loop: Header=BB27_4 Depth=1
	s_and_saveexec_b32 s25, s2
	s_cbranch_execz .LBB27_2
; %bb.26:                               ;   in Loop: Header=BB27_4 Depth=1
	s_mul_u64 s[28:29], s[12:13], s[34:35]
	v_lshlrev_b64_e32 v[22:23], 1, v[0:1]
	s_wait_alu 0xfffe
	s_lshl_b64 s[28:29], s[28:29], 1
	v_lshlrev_b64_e32 v[8:9], 1, v[2:3]
	s_wait_alu 0xfffe
	v_add_co_u32 v10, vcc_lo, v18, s28
	s_wait_alu 0xfffd
	v_add_co_ci_u32_e64 v11, null, s29, v19, vcc_lo
	v_add_co_u32 v22, vcc_lo, s22, v22
	s_wait_alu 0xfffd
	v_add_co_ci_u32_e64 v23, null, s23, v23, vcc_lo
	s_and_saveexec_b32 s22, s3
	s_cbranch_execnz .LBB27_29
; %bb.27:                               ;   in Loop: Header=BB27_4 Depth=1
	s_wait_alu 0xfffe
	s_or_b32 exec_lo, exec_lo, s22
	s_and_saveexec_b32 s22, s4
	s_cbranch_execnz .LBB27_30
.LBB27_28:                              ;   in Loop: Header=BB27_4 Depth=1
	s_wait_alu 0xfffe
	s_or_b32 exec_lo, exec_lo, s22
	s_delay_alu instid0(SALU_CYCLE_1)
	s_and_b32 exec_lo, exec_lo, s5
	s_cbranch_execz .LBB27_2
	s_branch .LBB27_31
.LBB27_29:                              ;   in Loop: Header=BB27_4 Depth=1
	v_add_co_u32 v24, vcc_lo, v10, v8
	s_wait_alu 0xfffd
	v_add_co_ci_u32_e64 v25, null, v11, v9, vcc_lo
	global_load_u16 v24, v[24:25], off
	s_wait_loadcnt 0x0
	v_mul_f16_e32 v26, s39, v24
	v_add_co_u32 v24, vcc_lo, v22, v8
	s_wait_alu 0xfffd
	v_add_co_ci_u32_e64 v25, null, v23, v9, vcc_lo
	s_delay_alu instid0(VALU_DEP_3)
	v_fmac_f16_e32 v26, s38, v21
	global_store_b16 v[24:25], v26, off
	s_wait_alu 0xfffe
	s_or_b32 exec_lo, exec_lo, s22
	s_and_saveexec_b32 s22, s4
	s_cbranch_execz .LBB27_28
.LBB27_30:                              ;   in Loop: Header=BB27_4 Depth=1
	v_add_co_u32 v24, vcc_lo, v10, v8
	s_wait_alu 0xfffd
	v_add_co_ci_u32_e64 v25, null, v11, v9, vcc_lo
	v_lshrrev_b32_e32 v21, 16, v21
	global_load_u16 v24, v[24:25], off offset:32
	s_wait_loadcnt 0x0
	v_mul_f16_e32 v26, s39, v24
	v_add_co_u32 v24, vcc_lo, v22, v8
	s_wait_alu 0xfffd
	v_add_co_ci_u32_e64 v25, null, v23, v9, vcc_lo
	s_delay_alu instid0(VALU_DEP_3) | instskip(SKIP_3) | instid1(SALU_CYCLE_1)
	v_fmac_f16_e32 v26, s38, v21
	global_store_b16 v[24:25], v26, off offset:32
	s_wait_alu 0xfffe
	s_or_b32 exec_lo, exec_lo, s22
	s_and_b32 exec_lo, exec_lo, s5
	s_cbranch_execz .LBB27_2
.LBB27_31:                              ;   in Loop: Header=BB27_4 Depth=1
	v_add_co_u32 v10, vcc_lo, v10, s20
	s_lshl_b64 s[22:23], s[6:7], 1
	s_wait_alu 0xfffd
	v_add_co_ci_u32_e64 v11, null, s21, v11, vcc_lo
	s_wait_alu 0xfffe
	v_add_co_u32 v21, vcc_lo, v22, s22
	s_wait_alu 0xfffd
	v_add_co_ci_u32_e64 v22, null, s23, v23, vcc_lo
	v_add_co_u32 v10, vcc_lo, v10, v8
	s_wait_alu 0xfffd
	v_add_co_ci_u32_e64 v11, null, v11, v9, vcc_lo
	;; [unrolled: 3-line block ×3, first 2 shown]
	s_and_saveexec_b32 s22, s3
	s_cbranch_execz .LBB27_33
; %bb.32:                               ;   in Loop: Header=BB27_4 Depth=1
	global_load_u16 v21, v[10:11], off
	s_wait_loadcnt 0x0
	v_mul_f16_e32 v21, s39, v21
	s_delay_alu instid0(VALU_DEP_1)
	v_fmac_f16_e32 v21, s38, v20
	global_store_b16 v[8:9], v21, off
.LBB27_33:                              ;   in Loop: Header=BB27_4 Depth=1
	s_wait_alu 0xfffe
	s_or_b32 exec_lo, exec_lo, s22
	s_delay_alu instid0(SALU_CYCLE_1)
	s_and_b32 exec_lo, exec_lo, s4
	s_cbranch_execz .LBB27_2
; %bb.34:                               ;   in Loop: Header=BB27_4 Depth=1
	global_load_u16 v10, v[10:11], off offset:32
	v_lshrrev_b32_e32 v11, 16, v20
	s_wait_loadcnt 0x0
	v_mul_f16_e32 v10, s39, v10
	s_delay_alu instid0(VALU_DEP_1)
	v_fmac_f16_e32 v10, s38, v11
	global_store_b16 v[8:9], v10, off offset:32
	s_branch .LBB27_2
.LBB27_35:
	s_endpgm
	.section	.rodata,"a",@progbits
	.p2align	6, 0x0
	.amdhsa_kernel _ZN12_GLOBAL__N_135rocblas_gemm_batched_general_kernelIDF16_Li16ELi16ELi32ELi32ELi8ELi32ELi8ELi8ELi32ELc78ELc67EKDF16_S1_DF16_EEvlllT_PT11_llS4_llS2_PT12_llPT13_lli
		.amdhsa_group_segment_fixed_size 1024
		.amdhsa_private_segment_fixed_size 0
		.amdhsa_kernarg_size 140
		.amdhsa_user_sgpr_count 2
		.amdhsa_user_sgpr_dispatch_ptr 0
		.amdhsa_user_sgpr_queue_ptr 0
		.amdhsa_user_sgpr_kernarg_segment_ptr 1
		.amdhsa_user_sgpr_dispatch_id 0
		.amdhsa_user_sgpr_private_segment_size 0
		.amdhsa_wavefront_size32 1
		.amdhsa_uses_dynamic_stack 0
		.amdhsa_enable_private_segment 0
		.amdhsa_system_sgpr_workgroup_id_x 1
		.amdhsa_system_sgpr_workgroup_id_y 1
		.amdhsa_system_sgpr_workgroup_id_z 1
		.amdhsa_system_sgpr_workgroup_info 0
		.amdhsa_system_vgpr_workitem_id 1
		.amdhsa_next_free_vgpr 38
		.amdhsa_next_free_sgpr 46
		.amdhsa_reserve_vcc 1
		.amdhsa_float_round_mode_32 0
		.amdhsa_float_round_mode_16_64 0
		.amdhsa_float_denorm_mode_32 3
		.amdhsa_float_denorm_mode_16_64 3
		.amdhsa_fp16_overflow 0
		.amdhsa_workgroup_processor_mode 1
		.amdhsa_memory_ordered 1
		.amdhsa_forward_progress 1
		.amdhsa_inst_pref_size 19
		.amdhsa_round_robin_scheduling 0
		.amdhsa_exception_fp_ieee_invalid_op 0
		.amdhsa_exception_fp_denorm_src 0
		.amdhsa_exception_fp_ieee_div_zero 0
		.amdhsa_exception_fp_ieee_overflow 0
		.amdhsa_exception_fp_ieee_underflow 0
		.amdhsa_exception_fp_ieee_inexact 0
		.amdhsa_exception_int_div_zero 0
	.end_amdhsa_kernel
	.section	.text._ZN12_GLOBAL__N_135rocblas_gemm_batched_general_kernelIDF16_Li16ELi16ELi32ELi32ELi8ELi32ELi8ELi8ELi32ELc78ELc67EKDF16_S1_DF16_EEvlllT_PT11_llS4_llS2_PT12_llPT13_lli,"axG",@progbits,_ZN12_GLOBAL__N_135rocblas_gemm_batched_general_kernelIDF16_Li16ELi16ELi32ELi32ELi8ELi32ELi8ELi8ELi32ELc78ELc67EKDF16_S1_DF16_EEvlllT_PT11_llS4_llS2_PT12_llPT13_lli,comdat
.Lfunc_end27:
	.size	_ZN12_GLOBAL__N_135rocblas_gemm_batched_general_kernelIDF16_Li16ELi16ELi32ELi32ELi8ELi32ELi8ELi8ELi32ELc78ELc67EKDF16_S1_DF16_EEvlllT_PT11_llS4_llS2_PT12_llPT13_lli, .Lfunc_end27-_ZN12_GLOBAL__N_135rocblas_gemm_batched_general_kernelIDF16_Li16ELi16ELi32ELi32ELi8ELi32ELi8ELi8ELi32ELc78ELc67EKDF16_S1_DF16_EEvlllT_PT11_llS4_llS2_PT12_llPT13_lli
                                        ; -- End function
	.set _ZN12_GLOBAL__N_135rocblas_gemm_batched_general_kernelIDF16_Li16ELi16ELi32ELi32ELi8ELi32ELi8ELi8ELi32ELc78ELc67EKDF16_S1_DF16_EEvlllT_PT11_llS4_llS2_PT12_llPT13_lli.num_vgpr, 38
	.set _ZN12_GLOBAL__N_135rocblas_gemm_batched_general_kernelIDF16_Li16ELi16ELi32ELi32ELi8ELi32ELi8ELi8ELi32ELc78ELc67EKDF16_S1_DF16_EEvlllT_PT11_llS4_llS2_PT12_llPT13_lli.num_agpr, 0
	.set _ZN12_GLOBAL__N_135rocblas_gemm_batched_general_kernelIDF16_Li16ELi16ELi32ELi32ELi8ELi32ELi8ELi8ELi32ELc78ELc67EKDF16_S1_DF16_EEvlllT_PT11_llS4_llS2_PT12_llPT13_lli.numbered_sgpr, 46
	.set _ZN12_GLOBAL__N_135rocblas_gemm_batched_general_kernelIDF16_Li16ELi16ELi32ELi32ELi8ELi32ELi8ELi8ELi32ELc78ELc67EKDF16_S1_DF16_EEvlllT_PT11_llS4_llS2_PT12_llPT13_lli.num_named_barrier, 0
	.set _ZN12_GLOBAL__N_135rocblas_gemm_batched_general_kernelIDF16_Li16ELi16ELi32ELi32ELi8ELi32ELi8ELi8ELi32ELc78ELc67EKDF16_S1_DF16_EEvlllT_PT11_llS4_llS2_PT12_llPT13_lli.private_seg_size, 0
	.set _ZN12_GLOBAL__N_135rocblas_gemm_batched_general_kernelIDF16_Li16ELi16ELi32ELi32ELi8ELi32ELi8ELi8ELi32ELc78ELc67EKDF16_S1_DF16_EEvlllT_PT11_llS4_llS2_PT12_llPT13_lli.uses_vcc, 1
	.set _ZN12_GLOBAL__N_135rocblas_gemm_batched_general_kernelIDF16_Li16ELi16ELi32ELi32ELi8ELi32ELi8ELi8ELi32ELc78ELc67EKDF16_S1_DF16_EEvlllT_PT11_llS4_llS2_PT12_llPT13_lli.uses_flat_scratch, 0
	.set _ZN12_GLOBAL__N_135rocblas_gemm_batched_general_kernelIDF16_Li16ELi16ELi32ELi32ELi8ELi32ELi8ELi8ELi32ELc78ELc67EKDF16_S1_DF16_EEvlllT_PT11_llS4_llS2_PT12_llPT13_lli.has_dyn_sized_stack, 0
	.set _ZN12_GLOBAL__N_135rocblas_gemm_batched_general_kernelIDF16_Li16ELi16ELi32ELi32ELi8ELi32ELi8ELi8ELi32ELc78ELc67EKDF16_S1_DF16_EEvlllT_PT11_llS4_llS2_PT12_llPT13_lli.has_recursion, 0
	.set _ZN12_GLOBAL__N_135rocblas_gemm_batched_general_kernelIDF16_Li16ELi16ELi32ELi32ELi8ELi32ELi8ELi8ELi32ELc78ELc67EKDF16_S1_DF16_EEvlllT_PT11_llS4_llS2_PT12_llPT13_lli.has_indirect_call, 0
	.section	.AMDGPU.csdata,"",@progbits
; Kernel info:
; codeLenInByte = 2324
; TotalNumSgprs: 48
; NumVgprs: 38
; ScratchSize: 0
; MemoryBound: 0
; FloatMode: 240
; IeeeMode: 1
; LDSByteSize: 1024 bytes/workgroup (compile time only)
; SGPRBlocks: 0
; VGPRBlocks: 4
; NumSGPRsForWavesPerEU: 48
; NumVGPRsForWavesPerEU: 38
; Occupancy: 16
; WaveLimiterHint : 0
; COMPUTE_PGM_RSRC2:SCRATCH_EN: 0
; COMPUTE_PGM_RSRC2:USER_SGPR: 2
; COMPUTE_PGM_RSRC2:TRAP_HANDLER: 0
; COMPUTE_PGM_RSRC2:TGID_X_EN: 1
; COMPUTE_PGM_RSRC2:TGID_Y_EN: 1
; COMPUTE_PGM_RSRC2:TGID_Z_EN: 1
; COMPUTE_PGM_RSRC2:TIDIG_COMP_CNT: 1
	.section	.text._ZN12_GLOBAL__N_135rocblas_gemm_batched_general_kernelIDF16_Li16ELi16ELi32ELi32ELi8ELi32ELi8ELi8ELi32ELc84ELc67EKDF16_S1_DF16_EEvlllT_PT11_llS4_llS2_PT12_llPT13_lli,"axG",@progbits,_ZN12_GLOBAL__N_135rocblas_gemm_batched_general_kernelIDF16_Li16ELi16ELi32ELi32ELi8ELi32ELi8ELi8ELi32ELc84ELc67EKDF16_S1_DF16_EEvlllT_PT11_llS4_llS2_PT12_llPT13_lli,comdat
	.globl	_ZN12_GLOBAL__N_135rocblas_gemm_batched_general_kernelIDF16_Li16ELi16ELi32ELi32ELi8ELi32ELi8ELi8ELi32ELc84ELc67EKDF16_S1_DF16_EEvlllT_PT11_llS4_llS2_PT12_llPT13_lli ; -- Begin function _ZN12_GLOBAL__N_135rocblas_gemm_batched_general_kernelIDF16_Li16ELi16ELi32ELi32ELi8ELi32ELi8ELi8ELi32ELc84ELc67EKDF16_S1_DF16_EEvlllT_PT11_llS4_llS2_PT12_llPT13_lli
	.p2align	8
	.type	_ZN12_GLOBAL__N_135rocblas_gemm_batched_general_kernelIDF16_Li16ELi16ELi32ELi32ELi8ELi32ELi8ELi8ELi32ELc84ELc67EKDF16_S1_DF16_EEvlllT_PT11_llS4_llS2_PT12_llPT13_lli,@function
_ZN12_GLOBAL__N_135rocblas_gemm_batched_general_kernelIDF16_Li16ELi16ELi32ELi32ELi8ELi32ELi8ELi8ELi32ELc84ELc67EKDF16_S1_DF16_EEvlllT_PT11_llS4_llS2_PT12_llPT13_lli: ; @_ZN12_GLOBAL__N_135rocblas_gemm_batched_general_kernelIDF16_Li16ELi16ELi32ELi32ELi8ELi32ELi8ELi8ELi32ELc84ELc67EKDF16_S1_DF16_EEvlllT_PT11_llS4_llS2_PT12_llPT13_lli
; %bb.0:
	s_load_b32 s33, s[0:1], 0x88
	s_lshr_b32 s34, ttmp7, 16
	s_wait_kmcnt 0x0
	s_cmp_ge_i32 s34, s33
	s_cbranch_scc1 .LBB28_35
; %bb.1:
	v_bfe_u32 v2, v0, 10, 10
	s_mov_b32 s2, ttmp9
	s_ashr_i32 s3, ttmp9, 31
	v_and_b32_e32 v3, 0x3ff, v0
	s_lshl_b64 s[40:41], s[2:3], 5
	s_delay_alu instid0(SALU_CYCLE_1)
	v_dual_mov_b32 v5, s41 :: v_dual_lshlrev_b32 v6, 4, v2
	s_clause 0x6
	s_load_b128 s[4:7], s[0:1], 0x0
	s_load_b96 s[36:38], s[0:1], 0x10
	s_load_b256 s[8:15], s[0:1], 0x58
	s_load_b256 s[16:23], s[0:1], 0x20
	s_load_b128 s[28:31], s[0:1], 0x40
	s_load_b32 s39, s[0:1], 0x50
	s_load_b128 s[24:27], s[0:1], 0x78
	v_add_nc_u32_e32 v1, v6, v3
	v_and_b32_e32 v12, 7, v0
	s_and_b32 s43, ttmp7, 0xffff
	v_add_nc_u32_e32 v17, 0x200, v6
	s_lshl_b32 s2, s43, 5
	v_and_b32_e32 v0, 31, v1
	v_lshrrev_b32_e32 v23, 3, v1
	v_lshlrev_b32_e32 v8, 1, v12
	v_lshrrev_b32_e32 v13, 5, v1
	s_mov_b32 s35, 0
	v_or_b32_e32 v4, s40, v0
	v_lshlrev_b32_e32 v7, 1, v0
	v_add_co_u32 v0, s0, v23, s2
	s_delay_alu instid0(VALU_DEP_1)
	v_add_co_ci_u32_e64 v1, null, 0, 0, s0
	v_lshl_or_b32 v8, v23, 4, v8
	s_wait_kmcnt 0x0
	v_cmp_gt_i64_e64 s0, s[4:5], v[4:5]
	v_add_co_u32 v5, s2, s2, v2
	v_lshl_or_b32 v14, v13, 6, v7
	v_add_nc_u32_e32 v15, 0x200, v8
	v_mad_co_u64_u32 v[9:10], null, s28, v12, 0
	s_delay_alu instid0(VALU_DEP_4)
	v_mad_co_u64_u32 v[7:8], null, v5, s10, 0
	v_cmp_gt_i64_e64 s1, s[6:7], v[0:1]
	v_mad_co_u64_u32 v[0:1], null, v5, s24, 0
	s_wait_alu 0xf1ff
	v_add_co_ci_u32_e64 v6, null, 0, 0, s2
	s_cmp_eq_f16 s39, 0
	v_mad_co_u64_u32 v[20:21], null, v5, s11, v[8:9]
	v_cmp_gt_i64_e64 s2, s[6:7], v[5:6]
	s_cselect_b32 s42, -1, 0
	v_mov_b32_e32 v8, v20
	v_add_co_u32 v2, s3, s40, v3
	v_lshlrev_b32_e32 v16, 1, v3
	s_wait_alu 0xf1ff
	v_add_co_ci_u32_e64 v3, null, s41, 0, s3
	s_delay_alu instid0(VALU_DEP_3) | instskip(SKIP_4) | instid1(VALU_DEP_4)
	v_mad_co_u64_u32 v[21:22], null, v5, s25, v[1:2]
	v_mov_b32_e32 v1, v10
	v_add_co_u32 v18, vcc_lo, v2, 16
	v_lshlrev_b64_e32 v[7:8], 1, v[7:8]
	v_add_co_ci_u32_e64 v19, null, 0, v3, vcc_lo
	v_mad_co_u64_u32 v[10:11], null, s29, v12, v[1:2]
	v_add_co_u32 v5, vcc_lo, v5, 16
	s_wait_alu 0xfffd
	v_add_co_ci_u32_e64 v6, null, 0, v6, vcc_lo
	v_cmp_gt_i64_e64 s3, s[4:5], v[2:3]
	v_cmp_gt_i64_e64 s4, s[4:5], v[18:19]
	v_add_co_u32 v18, vcc_lo, s8, v7
	s_delay_alu instid0(VALU_DEP_4)
	v_cmp_gt_i64_e64 s5, s[6:7], v[5:6]
	s_wait_alu 0xfffd
	v_add_co_ci_u32_e64 v19, null, s9, v8, vcc_lo
	v_lshlrev_b64_e32 v[5:6], 1, v[9:10]
	v_mul_lo_u32 v9, s19, v4
	v_mad_co_u64_u32 v[7:8], null, s18, v4, 0
	s_lshl_b32 s8, s43, 6
	v_lshlrev_b32_e32 v4, 1, v23
	s_mul_i32 s9, s18, s41
	s_wait_alu 0xfffe
	v_add_co_u32 v5, vcc_lo, v5, s8
	s_wait_alu 0xfffd
	v_add_co_ci_u32_e64 v6, null, 0, v6, vcc_lo
	v_add3_u32 v8, v8, s9, v9
	s_delay_alu instid0(VALU_DEP_3) | instskip(SKIP_1) | instid1(VALU_DEP_3)
	v_add_co_u32 v4, vcc_lo, v5, v4
	s_wait_alu 0xfffd
	v_add_co_ci_u32_e64 v5, null, 0, v6, vcc_lo
	s_delay_alu instid0(VALU_DEP_3) | instskip(SKIP_4) | instid1(VALU_DEP_3)
	v_lshlrev_b64_e32 v[6:7], 1, v[7:8]
	v_lshlrev_b32_e32 v8, 1, v13
	v_add_co_u32 v4, vcc_lo, s22, v4
	s_wait_alu 0xfffd
	v_add_co_ci_u32_e64 v5, null, s23, v5, vcc_lo
	v_add_co_u32 v6, vcc_lo, v6, v8
	s_wait_alu 0xfffd
	v_add_co_ci_u32_e64 v7, null, 0, v7, vcc_lo
	v_cmp_gt_i64_e64 s22, s[36:37], 0
	s_delay_alu instid0(VALU_DEP_3)
	v_add_co_u32 v6, vcc_lo, s16, v6
	v_mov_b32_e32 v1, v21
	s_wait_alu 0xfffd
	v_add_co_ci_u32_e64 v7, null, s17, v7, vcc_lo
	s_lshl_b64 s[6:7], s[24:25], 4
	s_lshl_b64 s[24:25], s[10:11], 4
	;; [unrolled: 1-line block ×5, first 2 shown]
	s_wait_alu 0xfffe
	s_lshl_b64 s[18:19], s[24:25], 1
	s_branch .LBB28_4
.LBB28_2:                               ;   in Loop: Header=BB28_4 Depth=1
	s_wait_alu 0xfffe
	s_or_b32 exec_lo, exec_lo, s23
.LBB28_3:                               ;   in Loop: Header=BB28_4 Depth=1
	s_add_co_i32 s34, s34, 0x10000
	s_wait_alu 0xfffe
	s_cmp_lt_i32 s34, s33
	s_cbranch_scc0 .LBB28_35
.LBB28_4:                               ; =>This Loop Header: Depth=1
                                        ;     Child Loop BB28_7 Depth 2
	s_and_not1_b32 vcc_lo, exec_lo, s22
	s_wait_alu 0xfffe
	s_cbranch_vccnz .LBB28_11
; %bb.5:                                ;   in Loop: Header=BB28_4 Depth=1
	v_mad_co_u64_u32 v[8:9], null, s8, s34, v[4:5]
	v_mad_co_u64_u32 v[10:11], null, s16, s34, v[6:7]
	s_mov_b64 s[20:21], 0
	v_mad_co_u64_u32 v[20:21], null, s9, s34, v[9:10]
	v_mad_co_u64_u32 v[22:23], null, s17, s34, v[11:12]
	v_mov_b32_e32 v21, 0
	s_delay_alu instid0(VALU_DEP_3) | instskip(NEXT) | instid1(VALU_DEP_3)
	v_dual_mov_b32 v9, v20 :: v_dual_mov_b32 v20, 0
	v_mov_b32_e32 v11, v22
	s_branch .LBB28_7
.LBB28_6:                               ;   in Loop: Header=BB28_7 Depth=2
	s_wait_alu 0xfffe
	s_or_b32 exec_lo, exec_lo, s23
	s_wait_loadcnt 0x0
	ds_store_b16 v15, v23
	s_wait_dscnt 0x0
	s_barrier_signal -1
	s_barrier_wait -1
	global_inv scope:SCOPE_SE
	ds_load_u16 v30, v16
	ds_load_u16 v31, v16 offset:64
	ds_load_u16 v32, v16 offset:128
	;; [unrolled: 1-line block ×7, first 2 shown]
	s_add_nc_u64 s[20:21], s[20:21], 8
	v_add_co_u32 v8, vcc_lo, v8, s10
	s_wait_alu 0xfffe
	v_cmp_lt_i64_e64 s23, s[20:21], s[36:37]
	s_wait_alu 0xfffd
	v_add_co_ci_u32_e64 v9, null, s11, v9, vcc_lo
	v_add_co_u32 v10, vcc_lo, v10, 16
	s_wait_alu 0xfffd
	v_add_co_ci_u32_e64 v11, null, 0, v11, vcc_lo
	s_and_b32 vcc_lo, exec_lo, s23
	s_wait_dscnt 0x7
	ds_load_u16_d16_hi v30, v16 offset:32
	ds_load_b128 v[22:25], v17
	ds_load_b128 v[26:29], v17 offset:256
	s_wait_dscnt 0x9
	ds_load_u16_d16_hi v31, v16 offset:96
	s_wait_dscnt 0x9
	ds_load_u16_d16_hi v32, v16 offset:160
	;; [unrolled: 2-line block ×7, first 2 shown]
	s_wait_loadcnt_dscnt 0x0
	s_barrier_signal -1
	s_barrier_wait -1
	global_inv scope:SCOPE_SE
	v_pk_fma_f16 v21, v30, v22, v21 op_sel_hi:[1,0,1]
	v_pk_fma_f16 v20, v30, v26, v20 op_sel_hi:[1,0,1]
	s_delay_alu instid0(VALU_DEP_2) | instskip(NEXT) | instid1(VALU_DEP_2)
	v_pk_fma_f16 v21, v31, v22, v21 op_sel:[0,1,0]
	v_pk_fma_f16 v20, v31, v26, v20 op_sel:[0,1,0]
	s_delay_alu instid0(VALU_DEP_2) | instskip(NEXT) | instid1(VALU_DEP_2)
	v_pk_fma_f16 v21, v32, v23, v21 op_sel_hi:[1,0,1]
	v_pk_fma_f16 v20, v32, v27, v20 op_sel_hi:[1,0,1]
	s_delay_alu instid0(VALU_DEP_2) | instskip(NEXT) | instid1(VALU_DEP_2)
	v_pk_fma_f16 v21, v33, v23, v21 op_sel:[0,1,0]
	v_pk_fma_f16 v20, v33, v27, v20 op_sel:[0,1,0]
	s_delay_alu instid0(VALU_DEP_2) | instskip(NEXT) | instid1(VALU_DEP_2)
	;; [unrolled: 6-line block ×3, first 2 shown]
	v_pk_fma_f16 v21, v36, v25, v21 op_sel_hi:[1,0,1]
	v_pk_fma_f16 v20, v36, v29, v20 op_sel_hi:[1,0,1]
	s_delay_alu instid0(VALU_DEP_2) | instskip(NEXT) | instid1(VALU_DEP_2)
	v_pk_fma_f16 v21, v37, v25, v21 op_sel:[0,1,0]
	v_pk_fma_f16 v20, v37, v29, v20 op_sel:[0,1,0]
	s_wait_alu 0xfffe
	s_cbranch_vccz .LBB28_12
.LBB28_7:                               ;   Parent Loop BB28_4 Depth=1
                                        ; =>  This Inner Loop Header: Depth=2
	s_wait_alu 0xfffe
	v_add_co_u32 v22, s23, v13, s20
	s_wait_alu 0xf1ff
	v_add_co_ci_u32_e64 v23, null, 0, s21, s23
	s_delay_alu instid0(VALU_DEP_1)
	v_cmp_gt_i64_e32 vcc_lo, s[36:37], v[22:23]
	v_mov_b32_e32 v22, 0
	s_and_b32 s24, s0, vcc_lo
	s_wait_alu 0xfffe
	s_and_saveexec_b32 s23, s24
	s_cbranch_execz .LBB28_9
; %bb.8:                                ;   in Loop: Header=BB28_7 Depth=2
	global_load_u16 v22, v[10:11], off
.LBB28_9:                               ;   in Loop: Header=BB28_7 Depth=2
	s_wait_alu 0xfffe
	s_or_b32 exec_lo, exec_lo, s23
	v_add_co_u32 v23, s23, v12, s20
	s_wait_alu 0xf1ff
	v_add_co_ci_u32_e64 v24, null, 0, s21, s23
	s_wait_loadcnt 0x0
	ds_store_b16 v14, v22
	v_cmp_gt_i64_e32 vcc_lo, s[36:37], v[23:24]
	v_mov_b32_e32 v23, 0
	s_and_b32 s24, vcc_lo, s1
	s_wait_alu 0xfffe
	s_and_saveexec_b32 s23, s24
	s_cbranch_execz .LBB28_6
; %bb.10:                               ;   in Loop: Header=BB28_7 Depth=2
	global_load_u16 v23, v[8:9], off
	s_branch .LBB28_6
.LBB28_11:                              ;   in Loop: Header=BB28_4 Depth=1
	v_dual_mov_b32 v21, 0 :: v_dual_mov_b32 v20, 0
.LBB28_12:                              ;   in Loop: Header=BB28_4 Depth=1
	s_mul_u64 s[20:21], s[26:27], s[34:35]
	s_and_not1_b32 vcc_lo, exec_lo, s42
	s_wait_alu 0xfffe
	s_lshl_b64 s[20:21], s[20:21], 1
	s_wait_alu 0xfffe
	s_add_nc_u64 s[20:21], s[14:15], s[20:21]
	s_cbranch_vccnz .LBB28_17
; %bb.13:                               ;   in Loop: Header=BB28_4 Depth=1
	s_and_saveexec_b32 s23, s2
	s_cbranch_execz .LBB28_24
; %bb.14:                               ;   in Loop: Header=BB28_4 Depth=1
	v_lshlrev_b64_e32 v[8:9], 1, v[0:1]
	s_wait_alu 0xfffe
	s_delay_alu instid0(VALU_DEP_1) | instskip(SKIP_1) | instid1(VALU_DEP_2)
	v_add_co_u32 v8, vcc_lo, s20, v8
	s_wait_alu 0xfffd
	v_add_co_ci_u32_e64 v9, null, s21, v9, vcc_lo
	s_and_saveexec_b32 s24, s3
	s_cbranch_execnz .LBB28_18
; %bb.15:                               ;   in Loop: Header=BB28_4 Depth=1
	s_wait_alu 0xfffe
	s_or_b32 exec_lo, exec_lo, s24
	s_and_saveexec_b32 s24, s4
	s_cbranch_execnz .LBB28_19
.LBB28_16:                              ;   in Loop: Header=BB28_4 Depth=1
	s_wait_alu 0xfffe
	s_or_b32 exec_lo, exec_lo, s24
	s_delay_alu instid0(SALU_CYCLE_1)
	s_and_b32 exec_lo, exec_lo, s5
	s_cbranch_execnz .LBB28_20
	s_branch .LBB28_24
.LBB28_17:                              ;   in Loop: Header=BB28_4 Depth=1
	s_branch .LBB28_25
.LBB28_18:                              ;   in Loop: Header=BB28_4 Depth=1
	v_lshlrev_b64_e32 v[10:11], 1, v[2:3]
	v_mul_f16_e32 v22, s38, v21
	s_delay_alu instid0(VALU_DEP_2) | instskip(SKIP_1) | instid1(VALU_DEP_3)
	v_add_co_u32 v10, vcc_lo, v8, v10
	s_wait_alu 0xfffd
	v_add_co_ci_u32_e64 v11, null, v9, v11, vcc_lo
	global_store_b16 v[10:11], v22, off
	s_wait_alu 0xfffe
	s_or_b32 exec_lo, exec_lo, s24
	s_and_saveexec_b32 s24, s4
	s_cbranch_execz .LBB28_16
.LBB28_19:                              ;   in Loop: Header=BB28_4 Depth=1
	v_lshlrev_b64_e32 v[10:11], 1, v[2:3]
	v_lshrrev_b32_e32 v22, 16, v21
	s_delay_alu instid0(VALU_DEP_1) | instskip(NEXT) | instid1(VALU_DEP_3)
	v_mul_f16_e32 v22, s38, v22
	v_add_co_u32 v10, vcc_lo, v8, v10
	s_wait_alu 0xfffd
	s_delay_alu instid0(VALU_DEP_4) | instskip(SKIP_3) | instid1(SALU_CYCLE_1)
	v_add_co_ci_u32_e64 v11, null, v9, v11, vcc_lo
	global_store_b16 v[10:11], v22, off offset:32
	s_wait_alu 0xfffe
	s_or_b32 exec_lo, exec_lo, s24
	s_and_b32 exec_lo, exec_lo, s5
	s_cbranch_execz .LBB28_24
.LBB28_20:                              ;   in Loop: Header=BB28_4 Depth=1
	s_lshl_b64 s[24:25], s[6:7], 1
	v_lshlrev_b64_e32 v[10:11], 1, v[2:3]
	s_wait_alu 0xfffe
	v_add_co_u32 v8, vcc_lo, v8, s24
	s_wait_alu 0xfffd
	v_add_co_ci_u32_e64 v9, null, s25, v9, vcc_lo
	s_delay_alu instid0(VALU_DEP_2) | instskip(SKIP_1) | instid1(VALU_DEP_2)
	v_add_co_u32 v8, vcc_lo, v8, v10
	s_wait_alu 0xfffd
	v_add_co_ci_u32_e64 v9, null, v9, v11, vcc_lo
	s_and_saveexec_b32 s24, s3
	s_cbranch_execz .LBB28_22
; %bb.21:                               ;   in Loop: Header=BB28_4 Depth=1
	v_mul_f16_e32 v10, s38, v20
	global_store_b16 v[8:9], v10, off
.LBB28_22:                              ;   in Loop: Header=BB28_4 Depth=1
	s_wait_alu 0xfffe
	s_or_b32 exec_lo, exec_lo, s24
	s_delay_alu instid0(SALU_CYCLE_1)
	s_and_b32 exec_lo, exec_lo, s4
	s_cbranch_execz .LBB28_24
; %bb.23:                               ;   in Loop: Header=BB28_4 Depth=1
	v_lshrrev_b32_e32 v10, 16, v20
	s_delay_alu instid0(VALU_DEP_1)
	v_mul_f16_e32 v10, s38, v10
	global_store_b16 v[8:9], v10, off offset:32
.LBB28_24:                              ;   in Loop: Header=BB28_4 Depth=1
	s_wait_alu 0xfffe
	s_or_b32 exec_lo, exec_lo, s23
	s_cbranch_execnz .LBB28_3
.LBB28_25:                              ;   in Loop: Header=BB28_4 Depth=1
	s_and_saveexec_b32 s23, s2
	s_cbranch_execz .LBB28_2
; %bb.26:                               ;   in Loop: Header=BB28_4 Depth=1
	s_mul_u64 s[24:25], s[12:13], s[34:35]
	v_lshlrev_b64_e32 v[22:23], 1, v[0:1]
	s_wait_alu 0xfffe
	s_lshl_b64 s[24:25], s[24:25], 1
	v_lshlrev_b64_e32 v[8:9], 1, v[2:3]
	s_wait_alu 0xfffe
	v_add_co_u32 v10, vcc_lo, v18, s24
	s_wait_alu 0xfffd
	v_add_co_ci_u32_e64 v11, null, s25, v19, vcc_lo
	v_add_co_u32 v22, vcc_lo, s20, v22
	s_wait_alu 0xfffd
	v_add_co_ci_u32_e64 v23, null, s21, v23, vcc_lo
	s_and_saveexec_b32 s20, s3
	s_cbranch_execnz .LBB28_29
; %bb.27:                               ;   in Loop: Header=BB28_4 Depth=1
	s_wait_alu 0xfffe
	s_or_b32 exec_lo, exec_lo, s20
	s_and_saveexec_b32 s20, s4
	s_cbranch_execnz .LBB28_30
.LBB28_28:                              ;   in Loop: Header=BB28_4 Depth=1
	s_wait_alu 0xfffe
	s_or_b32 exec_lo, exec_lo, s20
	s_delay_alu instid0(SALU_CYCLE_1)
	s_and_b32 exec_lo, exec_lo, s5
	s_cbranch_execz .LBB28_2
	s_branch .LBB28_31
.LBB28_29:                              ;   in Loop: Header=BB28_4 Depth=1
	v_add_co_u32 v24, vcc_lo, v10, v8
	s_wait_alu 0xfffd
	v_add_co_ci_u32_e64 v25, null, v11, v9, vcc_lo
	global_load_u16 v24, v[24:25], off
	s_wait_loadcnt 0x0
	v_mul_f16_e32 v26, s39, v24
	v_add_co_u32 v24, vcc_lo, v22, v8
	s_wait_alu 0xfffd
	v_add_co_ci_u32_e64 v25, null, v23, v9, vcc_lo
	s_delay_alu instid0(VALU_DEP_3)
	v_fmac_f16_e32 v26, s38, v21
	global_store_b16 v[24:25], v26, off
	s_wait_alu 0xfffe
	s_or_b32 exec_lo, exec_lo, s20
	s_and_saveexec_b32 s20, s4
	s_cbranch_execz .LBB28_28
.LBB28_30:                              ;   in Loop: Header=BB28_4 Depth=1
	v_add_co_u32 v24, vcc_lo, v10, v8
	s_wait_alu 0xfffd
	v_add_co_ci_u32_e64 v25, null, v11, v9, vcc_lo
	v_lshrrev_b32_e32 v21, 16, v21
	global_load_u16 v24, v[24:25], off offset:32
	s_wait_loadcnt 0x0
	v_mul_f16_e32 v26, s39, v24
	v_add_co_u32 v24, vcc_lo, v22, v8
	s_wait_alu 0xfffd
	v_add_co_ci_u32_e64 v25, null, v23, v9, vcc_lo
	s_delay_alu instid0(VALU_DEP_3) | instskip(SKIP_3) | instid1(SALU_CYCLE_1)
	v_fmac_f16_e32 v26, s38, v21
	global_store_b16 v[24:25], v26, off offset:32
	s_wait_alu 0xfffe
	s_or_b32 exec_lo, exec_lo, s20
	s_and_b32 exec_lo, exec_lo, s5
	s_cbranch_execz .LBB28_2
.LBB28_31:                              ;   in Loop: Header=BB28_4 Depth=1
	v_add_co_u32 v10, vcc_lo, v10, s18
	s_lshl_b64 s[20:21], s[6:7], 1
	s_wait_alu 0xfffd
	v_add_co_ci_u32_e64 v11, null, s19, v11, vcc_lo
	s_wait_alu 0xfffe
	v_add_co_u32 v21, vcc_lo, v22, s20
	s_wait_alu 0xfffd
	v_add_co_ci_u32_e64 v22, null, s21, v23, vcc_lo
	v_add_co_u32 v10, vcc_lo, v10, v8
	s_wait_alu 0xfffd
	v_add_co_ci_u32_e64 v11, null, v11, v9, vcc_lo
	;; [unrolled: 3-line block ×3, first 2 shown]
	s_and_saveexec_b32 s20, s3
	s_cbranch_execz .LBB28_33
; %bb.32:                               ;   in Loop: Header=BB28_4 Depth=1
	global_load_u16 v21, v[10:11], off
	s_wait_loadcnt 0x0
	v_mul_f16_e32 v21, s39, v21
	s_delay_alu instid0(VALU_DEP_1)
	v_fmac_f16_e32 v21, s38, v20
	global_store_b16 v[8:9], v21, off
.LBB28_33:                              ;   in Loop: Header=BB28_4 Depth=1
	s_wait_alu 0xfffe
	s_or_b32 exec_lo, exec_lo, s20
	s_delay_alu instid0(SALU_CYCLE_1)
	s_and_b32 exec_lo, exec_lo, s4
	s_cbranch_execz .LBB28_2
; %bb.34:                               ;   in Loop: Header=BB28_4 Depth=1
	global_load_u16 v10, v[10:11], off offset:32
	v_lshrrev_b32_e32 v11, 16, v20
	s_wait_loadcnt 0x0
	v_mul_f16_e32 v10, s39, v10
	s_delay_alu instid0(VALU_DEP_1)
	v_fmac_f16_e32 v10, s38, v11
	global_store_b16 v[8:9], v10, off offset:32
	s_branch .LBB28_2
.LBB28_35:
	s_endpgm
	.section	.rodata,"a",@progbits
	.p2align	6, 0x0
	.amdhsa_kernel _ZN12_GLOBAL__N_135rocblas_gemm_batched_general_kernelIDF16_Li16ELi16ELi32ELi32ELi8ELi32ELi8ELi8ELi32ELc84ELc67EKDF16_S1_DF16_EEvlllT_PT11_llS4_llS2_PT12_llPT13_lli
		.amdhsa_group_segment_fixed_size 1024
		.amdhsa_private_segment_fixed_size 0
		.amdhsa_kernarg_size 140
		.amdhsa_user_sgpr_count 2
		.amdhsa_user_sgpr_dispatch_ptr 0
		.amdhsa_user_sgpr_queue_ptr 0
		.amdhsa_user_sgpr_kernarg_segment_ptr 1
		.amdhsa_user_sgpr_dispatch_id 0
		.amdhsa_user_sgpr_private_segment_size 0
		.amdhsa_wavefront_size32 1
		.amdhsa_uses_dynamic_stack 0
		.amdhsa_enable_private_segment 0
		.amdhsa_system_sgpr_workgroup_id_x 1
		.amdhsa_system_sgpr_workgroup_id_y 1
		.amdhsa_system_sgpr_workgroup_id_z 1
		.amdhsa_system_sgpr_workgroup_info 0
		.amdhsa_system_vgpr_workitem_id 1
		.amdhsa_next_free_vgpr 38
		.amdhsa_next_free_sgpr 44
		.amdhsa_reserve_vcc 1
		.amdhsa_float_round_mode_32 0
		.amdhsa_float_round_mode_16_64 0
		.amdhsa_float_denorm_mode_32 3
		.amdhsa_float_denorm_mode_16_64 3
		.amdhsa_fp16_overflow 0
		.amdhsa_workgroup_processor_mode 1
		.amdhsa_memory_ordered 1
		.amdhsa_forward_progress 1
		.amdhsa_inst_pref_size 18
		.amdhsa_round_robin_scheduling 0
		.amdhsa_exception_fp_ieee_invalid_op 0
		.amdhsa_exception_fp_denorm_src 0
		.amdhsa_exception_fp_ieee_div_zero 0
		.amdhsa_exception_fp_ieee_overflow 0
		.amdhsa_exception_fp_ieee_underflow 0
		.amdhsa_exception_fp_ieee_inexact 0
		.amdhsa_exception_int_div_zero 0
	.end_amdhsa_kernel
	.section	.text._ZN12_GLOBAL__N_135rocblas_gemm_batched_general_kernelIDF16_Li16ELi16ELi32ELi32ELi8ELi32ELi8ELi8ELi32ELc84ELc67EKDF16_S1_DF16_EEvlllT_PT11_llS4_llS2_PT12_llPT13_lli,"axG",@progbits,_ZN12_GLOBAL__N_135rocblas_gemm_batched_general_kernelIDF16_Li16ELi16ELi32ELi32ELi8ELi32ELi8ELi8ELi32ELc84ELc67EKDF16_S1_DF16_EEvlllT_PT11_llS4_llS2_PT12_llPT13_lli,comdat
.Lfunc_end28:
	.size	_ZN12_GLOBAL__N_135rocblas_gemm_batched_general_kernelIDF16_Li16ELi16ELi32ELi32ELi8ELi32ELi8ELi8ELi32ELc84ELc67EKDF16_S1_DF16_EEvlllT_PT11_llS4_llS2_PT12_llPT13_lli, .Lfunc_end28-_ZN12_GLOBAL__N_135rocblas_gemm_batched_general_kernelIDF16_Li16ELi16ELi32ELi32ELi8ELi32ELi8ELi8ELi32ELc84ELc67EKDF16_S1_DF16_EEvlllT_PT11_llS4_llS2_PT12_llPT13_lli
                                        ; -- End function
	.set _ZN12_GLOBAL__N_135rocblas_gemm_batched_general_kernelIDF16_Li16ELi16ELi32ELi32ELi8ELi32ELi8ELi8ELi32ELc84ELc67EKDF16_S1_DF16_EEvlllT_PT11_llS4_llS2_PT12_llPT13_lli.num_vgpr, 38
	.set _ZN12_GLOBAL__N_135rocblas_gemm_batched_general_kernelIDF16_Li16ELi16ELi32ELi32ELi8ELi32ELi8ELi8ELi32ELc84ELc67EKDF16_S1_DF16_EEvlllT_PT11_llS4_llS2_PT12_llPT13_lli.num_agpr, 0
	.set _ZN12_GLOBAL__N_135rocblas_gemm_batched_general_kernelIDF16_Li16ELi16ELi32ELi32ELi8ELi32ELi8ELi8ELi32ELc84ELc67EKDF16_S1_DF16_EEvlllT_PT11_llS4_llS2_PT12_llPT13_lli.numbered_sgpr, 44
	.set _ZN12_GLOBAL__N_135rocblas_gemm_batched_general_kernelIDF16_Li16ELi16ELi32ELi32ELi8ELi32ELi8ELi8ELi32ELc84ELc67EKDF16_S1_DF16_EEvlllT_PT11_llS4_llS2_PT12_llPT13_lli.num_named_barrier, 0
	.set _ZN12_GLOBAL__N_135rocblas_gemm_batched_general_kernelIDF16_Li16ELi16ELi32ELi32ELi8ELi32ELi8ELi8ELi32ELc84ELc67EKDF16_S1_DF16_EEvlllT_PT11_llS4_llS2_PT12_llPT13_lli.private_seg_size, 0
	.set _ZN12_GLOBAL__N_135rocblas_gemm_batched_general_kernelIDF16_Li16ELi16ELi32ELi32ELi8ELi32ELi8ELi8ELi32ELc84ELc67EKDF16_S1_DF16_EEvlllT_PT11_llS4_llS2_PT12_llPT13_lli.uses_vcc, 1
	.set _ZN12_GLOBAL__N_135rocblas_gemm_batched_general_kernelIDF16_Li16ELi16ELi32ELi32ELi8ELi32ELi8ELi8ELi32ELc84ELc67EKDF16_S1_DF16_EEvlllT_PT11_llS4_llS2_PT12_llPT13_lli.uses_flat_scratch, 0
	.set _ZN12_GLOBAL__N_135rocblas_gemm_batched_general_kernelIDF16_Li16ELi16ELi32ELi32ELi8ELi32ELi8ELi8ELi32ELc84ELc67EKDF16_S1_DF16_EEvlllT_PT11_llS4_llS2_PT12_llPT13_lli.has_dyn_sized_stack, 0
	.set _ZN12_GLOBAL__N_135rocblas_gemm_batched_general_kernelIDF16_Li16ELi16ELi32ELi32ELi8ELi32ELi8ELi8ELi32ELc84ELc67EKDF16_S1_DF16_EEvlllT_PT11_llS4_llS2_PT12_llPT13_lli.has_recursion, 0
	.set _ZN12_GLOBAL__N_135rocblas_gemm_batched_general_kernelIDF16_Li16ELi16ELi32ELi32ELi8ELi32ELi8ELi8ELi32ELc84ELc67EKDF16_S1_DF16_EEvlllT_PT11_llS4_llS2_PT12_llPT13_lli.has_indirect_call, 0
	.section	.AMDGPU.csdata,"",@progbits
; Kernel info:
; codeLenInByte = 2292
; TotalNumSgprs: 46
; NumVgprs: 38
; ScratchSize: 0
; MemoryBound: 0
; FloatMode: 240
; IeeeMode: 1
; LDSByteSize: 1024 bytes/workgroup (compile time only)
; SGPRBlocks: 0
; VGPRBlocks: 4
; NumSGPRsForWavesPerEU: 46
; NumVGPRsForWavesPerEU: 38
; Occupancy: 16
; WaveLimiterHint : 0
; COMPUTE_PGM_RSRC2:SCRATCH_EN: 0
; COMPUTE_PGM_RSRC2:USER_SGPR: 2
; COMPUTE_PGM_RSRC2:TRAP_HANDLER: 0
; COMPUTE_PGM_RSRC2:TGID_X_EN: 1
; COMPUTE_PGM_RSRC2:TGID_Y_EN: 1
; COMPUTE_PGM_RSRC2:TGID_Z_EN: 1
; COMPUTE_PGM_RSRC2:TIDIG_COMP_CNT: 1
	.section	.text._ZN12_GLOBAL__N_125rocblas_gemm_scale_kernelILi32ELi32EfPfEEviiT1_T2_llli,"axG",@progbits,_ZN12_GLOBAL__N_125rocblas_gemm_scale_kernelILi32ELi32EfPfEEviiT1_T2_llli,comdat
	.globl	_ZN12_GLOBAL__N_125rocblas_gemm_scale_kernelILi32ELi32EfPfEEviiT1_T2_llli ; -- Begin function _ZN12_GLOBAL__N_125rocblas_gemm_scale_kernelILi32ELi32EfPfEEviiT1_T2_llli
	.p2align	8
	.type	_ZN12_GLOBAL__N_125rocblas_gemm_scale_kernelILi32ELi32EfPfEEviiT1_T2_llli,@function
_ZN12_GLOBAL__N_125rocblas_gemm_scale_kernelILi32ELi32EfPfEEviiT1_T2_llli: ; @_ZN12_GLOBAL__N_125rocblas_gemm_scale_kernelILi32ELi32EfPfEEviiT1_T2_llli
; %bb.0:
	s_load_b32 s3, s[0:1], 0x30
	s_lshr_b32 s12, ttmp7, 16
	s_wait_kmcnt 0x0
	s_cmp_ge_u32 s12, s3
	s_cbranch_scc1 .LBB29_8
; %bb.1:
	s_load_b256 s[4:11], s[0:1], 0x10
	v_bfe_u32 v1, v0, 10, 10
	s_and_b32 s2, ttmp7, 0xffff
	s_mov_b32 s13, 0
	s_delay_alu instid0(VALU_DEP_1) | instskip(SKIP_2) | instid1(VALU_DEP_1)
	v_lshl_add_u32 v5, s2, 5, v1
	s_load_b96 s[0:2], s[0:1], 0x0
	s_wait_kmcnt 0x0
	v_mad_co_u64_u32 v[2:3], null, s8, v5, 0
	s_delay_alu instid0(VALU_DEP_1) | instskip(NEXT) | instid1(VALU_DEP_1)
	v_dual_mov_b32 v0, v3 :: v_dual_and_b32 v1, 0x3ff, v0
	v_lshl_add_u32 v4, ttmp9, 5, v1
	s_delay_alu instid0(VALU_DEP_2) | instskip(NEXT) | instid1(VALU_DEP_2)
	v_mad_co_u64_u32 v[0:1], null, s9, v5, v[0:1]
	v_cmp_gt_u32_e32 vcc_lo, s0, v4
	v_cmp_gt_u32_e64 s0, s1, v5
	v_mov_b32_e32 v5, 0
	s_lshl_b64 s[8:9], s[6:7], 2
	s_and_b32 s6, vcc_lo, s0
	v_mov_b32_e32 v3, v0
	s_cmp_neq_f32 s2, 0
	v_lshlrev_b64_e32 v[0:1], 2, v[4:5]
	s_wait_alu 0xfffe
	s_add_nc_u64 s[0:1], s[4:5], s[8:9]
	v_lshlrev_b64_e32 v[2:3], 2, v[2:3]
	s_cselect_b32 s7, -1, 0
	s_branch .LBB29_5
.LBB29_2:                               ;   in Loop: Header=BB29_5 Depth=1
	s_wait_alu 0xfffe
	v_add_co_u32 v4, vcc_lo, s4, v2
	s_wait_alu 0xfffd
	v_add_co_ci_u32_e64 v5, null, s5, v3, vcc_lo
	s_delay_alu instid0(VALU_DEP_2) | instskip(SKIP_1) | instid1(VALU_DEP_2)
	v_add_co_u32 v4, vcc_lo, v4, v0
	s_wait_alu 0xfffd
	v_add_co_ci_u32_e64 v5, null, v5, v1, vcc_lo
	global_load_b32 v4, v[4:5], off
	s_wait_loadcnt 0x0
	v_mul_f32_e32 v4, s2, v4
.LBB29_3:                               ;   in Loop: Header=BB29_5 Depth=1
	s_wait_alu 0xfffe
	v_add_co_u32 v5, vcc_lo, s4, v2
	s_wait_alu 0xfffd
	v_add_co_ci_u32_e64 v6, null, s5, v3, vcc_lo
	s_delay_alu instid0(VALU_DEP_2) | instskip(SKIP_1) | instid1(VALU_DEP_2)
	v_add_co_u32 v5, vcc_lo, v5, v0
	s_wait_alu 0xfffd
	v_add_co_ci_u32_e64 v6, null, v6, v1, vcc_lo
	global_store_b32 v[5:6], v4, off
.LBB29_4:                               ;   in Loop: Header=BB29_5 Depth=1
	s_wait_alu 0xfffe
	s_or_b32 exec_lo, exec_lo, s8
	s_add_co_i32 s12, s12, 0x10000
	s_delay_alu instid0(SALU_CYCLE_1)
	s_cmp_lt_u32 s12, s3
	s_cbranch_scc0 .LBB29_8
.LBB29_5:                               ; =>This Inner Loop Header: Depth=1
	s_and_saveexec_b32 s8, s6
	s_cbranch_execz .LBB29_4
; %bb.6:                                ;   in Loop: Header=BB29_5 Depth=1
	s_mul_u64 s[4:5], s[10:11], s[12:13]
	s_and_not1_b32 vcc_lo, exec_lo, s7
	s_wait_alu 0xfffe
	s_lshl_b64 s[4:5], s[4:5], 2
	s_wait_alu 0xfffe
	s_add_nc_u64 s[4:5], s[0:1], s[4:5]
	s_cbranch_vccz .LBB29_2
; %bb.7:                                ;   in Loop: Header=BB29_5 Depth=1
	v_mov_b32_e32 v4, 0
	s_branch .LBB29_3
.LBB29_8:
	s_endpgm
	.section	.rodata,"a",@progbits
	.p2align	6, 0x0
	.amdhsa_kernel _ZN12_GLOBAL__N_125rocblas_gemm_scale_kernelILi32ELi32EfPfEEviiT1_T2_llli
		.amdhsa_group_segment_fixed_size 0
		.amdhsa_private_segment_fixed_size 0
		.amdhsa_kernarg_size 52
		.amdhsa_user_sgpr_count 2
		.amdhsa_user_sgpr_dispatch_ptr 0
		.amdhsa_user_sgpr_queue_ptr 0
		.amdhsa_user_sgpr_kernarg_segment_ptr 1
		.amdhsa_user_sgpr_dispatch_id 0
		.amdhsa_user_sgpr_private_segment_size 0
		.amdhsa_wavefront_size32 1
		.amdhsa_uses_dynamic_stack 0
		.amdhsa_enable_private_segment 0
		.amdhsa_system_sgpr_workgroup_id_x 1
		.amdhsa_system_sgpr_workgroup_id_y 1
		.amdhsa_system_sgpr_workgroup_id_z 1
		.amdhsa_system_sgpr_workgroup_info 0
		.amdhsa_system_vgpr_workitem_id 1
		.amdhsa_next_free_vgpr 7
		.amdhsa_next_free_sgpr 14
		.amdhsa_reserve_vcc 1
		.amdhsa_float_round_mode_32 0
		.amdhsa_float_round_mode_16_64 0
		.amdhsa_float_denorm_mode_32 3
		.amdhsa_float_denorm_mode_16_64 3
		.amdhsa_fp16_overflow 0
		.amdhsa_workgroup_processor_mode 1
		.amdhsa_memory_ordered 1
		.amdhsa_forward_progress 1
		.amdhsa_inst_pref_size 3
		.amdhsa_round_robin_scheduling 0
		.amdhsa_exception_fp_ieee_invalid_op 0
		.amdhsa_exception_fp_denorm_src 0
		.amdhsa_exception_fp_ieee_div_zero 0
		.amdhsa_exception_fp_ieee_overflow 0
		.amdhsa_exception_fp_ieee_underflow 0
		.amdhsa_exception_fp_ieee_inexact 0
		.amdhsa_exception_int_div_zero 0
	.end_amdhsa_kernel
	.section	.text._ZN12_GLOBAL__N_125rocblas_gemm_scale_kernelILi32ELi32EfPfEEviiT1_T2_llli,"axG",@progbits,_ZN12_GLOBAL__N_125rocblas_gemm_scale_kernelILi32ELi32EfPfEEviiT1_T2_llli,comdat
.Lfunc_end29:
	.size	_ZN12_GLOBAL__N_125rocblas_gemm_scale_kernelILi32ELi32EfPfEEviiT1_T2_llli, .Lfunc_end29-_ZN12_GLOBAL__N_125rocblas_gemm_scale_kernelILi32ELi32EfPfEEviiT1_T2_llli
                                        ; -- End function
	.set _ZN12_GLOBAL__N_125rocblas_gemm_scale_kernelILi32ELi32EfPfEEviiT1_T2_llli.num_vgpr, 7
	.set _ZN12_GLOBAL__N_125rocblas_gemm_scale_kernelILi32ELi32EfPfEEviiT1_T2_llli.num_agpr, 0
	.set _ZN12_GLOBAL__N_125rocblas_gemm_scale_kernelILi32ELi32EfPfEEviiT1_T2_llli.numbered_sgpr, 14
	.set _ZN12_GLOBAL__N_125rocblas_gemm_scale_kernelILi32ELi32EfPfEEviiT1_T2_llli.num_named_barrier, 0
	.set _ZN12_GLOBAL__N_125rocblas_gemm_scale_kernelILi32ELi32EfPfEEviiT1_T2_llli.private_seg_size, 0
	.set _ZN12_GLOBAL__N_125rocblas_gemm_scale_kernelILi32ELi32EfPfEEviiT1_T2_llli.uses_vcc, 1
	.set _ZN12_GLOBAL__N_125rocblas_gemm_scale_kernelILi32ELi32EfPfEEviiT1_T2_llli.uses_flat_scratch, 0
	.set _ZN12_GLOBAL__N_125rocblas_gemm_scale_kernelILi32ELi32EfPfEEviiT1_T2_llli.has_dyn_sized_stack, 0
	.set _ZN12_GLOBAL__N_125rocblas_gemm_scale_kernelILi32ELi32EfPfEEviiT1_T2_llli.has_recursion, 0
	.set _ZN12_GLOBAL__N_125rocblas_gemm_scale_kernelILi32ELi32EfPfEEviiT1_T2_llli.has_indirect_call, 0
	.section	.AMDGPU.csdata,"",@progbits
; Kernel info:
; codeLenInByte = 380
; TotalNumSgprs: 16
; NumVgprs: 7
; ScratchSize: 0
; MemoryBound: 0
; FloatMode: 240
; IeeeMode: 1
; LDSByteSize: 0 bytes/workgroup (compile time only)
; SGPRBlocks: 0
; VGPRBlocks: 0
; NumSGPRsForWavesPerEU: 16
; NumVGPRsForWavesPerEU: 7
; Occupancy: 16
; WaveLimiterHint : 0
; COMPUTE_PGM_RSRC2:SCRATCH_EN: 0
; COMPUTE_PGM_RSRC2:USER_SGPR: 2
; COMPUTE_PGM_RSRC2:TRAP_HANDLER: 0
; COMPUTE_PGM_RSRC2:TGID_X_EN: 1
; COMPUTE_PGM_RSRC2:TGID_Y_EN: 1
; COMPUTE_PGM_RSRC2:TGID_Z_EN: 1
; COMPUTE_PGM_RSRC2:TIDIG_COMP_CNT: 1
	.section	.text._ZN12_GLOBAL__N_120gemm_ex_scale_kernelILi32ELi32EfPKfPfEEviiT1_T2_lllT3_llli,"axG",@progbits,_ZN12_GLOBAL__N_120gemm_ex_scale_kernelILi32ELi32EfPKfPfEEviiT1_T2_lllT3_llli,comdat
	.globl	_ZN12_GLOBAL__N_120gemm_ex_scale_kernelILi32ELi32EfPKfPfEEviiT1_T2_lllT3_llli ; -- Begin function _ZN12_GLOBAL__N_120gemm_ex_scale_kernelILi32ELi32EfPKfPfEEviiT1_T2_lllT3_llli
	.p2align	8
	.type	_ZN12_GLOBAL__N_120gemm_ex_scale_kernelILi32ELi32EfPKfPfEEviiT1_T2_lllT3_llli,@function
_ZN12_GLOBAL__N_120gemm_ex_scale_kernelILi32ELi32EfPKfPfEEviiT1_T2_lllT3_llli: ; @_ZN12_GLOBAL__N_120gemm_ex_scale_kernelILi32ELi32EfPKfPfEEviiT1_T2_lllT3_llli
; %bb.0:
	s_load_b32 s3, s[0:1], 0x50
	s_lshr_b32 s20, ttmp7, 16
	s_wait_kmcnt 0x0
	s_cmp_ge_u32 s20, s3
	s_cbranch_scc1 .LBB30_8
; %bb.1:
	s_load_b512 s[4:19], s[0:1], 0x10
	v_bfe_u32 v1, v0, 10, 10
	s_and_b32 s2, ttmp7, 0xffff
	v_mov_b32_e32 v6, 0
	s_mov_b32 s21, 0
	s_delay_alu instid0(VALU_DEP_2) | instskip(SKIP_2) | instid1(VALU_DEP_1)
	v_lshl_add_u32 v11, s2, 5, v1
	s_load_b96 s[0:2], s[0:1], 0x0
	s_wait_kmcnt 0x0
	v_mad_co_u64_u32 v[1:2], null, s8, v11, 0
	v_mad_co_u64_u32 v[3:4], null, s16, v11, 0
	v_and_b32_e32 v5, 0x3ff, v0
	s_lshl_b64 s[6:7], s[6:7], 2
	s_delay_alu instid0(SALU_CYCLE_1) | instskip(NEXT) | instid1(VALU_DEP_3)
	s_add_nc_u64 s[4:5], s[4:5], s[6:7]
	v_mov_b32_e32 v0, v2
	s_delay_alu instid0(VALU_DEP_2) | instskip(NEXT) | instid1(VALU_DEP_4)
	v_lshl_add_u32 v5, ttmp9, 5, v5
	v_mov_b32_e32 v2, v4
	s_delay_alu instid0(VALU_DEP_3) | instskip(NEXT) | instid1(VALU_DEP_2)
	v_mad_co_u64_u32 v[7:8], null, s9, v11, v[0:1]
	v_mad_co_u64_u32 v[8:9], null, s17, v11, v[2:3]
	s_delay_alu instid0(VALU_DEP_4)
	v_cmp_gt_u32_e32 vcc_lo, s0, v5
	v_cmp_gt_u32_e64 s0, s1, v11
	s_lshl_b64 s[8:9], s[14:15], 2
	v_lshlrev_b64_e32 v[9:10], 2, v[5:6]
	v_mov_b32_e32 v2, v7
	s_wait_alu 0xfffe
	s_add_nc_u64 s[8:9], s[12:13], s[8:9]
	v_mov_b32_e32 v4, v8
	s_and_b32 s0, vcc_lo, s0
	s_cmp_neq_f32 s2, 0
	v_lshlrev_b64_e32 v[0:1], 2, v[1:2]
	s_delay_alu instid0(VALU_DEP_2) | instskip(SKIP_1) | instid1(VALU_DEP_2)
	v_lshlrev_b64_e32 v[2:3], 2, v[3:4]
	s_cselect_b32 s1, -1, 0
	v_add_co_u32 v0, vcc_lo, s4, v0
	s_delay_alu instid0(VALU_DEP_1) | instskip(SKIP_1) | instid1(VALU_DEP_3)
	v_add_co_ci_u32_e64 v1, null, s5, v1, vcc_lo
	s_wait_alu 0xfffe
	v_add_co_u32 v2, vcc_lo, s8, v2
	s_wait_alu 0xfffd
	v_add_co_ci_u32_e64 v3, null, s9, v3, vcc_lo
	v_add_co_u32 v0, vcc_lo, v0, v9
	s_wait_alu 0xfffd
	v_add_co_ci_u32_e64 v1, null, v1, v10, vcc_lo
	;; [unrolled: 3-line block ×3, first 2 shown]
	s_branch .LBB30_5
.LBB30_2:                               ;   in Loop: Header=BB30_5 Depth=1
	s_mul_u64 s[6:7], s[10:11], s[20:21]
	s_wait_alu 0xfffe
	s_lshl_b64 s[6:7], s[6:7], 2
	s_wait_alu 0xfffe
	v_add_co_u32 v4, vcc_lo, v0, s6
	s_wait_alu 0xfffd
	v_add_co_ci_u32_e64 v5, null, s7, v1, vcc_lo
	global_load_b32 v4, v[4:5], off
	s_wait_loadcnt 0x0
	v_mul_f32_e32 v4, s2, v4
.LBB30_3:                               ;   in Loop: Header=BB30_5 Depth=1
	s_mul_u64 s[6:7], s[18:19], s[20:21]
	s_wait_alu 0xfffe
	s_lshl_b64 s[6:7], s[6:7], 2
	s_wait_alu 0xfffe
	v_add_co_u32 v5, vcc_lo, v2, s6
	s_wait_alu 0xfffd
	v_add_co_ci_u32_e64 v6, null, s7, v3, vcc_lo
	global_store_b32 v[5:6], v4, off
.LBB30_4:                               ;   in Loop: Header=BB30_5 Depth=1
	s_wait_alu 0xfffe
	s_or_b32 exec_lo, exec_lo, s4
	s_add_co_i32 s20, s20, 0x10000
	s_delay_alu instid0(SALU_CYCLE_1)
	s_cmp_lt_u32 s20, s3
	s_cbranch_scc0 .LBB30_8
.LBB30_5:                               ; =>This Inner Loop Header: Depth=1
	s_and_saveexec_b32 s4, s0
	s_cbranch_execz .LBB30_4
; %bb.6:                                ;   in Loop: Header=BB30_5 Depth=1
	s_and_not1_b32 vcc_lo, exec_lo, s1
	s_wait_alu 0xfffe
	s_cbranch_vccz .LBB30_2
; %bb.7:                                ;   in Loop: Header=BB30_5 Depth=1
	v_mov_b32_e32 v4, 0
	s_branch .LBB30_3
.LBB30_8:
	s_endpgm
	.section	.rodata,"a",@progbits
	.p2align	6, 0x0
	.amdhsa_kernel _ZN12_GLOBAL__N_120gemm_ex_scale_kernelILi32ELi32EfPKfPfEEviiT1_T2_lllT3_llli
		.amdhsa_group_segment_fixed_size 0
		.amdhsa_private_segment_fixed_size 0
		.amdhsa_kernarg_size 84
		.amdhsa_user_sgpr_count 2
		.amdhsa_user_sgpr_dispatch_ptr 0
		.amdhsa_user_sgpr_queue_ptr 0
		.amdhsa_user_sgpr_kernarg_segment_ptr 1
		.amdhsa_user_sgpr_dispatch_id 0
		.amdhsa_user_sgpr_private_segment_size 0
		.amdhsa_wavefront_size32 1
		.amdhsa_uses_dynamic_stack 0
		.amdhsa_enable_private_segment 0
		.amdhsa_system_sgpr_workgroup_id_x 1
		.amdhsa_system_sgpr_workgroup_id_y 1
		.amdhsa_system_sgpr_workgroup_id_z 1
		.amdhsa_system_sgpr_workgroup_info 0
		.amdhsa_system_vgpr_workitem_id 1
		.amdhsa_next_free_vgpr 12
		.amdhsa_next_free_sgpr 22
		.amdhsa_reserve_vcc 1
		.amdhsa_float_round_mode_32 0
		.amdhsa_float_round_mode_16_64 0
		.amdhsa_float_denorm_mode_32 3
		.amdhsa_float_denorm_mode_16_64 3
		.amdhsa_fp16_overflow 0
		.amdhsa_workgroup_processor_mode 1
		.amdhsa_memory_ordered 1
		.amdhsa_forward_progress 1
		.amdhsa_inst_pref_size 4
		.amdhsa_round_robin_scheduling 0
		.amdhsa_exception_fp_ieee_invalid_op 0
		.amdhsa_exception_fp_denorm_src 0
		.amdhsa_exception_fp_ieee_div_zero 0
		.amdhsa_exception_fp_ieee_overflow 0
		.amdhsa_exception_fp_ieee_underflow 0
		.amdhsa_exception_fp_ieee_inexact 0
		.amdhsa_exception_int_div_zero 0
	.end_amdhsa_kernel
	.section	.text._ZN12_GLOBAL__N_120gemm_ex_scale_kernelILi32ELi32EfPKfPfEEviiT1_T2_lllT3_llli,"axG",@progbits,_ZN12_GLOBAL__N_120gemm_ex_scale_kernelILi32ELi32EfPKfPfEEviiT1_T2_lllT3_llli,comdat
.Lfunc_end30:
	.size	_ZN12_GLOBAL__N_120gemm_ex_scale_kernelILi32ELi32EfPKfPfEEviiT1_T2_lllT3_llli, .Lfunc_end30-_ZN12_GLOBAL__N_120gemm_ex_scale_kernelILi32ELi32EfPKfPfEEviiT1_T2_lllT3_llli
                                        ; -- End function
	.set _ZN12_GLOBAL__N_120gemm_ex_scale_kernelILi32ELi32EfPKfPfEEviiT1_T2_lllT3_llli.num_vgpr, 12
	.set _ZN12_GLOBAL__N_120gemm_ex_scale_kernelILi32ELi32EfPKfPfEEviiT1_T2_lllT3_llli.num_agpr, 0
	.set _ZN12_GLOBAL__N_120gemm_ex_scale_kernelILi32ELi32EfPKfPfEEviiT1_T2_lllT3_llli.numbered_sgpr, 22
	.set _ZN12_GLOBAL__N_120gemm_ex_scale_kernelILi32ELi32EfPKfPfEEviiT1_T2_lllT3_llli.num_named_barrier, 0
	.set _ZN12_GLOBAL__N_120gemm_ex_scale_kernelILi32ELi32EfPKfPfEEviiT1_T2_lllT3_llli.private_seg_size, 0
	.set _ZN12_GLOBAL__N_120gemm_ex_scale_kernelILi32ELi32EfPKfPfEEviiT1_T2_lllT3_llli.uses_vcc, 1
	.set _ZN12_GLOBAL__N_120gemm_ex_scale_kernelILi32ELi32EfPKfPfEEviiT1_T2_lllT3_llli.uses_flat_scratch, 0
	.set _ZN12_GLOBAL__N_120gemm_ex_scale_kernelILi32ELi32EfPKfPfEEviiT1_T2_lllT3_llli.has_dyn_sized_stack, 0
	.set _ZN12_GLOBAL__N_120gemm_ex_scale_kernelILi32ELi32EfPKfPfEEviiT1_T2_lllT3_llli.has_recursion, 0
	.set _ZN12_GLOBAL__N_120gemm_ex_scale_kernelILi32ELi32EfPKfPfEEviiT1_T2_lllT3_llli.has_indirect_call, 0
	.section	.AMDGPU.csdata,"",@progbits
; Kernel info:
; codeLenInByte = 472
; TotalNumSgprs: 24
; NumVgprs: 12
; ScratchSize: 0
; MemoryBound: 0
; FloatMode: 240
; IeeeMode: 1
; LDSByteSize: 0 bytes/workgroup (compile time only)
; SGPRBlocks: 0
; VGPRBlocks: 1
; NumSGPRsForWavesPerEU: 24
; NumVGPRsForWavesPerEU: 12
; Occupancy: 16
; WaveLimiterHint : 0
; COMPUTE_PGM_RSRC2:SCRATCH_EN: 0
; COMPUTE_PGM_RSRC2:USER_SGPR: 2
; COMPUTE_PGM_RSRC2:TRAP_HANDLER: 0
; COMPUTE_PGM_RSRC2:TGID_X_EN: 1
; COMPUTE_PGM_RSRC2:TGID_Y_EN: 1
; COMPUTE_PGM_RSRC2:TGID_Z_EN: 1
; COMPUTE_PGM_RSRC2:TIDIG_COMP_CNT: 1
	.section	.text._ZN12_GLOBAL__N_127rocblas_gemm_batched_kernelIfLi16ELi16ELi64ELi64ELi4ELi64ELi4ELi4ELi64ELc78ELc78EKfS1_fEEvlllT_PT11_llS4_llS2_PT12_llPT13_lli,"axG",@progbits,_ZN12_GLOBAL__N_127rocblas_gemm_batched_kernelIfLi16ELi16ELi64ELi64ELi4ELi64ELi4ELi4ELi64ELc78ELc78EKfS1_fEEvlllT_PT11_llS4_llS2_PT12_llPT13_lli,comdat
	.globl	_ZN12_GLOBAL__N_127rocblas_gemm_batched_kernelIfLi16ELi16ELi64ELi64ELi4ELi64ELi4ELi4ELi64ELc78ELc78EKfS1_fEEvlllT_PT11_llS4_llS2_PT12_llPT13_lli ; -- Begin function _ZN12_GLOBAL__N_127rocblas_gemm_batched_kernelIfLi16ELi16ELi64ELi64ELi4ELi64ELi4ELi4ELi64ELc78ELc78EKfS1_fEEvlllT_PT11_llS4_llS2_PT12_llPT13_lli
	.p2align	8
	.type	_ZN12_GLOBAL__N_127rocblas_gemm_batched_kernelIfLi16ELi16ELi64ELi64ELi4ELi64ELi4ELi4ELi64ELc78ELc78EKfS1_fEEvlllT_PT11_llS4_llS2_PT12_llPT13_lli,@function
_ZN12_GLOBAL__N_127rocblas_gemm_batched_kernelIfLi16ELi16ELi64ELi64ELi4ELi64ELi4ELi4ELi64ELc78ELc78EKfS1_fEEvlllT_PT11_llS4_llS2_PT12_llPT13_lli: ; @_ZN12_GLOBAL__N_127rocblas_gemm_batched_kernelIfLi16ELi16ELi64ELi64ELi4ELi64ELi4ELi4ELi64ELc78ELc78EKfS1_fEEvlllT_PT11_llS4_llS2_PT12_llPT13_lli
; %bb.0:
	s_load_b32 s31, s[0:1], 0x88
	s_lshr_b32 s2, ttmp7, 16
	s_wait_kmcnt 0x0
	s_cmp_ge_i32 s2, s31
	s_cbranch_scc1 .LBB31_10
; %bb.1:
	v_bfe_u32 v1, v0, 10, 10
	s_clause 0x1
	s_load_b96 s[28:30], s[0:1], 0x10
	s_load_b256 s[4:11], s[0:1], 0x58
	v_and_b32_e32 v16, 0x3ff, v0
	s_clause 0x3
	s_load_b256 s[12:19], s[0:1], 0x20
	s_load_b128 s[20:23], s[0:1], 0x78
	s_load_b128 s[24:27], s[0:1], 0x40
	s_load_b32 s1, s[0:1], 0x50
	v_lshlrev_b32_e32 v8, 4, v1
	v_lshlrev_b32_e32 v0, 2, v0
	s_lshl_b32 s3, ttmp7, 6
	s_mov_b32 s34, ttmp9
	s_and_b32 s0, s3, 0x3fffc0
	v_add_nc_u32_e32 v2, v8, v16
	v_and_b32_e32 v20, 12, v0
	v_add_nc_u32_e32 v9, s0, v1
	s_ashr_i32 s35, ttmp9, 31
	v_add_nc_u32_e32 v15, 0x400, v8
	v_and_b32_e32 v21, 63, v2
	v_lshrrev_b32_e32 v3, 2, v2
	v_lshrrev_b32_e32 v17, 6, v2
	s_lshl_b64 s[34:35], s[34:35], 6
	s_mov_b32 s3, 0
	v_lshlrev_b32_e32 v2, 2, v21
	v_lshl_or_b32 v4, v3, 4, v20
	v_add_nc_u32_e32 v10, s0, v3
	s_wait_kmcnt 0x0
	v_mad_co_u64_u32 v[0:1], null, v9, s6, 0
	v_lshl_or_b32 v12, v17, 8, v2
	v_add_nc_u32_e32 v13, 0x400, v4
	v_mad_co_u64_u32 v[4:5], null, v9, s20, 0
	v_mad_co_u64_u32 v[2:3], null, s24, v10, 0
	s_cmp_eq_f32 s1, 0
	s_cselect_b32 s24, -1, 0
	v_mad_co_u64_u32 v[6:7], null, v9, s7, v[1:2]
	v_mov_b32_e32 v1, v5
	v_mad_co_u64_u32 v[10:11], null, s25, v10, v[3:4]
	v_lshlrev_b32_e32 v14, 2, v16
	v_add_co_u32 v18, s0, s34, v16
	s_delay_alu instid0(VALU_DEP_4)
	v_mad_co_u64_u32 v[7:8], null, v9, s21, v[1:2]
	v_mad_co_u64_u32 v[8:9], null, s14, v17, s[34:35]
	v_mov_b32_e32 v1, v6
	v_mov_b32_e32 v3, v10
	s_wait_alu 0xf1ff
	v_add_co_ci_u32_e64 v19, null, s35, 0, s0
	v_mov_b32_e32 v5, v7
	v_lshlrev_b64_e32 v[0:1], 2, v[0:1]
	v_mov_b32_e32 v6, v9
	v_cmp_gt_i64_e64 s0, s[28:29], 0
	s_lshl_b64 s[20:21], s[20:21], 4
	v_lshlrev_b64_e32 v[4:5], 2, v[4:5]
	s_lshl_b64 s[34:35], s[6:7], 4
	v_mad_co_u64_u32 v[6:7], null, s15, v17, v[6:7]
	v_add_co_u32 v16, vcc_lo, s4, v0
	s_delay_alu instid0(VALU_DEP_1)
	v_add_co_ci_u32_e64 v17, null, s5, v1, vcc_lo
	v_lshlrev_b64_e32 v[0:1], 2, v[2:3]
	v_add_co_u32 v2, vcc_lo, v8, v21
	s_wait_alu 0xfffd
	v_add_co_ci_u32_e64 v3, null, 0, v6, vcc_lo
	v_cndmask_b32_e64 v8, 0, 1, s0
	s_delay_alu instid0(VALU_DEP_4) | instskip(NEXT) | instid1(VALU_DEP_3)
	v_add_co_u32 v0, vcc_lo, v0, v20
	v_lshlrev_b64_e32 v[2:3], 2, v[2:3]
	s_wait_alu 0xfffd
	v_add_co_ci_u32_e64 v1, null, 0, v1, vcc_lo
	s_delay_alu instid0(VALU_DEP_3) | instskip(SKIP_2) | instid1(VALU_DEP_3)
	v_add_co_u32 v0, vcc_lo, s18, v0
	v_lshlrev_b64_e32 v[6:7], 2, v[18:19]
	s_wait_alu 0xfffd
	v_add_co_ci_u32_e64 v1, null, s19, v1, vcc_lo
	v_add_co_u32 v2, vcc_lo, s12, v2
	s_wait_alu 0xfffd
	v_add_co_ci_u32_e64 v3, null, s13, v3, vcc_lo
	v_cmp_ne_u32_e64 s0, 1, v8
	s_lshl_b64 s[4:5], s[26:27], 2
	s_lshl_b64 s[6:7], s[16:17], 2
	;; [unrolled: 1-line block ×3, first 2 shown]
	s_wait_alu 0xfffe
	s_lshl_b64 s[14:15], s[34:35], 2
	s_lshl_b64 s[16:17], s[20:21], 2
	s_branch .LBB31_3
.LBB31_2:                               ;   in Loop: Header=BB31_3 Depth=1
	s_add_co_i32 s2, s2, 0x10000
	s_wait_alu 0xfffe
	s_cmp_lt_i32 s2, s31
	s_cbranch_scc0 .LBB31_10
.LBB31_3:                               ; =>This Loop Header: Depth=1
                                        ;     Child Loop BB31_5 Depth 2
	v_dual_mov_b32 v33, 0 :: v_dual_mov_b32 v32, 0
	v_dual_mov_b32 v31, 0 :: v_dual_mov_b32 v30, 0
	;; [unrolled: 1-line block ×8, first 2 shown]
	s_and_b32 vcc_lo, exec_lo, s0
	s_wait_alu 0xfffe
	s_cbranch_vccnz .LBB31_6
; %bb.4:                                ;   in Loop: Header=BB31_3 Depth=1
	v_mad_co_u64_u32 v[8:9], null, s4, s2, v[0:1]
	v_mad_co_u64_u32 v[10:11], null, s6, s2, v[2:3]
	v_dual_mov_b32 v18, 0 :: v_dual_mov_b32 v19, 0
	v_dual_mov_b32 v20, 0 :: v_dual_mov_b32 v21, 0
	;; [unrolled: 1-line block ×3, first 2 shown]
	s_delay_alu instid0(VALU_DEP_4) | instskip(SKIP_3) | instid1(VALU_DEP_4)
	v_mad_co_u64_u32 v[28:29], null, s5, s2, v[9:10]
	v_mad_co_u64_u32 v[29:30], null, s7, s2, v[11:12]
	v_dual_mov_b32 v24, 0 :: v_dual_mov_b32 v25, 0
	v_dual_mov_b32 v26, 0 :: v_dual_mov_b32 v27, 0
	;; [unrolled: 1-line block ×3, first 2 shown]
	s_delay_alu instid0(VALU_DEP_4)
	v_dual_mov_b32 v11, v29 :: v_dual_mov_b32 v30, 0
	v_dual_mov_b32 v29, 0 :: v_dual_mov_b32 v32, 0
	v_mov_b32_e32 v31, 0
	v_mov_b32_e32 v33, 0
	s_mov_b64 s[18:19], 0
.LBB31_5:                               ;   Parent Loop BB31_3 Depth=1
                                        ; =>  This Inner Loop Header: Depth=2
	global_load_b32 v34, v[10:11], off
	global_load_b32 v35, v[8:9], off
	s_wait_alu 0xfffe
	s_add_nc_u64 s[18:19], s[18:19], 4
	v_add_co_u32 v8, vcc_lo, v8, 16
	s_wait_alu 0xfffe
	v_cmp_lt_i64_e64 s20, s[18:19], s[28:29]
	s_wait_alu 0xfffd
	v_add_co_ci_u32_e64 v9, null, 0, v9, vcc_lo
	v_add_co_u32 v10, vcc_lo, v10, s12
	s_wait_alu 0xfffd
	v_add_co_ci_u32_e64 v11, null, s13, v11, vcc_lo
	s_and_b32 vcc_lo, exec_lo, s20
	s_wait_loadcnt 0x1
	ds_store_b32 v12, v34
	s_wait_loadcnt 0x0
	ds_store_b32 v13, v35
	s_wait_dscnt 0x0
	s_barrier_signal -1
	s_barrier_wait -1
	global_inv scope:SCOPE_SE
	ds_load_b128 v[34:37], v15
	ds_load_2addr_b32 v[50:51], v14 offset1:16
	ds_load_2addr_b32 v[52:53], v14 offset0:32 offset1:48
	ds_load_b128 v[38:41], v15 offset:256
	ds_load_b128 v[42:45], v15 offset:512
	;; [unrolled: 1-line block ×3, first 2 shown]
	ds_load_2addr_b32 v[54:55], v14 offset0:64 offset1:80
	ds_load_2addr_b32 v[56:57], v14 offset0:96 offset1:112
	;; [unrolled: 1-line block ×6, first 2 shown]
	s_wait_loadcnt_dscnt 0x0
	s_barrier_signal -1
	s_barrier_wait -1
	global_inv scope:SCOPE_SE
	v_fmac_f32_e32 v32, v51, v34
	v_fmac_f32_e32 v33, v50, v34
	;; [unrolled: 1-line block ×15, first 2 shown]
	v_dual_fmac_f32 v19, v52, v46 :: v_dual_fmac_f32 v32, v55, v35
	v_fmac_f32_e32 v33, v54, v35
	v_fmac_f32_e32 v30, v57, v35
	v_fmac_f32_e32 v31, v56, v35
	v_fmac_f32_e32 v28, v55, v39
	v_fmac_f32_e32 v29, v54, v39
	v_fmac_f32_e32 v26, v57, v39
	v_fmac_f32_e32 v27, v56, v39
	v_fmac_f32_e32 v24, v55, v43
	v_fmac_f32_e32 v25, v54, v43
	v_fmac_f32_e32 v22, v57, v43
	v_fmac_f32_e32 v23, v56, v43
	v_fmac_f32_e32 v20, v55, v47
	v_fmac_f32_e32 v21, v54, v47
	v_fmac_f32_e32 v18, v57, v47
	v_dual_fmac_f32 v19, v56, v47 :: v_dual_fmac_f32 v32, v59, v36
	v_fmac_f32_e32 v33, v58, v36
	v_fmac_f32_e32 v30, v61, v36
	v_fmac_f32_e32 v31, v60, v36
	v_fmac_f32_e32 v28, v59, v40
	v_fmac_f32_e32 v29, v58, v40
	v_fmac_f32_e32 v26, v61, v40
	v_fmac_f32_e32 v27, v60, v40
	v_fmac_f32_e32 v24, v59, v44
	v_fmac_f32_e32 v25, v58, v44
	v_fmac_f32_e32 v22, v61, v44
	v_fmac_f32_e32 v23, v60, v44
	v_fmac_f32_e32 v20, v59, v48
	v_fmac_f32_e32 v21, v58, v48
	v_fmac_f32_e32 v18, v61, v48
	;; [unrolled: 15-line block ×3, first 2 shown]
	v_fmac_f32_e32 v19, v64, v49
	s_wait_alu 0xfffe
	s_cbranch_vccnz .LBB31_5
.LBB31_6:                               ;   in Loop: Header=BB31_3 Depth=1
	s_mul_u64 s[18:19], s[22:23], s[2:3]
	s_and_not1_b32 vcc_lo, exec_lo, s24
	s_wait_alu 0xfffe
	s_lshl_b64 s[18:19], s[18:19], 2
	s_wait_alu 0xfffe
	s_add_nc_u64 s[18:19], s[10:11], s[18:19]
	s_cbranch_vccnz .LBB31_8
; %bb.7:                                ;   in Loop: Header=BB31_3 Depth=1
	s_wait_alu 0xfffe
	v_add_co_u32 v10, vcc_lo, s18, v4
	s_wait_alu 0xfffd
	v_add_co_ci_u32_e64 v11, null, s19, v5, vcc_lo
	v_dual_mul_f32 v34, s30, v33 :: v_dual_mul_f32 v35, s30, v32
	s_delay_alu instid0(VALU_DEP_3) | instskip(SKIP_1) | instid1(VALU_DEP_3)
	v_add_co_u32 v8, vcc_lo, v10, v6
	s_wait_alu 0xfffd
	v_add_co_ci_u32_e64 v9, null, v11, v7, vcc_lo
	v_add_co_u32 v10, vcc_lo, v10, s16
	v_dual_mul_f32 v36, s30, v31 :: v_dual_mul_f32 v37, s30, v30
	s_wait_alu 0xfffd
	v_add_co_ci_u32_e64 v11, null, s17, v11, vcc_lo
	s_clause 0x3
	global_store_b32 v[8:9], v34, off
	global_store_b32 v[8:9], v35, off offset:64
	global_store_b32 v[8:9], v36, off offset:128
	;; [unrolled: 1-line block ×3, first 2 shown]
	v_add_co_u32 v8, vcc_lo, v10, v6
	s_wait_alu 0xfffd
	v_add_co_ci_u32_e64 v9, null, v11, v7, vcc_lo
	v_add_co_u32 v38, vcc_lo, v10, s16
	s_wait_alu 0xfffd
	v_add_co_ci_u32_e64 v39, null, s17, v11, vcc_lo
	v_dual_mul_f32 v34, s30, v29 :: v_dual_mul_f32 v35, s30, v28
	v_dual_mul_f32 v36, s30, v27 :: v_dual_mul_f32 v37, s30, v26
	v_add_co_u32 v10, vcc_lo, v38, v6
	v_dual_mul_f32 v40, s30, v25 :: v_dual_mul_f32 v41, s30, v24
	s_wait_alu 0xfffd
	v_add_co_ci_u32_e64 v11, null, v39, v7, vcc_lo
	v_dual_mul_f32 v42, s30, v23 :: v_dual_mul_f32 v43, s30, v22
	s_clause 0x7
	global_store_b32 v[8:9], v34, off
	global_store_b32 v[8:9], v35, off offset:64
	global_store_b32 v[8:9], v36, off offset:128
	;; [unrolled: 1-line block ×3, first 2 shown]
	global_store_b32 v[10:11], v40, off
	global_store_b32 v[10:11], v41, off offset:64
	global_store_b32 v[10:11], v42, off offset:128
	;; [unrolled: 1-line block ×3, first 2 shown]
	v_add_co_u32 v8, vcc_lo, v38, s16
	s_wait_alu 0xfffd
	v_add_co_ci_u32_e64 v9, null, s17, v39, vcc_lo
	v_dual_mul_f32 v10, s30, v21 :: v_dual_mul_f32 v11, s30, v20
	s_delay_alu instid0(VALU_DEP_3) | instskip(SKIP_1) | instid1(VALU_DEP_3)
	v_add_co_u32 v8, vcc_lo, v8, v6
	s_wait_alu 0xfffd
	v_add_co_ci_u32_e64 v9, null, v9, v7, vcc_lo
	v_dual_mul_f32 v34, s30, v19 :: v_dual_mul_f32 v35, s30, v18
	s_clause 0x3
	global_store_b32 v[8:9], v10, off
	global_store_b32 v[8:9], v11, off offset:64
	global_store_b32 v[8:9], v34, off offset:128
	;; [unrolled: 1-line block ×3, first 2 shown]
	s_cbranch_execnz .LBB31_2
	s_branch .LBB31_9
.LBB31_8:                               ;   in Loop: Header=BB31_3 Depth=1
.LBB31_9:                               ;   in Loop: Header=BB31_3 Depth=1
	s_mul_u64 s[20:21], s[8:9], s[2:3]
	s_wait_alu 0xfffe
	s_lshl_b64 s[20:21], s[20:21], 2
	s_wait_alu 0xfffe
	v_add_co_u32 v34, vcc_lo, v16, s20
	s_wait_alu 0xfffd
	v_add_co_ci_u32_e64 v35, null, s21, v17, vcc_lo
	s_delay_alu instid0(VALU_DEP_2) | instskip(SKIP_1) | instid1(VALU_DEP_2)
	v_add_co_u32 v8, vcc_lo, v34, v6
	s_wait_alu 0xfffd
	v_add_co_ci_u32_e64 v9, null, v35, v7, vcc_lo
	v_add_co_u32 v36, vcc_lo, s18, v4
	s_wait_alu 0xfffd
	v_add_co_ci_u32_e64 v37, null, s19, v5, vcc_lo
	global_load_b32 v10, v[8:9], off
	s_wait_loadcnt 0x0
	v_mul_f32_e32 v38, s1, v10
	v_add_co_u32 v10, vcc_lo, v36, v6
	s_wait_alu 0xfffd
	v_add_co_ci_u32_e64 v11, null, v37, v7, vcc_lo
	s_delay_alu instid0(VALU_DEP_3) | instskip(SKIP_4) | instid1(VALU_DEP_1)
	v_fmac_f32_e32 v38, s30, v33
	global_store_b32 v[10:11], v38, off
	global_load_b32 v33, v[8:9], off offset:64
	s_wait_loadcnt 0x0
	v_mul_f32_e32 v33, s1, v33
	v_fmac_f32_e32 v33, s30, v32
	global_store_b32 v[10:11], v33, off offset:64
	global_load_b32 v32, v[8:9], off offset:128
	s_wait_loadcnt 0x0
	v_mul_f32_e32 v32, s1, v32
	s_delay_alu instid0(VALU_DEP_1)
	v_fmac_f32_e32 v32, s30, v31
	global_store_b32 v[10:11], v32, off offset:128
	global_load_b32 v8, v[8:9], off offset:192
	v_add_co_u32 v32, vcc_lo, v34, s14
	s_wait_alu 0xfffd
	v_add_co_ci_u32_e64 v33, null, s15, v35, vcc_lo
	s_wait_loadcnt 0x0
	v_mul_f32_e32 v31, s1, v8
	v_add_co_u32 v8, vcc_lo, v32, v6
	s_wait_alu 0xfffd
	v_add_co_ci_u32_e64 v9, null, v33, v7, vcc_lo
	s_delay_alu instid0(VALU_DEP_3)
	v_fmac_f32_e32 v31, s30, v30
	v_add_co_u32 v30, vcc_lo, v36, s16
	global_store_b32 v[10:11], v31, off offset:192
	global_load_b32 v10, v[8:9], off
	s_wait_alu 0xfffd
	v_add_co_ci_u32_e64 v31, null, s17, v37, vcc_lo
	s_wait_loadcnt 0x0
	v_mul_f32_e32 v34, s1, v10
	v_add_co_u32 v10, vcc_lo, v30, v6
	s_wait_alu 0xfffd
	v_add_co_ci_u32_e64 v11, null, v31, v7, vcc_lo
	s_delay_alu instid0(VALU_DEP_3) | instskip(SKIP_4) | instid1(VALU_DEP_1)
	v_fmac_f32_e32 v34, s30, v29
	global_store_b32 v[10:11], v34, off
	global_load_b32 v29, v[8:9], off offset:64
	s_wait_loadcnt 0x0
	v_mul_f32_e32 v29, s1, v29
	v_fmac_f32_e32 v29, s30, v28
	global_store_b32 v[10:11], v29, off offset:64
	global_load_b32 v28, v[8:9], off offset:128
	s_wait_loadcnt 0x0
	v_mul_f32_e32 v28, s1, v28
	s_delay_alu instid0(VALU_DEP_1)
	v_fmac_f32_e32 v28, s30, v27
	global_store_b32 v[10:11], v28, off offset:128
	global_load_b32 v8, v[8:9], off offset:192
	v_add_co_u32 v28, vcc_lo, v32, s14
	s_wait_alu 0xfffd
	v_add_co_ci_u32_e64 v29, null, s15, v33, vcc_lo
	s_wait_loadcnt 0x0
	v_mul_f32_e32 v27, s1, v8
	v_add_co_u32 v8, vcc_lo, v28, v6
	s_wait_alu 0xfffd
	v_add_co_ci_u32_e64 v9, null, v29, v7, vcc_lo
	s_delay_alu instid0(VALU_DEP_3)
	v_fmac_f32_e32 v27, s30, v26
	v_add_co_u32 v26, vcc_lo, v30, s16
	global_store_b32 v[10:11], v27, off offset:192
	global_load_b32 v10, v[8:9], off
	s_wait_alu 0xfffd
	v_add_co_ci_u32_e64 v27, null, s17, v31, vcc_lo
	s_wait_loadcnt 0x0
	v_mul_f32_e32 v30, s1, v10
	v_add_co_u32 v10, vcc_lo, v26, v6
	s_wait_alu 0xfffd
	v_add_co_ci_u32_e64 v11, null, v27, v7, vcc_lo
	s_delay_alu instid0(VALU_DEP_3) | instskip(SKIP_4) | instid1(VALU_DEP_1)
	v_fmac_f32_e32 v30, s30, v25
	global_store_b32 v[10:11], v30, off
	global_load_b32 v25, v[8:9], off offset:64
	s_wait_loadcnt 0x0
	v_mul_f32_e32 v25, s1, v25
	v_fmac_f32_e32 v25, s30, v24
	global_store_b32 v[10:11], v25, off offset:64
	global_load_b32 v24, v[8:9], off offset:128
	s_wait_loadcnt 0x0
	v_mul_f32_e32 v24, s1, v24
	s_delay_alu instid0(VALU_DEP_1)
	v_fmac_f32_e32 v24, s30, v23
	global_store_b32 v[10:11], v24, off offset:128
	global_load_b32 v8, v[8:9], off offset:192
	s_wait_loadcnt 0x0
	v_mul_f32_e32 v23, s1, v8
	v_add_co_u32 v8, vcc_lo, v28, s14
	s_wait_alu 0xfffd
	v_add_co_ci_u32_e64 v9, null, s15, v29, vcc_lo
	s_delay_alu instid0(VALU_DEP_3) | instskip(NEXT) | instid1(VALU_DEP_3)
	v_fmac_f32_e32 v23, s30, v22
	v_add_co_u32 v8, vcc_lo, v8, v6
	s_wait_alu 0xfffd
	s_delay_alu instid0(VALU_DEP_3)
	v_add_co_ci_u32_e64 v9, null, v9, v7, vcc_lo
	global_store_b32 v[10:11], v23, off offset:192
	global_load_b32 v10, v[8:9], off
	s_wait_loadcnt 0x0
	v_mul_f32_e32 v22, s1, v10
	v_add_co_u32 v10, vcc_lo, v26, s16
	s_wait_alu 0xfffd
	v_add_co_ci_u32_e64 v11, null, s17, v27, vcc_lo
	s_delay_alu instid0(VALU_DEP_3) | instskip(NEXT) | instid1(VALU_DEP_3)
	v_fmac_f32_e32 v22, s30, v21
	v_add_co_u32 v10, vcc_lo, v10, v6
	s_wait_alu 0xfffd
	s_delay_alu instid0(VALU_DEP_3) | instskip(SKIP_4) | instid1(VALU_DEP_1)
	v_add_co_ci_u32_e64 v11, null, v11, v7, vcc_lo
	global_store_b32 v[10:11], v22, off
	global_load_b32 v21, v[8:9], off offset:64
	s_wait_loadcnt 0x0
	v_mul_f32_e32 v21, s1, v21
	v_fmac_f32_e32 v21, s30, v20
	global_store_b32 v[10:11], v21, off offset:64
	global_load_b32 v20, v[8:9], off offset:128
	s_wait_loadcnt 0x0
	v_mul_f32_e32 v20, s1, v20
	s_delay_alu instid0(VALU_DEP_1) | instskip(SKIP_4) | instid1(VALU_DEP_1)
	v_fmac_f32_e32 v20, s30, v19
	global_store_b32 v[10:11], v20, off offset:128
	global_load_b32 v8, v[8:9], off offset:192
	s_wait_loadcnt 0x0
	v_mul_f32_e32 v8, s1, v8
	v_fmac_f32_e32 v8, s30, v18
	global_store_b32 v[10:11], v8, off offset:192
	s_branch .LBB31_2
.LBB31_10:
	s_endpgm
	.section	.rodata,"a",@progbits
	.p2align	6, 0x0
	.amdhsa_kernel _ZN12_GLOBAL__N_127rocblas_gemm_batched_kernelIfLi16ELi16ELi64ELi64ELi4ELi64ELi4ELi4ELi64ELc78ELc78EKfS1_fEEvlllT_PT11_llS4_llS2_PT12_llPT13_lli
		.amdhsa_group_segment_fixed_size 2048
		.amdhsa_private_segment_fixed_size 0
		.amdhsa_kernarg_size 140
		.amdhsa_user_sgpr_count 2
		.amdhsa_user_sgpr_dispatch_ptr 0
		.amdhsa_user_sgpr_queue_ptr 0
		.amdhsa_user_sgpr_kernarg_segment_ptr 1
		.amdhsa_user_sgpr_dispatch_id 0
		.amdhsa_user_sgpr_private_segment_size 0
		.amdhsa_wavefront_size32 1
		.amdhsa_uses_dynamic_stack 0
		.amdhsa_enable_private_segment 0
		.amdhsa_system_sgpr_workgroup_id_x 1
		.amdhsa_system_sgpr_workgroup_id_y 1
		.amdhsa_system_sgpr_workgroup_id_z 1
		.amdhsa_system_sgpr_workgroup_info 0
		.amdhsa_system_vgpr_workitem_id 1
		.amdhsa_next_free_vgpr 66
		.amdhsa_next_free_sgpr 36
		.amdhsa_reserve_vcc 1
		.amdhsa_float_round_mode_32 0
		.amdhsa_float_round_mode_16_64 0
		.amdhsa_float_denorm_mode_32 3
		.amdhsa_float_denorm_mode_16_64 3
		.amdhsa_fp16_overflow 0
		.amdhsa_workgroup_processor_mode 1
		.amdhsa_memory_ordered 1
		.amdhsa_forward_progress 1
		.amdhsa_inst_pref_size 22
		.amdhsa_round_robin_scheduling 0
		.amdhsa_exception_fp_ieee_invalid_op 0
		.amdhsa_exception_fp_denorm_src 0
		.amdhsa_exception_fp_ieee_div_zero 0
		.amdhsa_exception_fp_ieee_overflow 0
		.amdhsa_exception_fp_ieee_underflow 0
		.amdhsa_exception_fp_ieee_inexact 0
		.amdhsa_exception_int_div_zero 0
	.end_amdhsa_kernel
	.section	.text._ZN12_GLOBAL__N_127rocblas_gemm_batched_kernelIfLi16ELi16ELi64ELi64ELi4ELi64ELi4ELi4ELi64ELc78ELc78EKfS1_fEEvlllT_PT11_llS4_llS2_PT12_llPT13_lli,"axG",@progbits,_ZN12_GLOBAL__N_127rocblas_gemm_batched_kernelIfLi16ELi16ELi64ELi64ELi4ELi64ELi4ELi4ELi64ELc78ELc78EKfS1_fEEvlllT_PT11_llS4_llS2_PT12_llPT13_lli,comdat
.Lfunc_end31:
	.size	_ZN12_GLOBAL__N_127rocblas_gemm_batched_kernelIfLi16ELi16ELi64ELi64ELi4ELi64ELi4ELi4ELi64ELc78ELc78EKfS1_fEEvlllT_PT11_llS4_llS2_PT12_llPT13_lli, .Lfunc_end31-_ZN12_GLOBAL__N_127rocblas_gemm_batched_kernelIfLi16ELi16ELi64ELi64ELi4ELi64ELi4ELi4ELi64ELc78ELc78EKfS1_fEEvlllT_PT11_llS4_llS2_PT12_llPT13_lli
                                        ; -- End function
	.set _ZN12_GLOBAL__N_127rocblas_gemm_batched_kernelIfLi16ELi16ELi64ELi64ELi4ELi64ELi4ELi4ELi64ELc78ELc78EKfS1_fEEvlllT_PT11_llS4_llS2_PT12_llPT13_lli.num_vgpr, 66
	.set _ZN12_GLOBAL__N_127rocblas_gemm_batched_kernelIfLi16ELi16ELi64ELi64ELi4ELi64ELi4ELi4ELi64ELc78ELc78EKfS1_fEEvlllT_PT11_llS4_llS2_PT12_llPT13_lli.num_agpr, 0
	.set _ZN12_GLOBAL__N_127rocblas_gemm_batched_kernelIfLi16ELi16ELi64ELi64ELi4ELi64ELi4ELi4ELi64ELc78ELc78EKfS1_fEEvlllT_PT11_llS4_llS2_PT12_llPT13_lli.numbered_sgpr, 36
	.set _ZN12_GLOBAL__N_127rocblas_gemm_batched_kernelIfLi16ELi16ELi64ELi64ELi4ELi64ELi4ELi4ELi64ELc78ELc78EKfS1_fEEvlllT_PT11_llS4_llS2_PT12_llPT13_lli.num_named_barrier, 0
	.set _ZN12_GLOBAL__N_127rocblas_gemm_batched_kernelIfLi16ELi16ELi64ELi64ELi4ELi64ELi4ELi4ELi64ELc78ELc78EKfS1_fEEvlllT_PT11_llS4_llS2_PT12_llPT13_lli.private_seg_size, 0
	.set _ZN12_GLOBAL__N_127rocblas_gemm_batched_kernelIfLi16ELi16ELi64ELi64ELi4ELi64ELi4ELi4ELi64ELc78ELc78EKfS1_fEEvlllT_PT11_llS4_llS2_PT12_llPT13_lli.uses_vcc, 1
	.set _ZN12_GLOBAL__N_127rocblas_gemm_batched_kernelIfLi16ELi16ELi64ELi64ELi4ELi64ELi4ELi4ELi64ELc78ELc78EKfS1_fEEvlllT_PT11_llS4_llS2_PT12_llPT13_lli.uses_flat_scratch, 0
	.set _ZN12_GLOBAL__N_127rocblas_gemm_batched_kernelIfLi16ELi16ELi64ELi64ELi4ELi64ELi4ELi4ELi64ELc78ELc78EKfS1_fEEvlllT_PT11_llS4_llS2_PT12_llPT13_lli.has_dyn_sized_stack, 0
	.set _ZN12_GLOBAL__N_127rocblas_gemm_batched_kernelIfLi16ELi16ELi64ELi64ELi4ELi64ELi4ELi4ELi64ELc78ELc78EKfS1_fEEvlllT_PT11_llS4_llS2_PT12_llPT13_lli.has_recursion, 0
	.set _ZN12_GLOBAL__N_127rocblas_gemm_batched_kernelIfLi16ELi16ELi64ELi64ELi4ELi64ELi4ELi4ELi64ELc78ELc78EKfS1_fEEvlllT_PT11_llS4_llS2_PT12_llPT13_lli.has_indirect_call, 0
	.section	.AMDGPU.csdata,"",@progbits
; Kernel info:
; codeLenInByte = 2692
; TotalNumSgprs: 38
; NumVgprs: 66
; ScratchSize: 0
; MemoryBound: 0
; FloatMode: 240
; IeeeMode: 1
; LDSByteSize: 2048 bytes/workgroup (compile time only)
; SGPRBlocks: 0
; VGPRBlocks: 8
; NumSGPRsForWavesPerEU: 38
; NumVGPRsForWavesPerEU: 66
; Occupancy: 16
; WaveLimiterHint : 0
; COMPUTE_PGM_RSRC2:SCRATCH_EN: 0
; COMPUTE_PGM_RSRC2:USER_SGPR: 2
; COMPUTE_PGM_RSRC2:TRAP_HANDLER: 0
; COMPUTE_PGM_RSRC2:TGID_X_EN: 1
; COMPUTE_PGM_RSRC2:TGID_Y_EN: 1
; COMPUTE_PGM_RSRC2:TGID_Z_EN: 1
; COMPUTE_PGM_RSRC2:TIDIG_COMP_CNT: 1
	.section	.text._ZN12_GLOBAL__N_127rocblas_gemm_batched_kernelIfLi16ELi16ELi64ELi64ELi4ELi64ELi4ELi4ELi64ELc84ELc78EKfS1_fEEvlllT_PT11_llS4_llS2_PT12_llPT13_lli,"axG",@progbits,_ZN12_GLOBAL__N_127rocblas_gemm_batched_kernelIfLi16ELi16ELi64ELi64ELi4ELi64ELi4ELi4ELi64ELc84ELc78EKfS1_fEEvlllT_PT11_llS4_llS2_PT12_llPT13_lli,comdat
	.globl	_ZN12_GLOBAL__N_127rocblas_gemm_batched_kernelIfLi16ELi16ELi64ELi64ELi4ELi64ELi4ELi4ELi64ELc84ELc78EKfS1_fEEvlllT_PT11_llS4_llS2_PT12_llPT13_lli ; -- Begin function _ZN12_GLOBAL__N_127rocblas_gemm_batched_kernelIfLi16ELi16ELi64ELi64ELi4ELi64ELi4ELi4ELi64ELc84ELc78EKfS1_fEEvlllT_PT11_llS4_llS2_PT12_llPT13_lli
	.p2align	8
	.type	_ZN12_GLOBAL__N_127rocblas_gemm_batched_kernelIfLi16ELi16ELi64ELi64ELi4ELi64ELi4ELi4ELi64ELc84ELc78EKfS1_fEEvlllT_PT11_llS4_llS2_PT12_llPT13_lli,@function
_ZN12_GLOBAL__N_127rocblas_gemm_batched_kernelIfLi16ELi16ELi64ELi64ELi4ELi64ELi4ELi4ELi64ELc84ELc78EKfS1_fEEvlllT_PT11_llS4_llS2_PT12_llPT13_lli: ; @_ZN12_GLOBAL__N_127rocblas_gemm_batched_kernelIfLi16ELi16ELi64ELi64ELi4ELi64ELi4ELi4ELi64ELc84ELc78EKfS1_fEEvlllT_PT11_llS4_llS2_PT12_llPT13_lli
; %bb.0:
	s_load_b32 s31, s[0:1], 0x88
	s_lshr_b32 s2, ttmp7, 16
	s_wait_kmcnt 0x0
	s_cmp_ge_i32 s2, s31
	s_cbranch_scc1 .LBB32_10
; %bb.1:
	v_bfe_u32 v1, v0, 10, 10
	s_clause 0x1
	s_load_b96 s[28:30], s[0:1], 0x10
	s_load_b256 s[4:11], s[0:1], 0x58
	v_and_b32_e32 v10, 0x3ff, v0
	s_clause 0x3
	s_load_b256 s[12:19], s[0:1], 0x20
	s_load_b128 s[20:23], s[0:1], 0x78
	s_load_b128 s[24:27], s[0:1], 0x40
	s_load_b32 s1, s[0:1], 0x50
	v_lshlrev_b32_e32 v8, 4, v1
	v_lshlrev_b32_e32 v0, 2, v0
	s_lshl_b32 s3, ttmp7, 6
	s_mov_b32 s34, ttmp9
	s_and_b32 s0, s3, 0x3fffc0
	v_add_nc_u32_e32 v2, v8, v10
	v_and_b32_e32 v11, 12, v0
	v_add_nc_u32_e32 v9, s0, v1
	v_add_nc_u32_e32 v15, 0x400, v8
	s_ashr_i32 s35, ttmp9, 31
	v_and_b32_e32 v16, 63, v2
	v_lshrrev_b32_e32 v3, 2, v2
	v_lshrrev_b32_e32 v18, 6, v2
	s_lshl_b64 s[34:35], s[34:35], 6
	s_mov_b32 s3, 0
	v_lshlrev_b32_e32 v2, 2, v16
	v_lshl_or_b32 v4, v3, 4, v11
	v_add_nc_u32_e32 v17, s0, v3
	s_wait_kmcnt 0x0
	v_mad_co_u64_u32 v[0:1], null, v9, s6, 0
	v_lshl_or_b32 v12, v18, 8, v2
	v_add_nc_u32_e32 v13, 0x400, v4
	v_mad_co_u64_u32 v[4:5], null, v9, s20, 0
	v_mad_co_u64_u32 v[2:3], null, s24, v17, 0
	s_cmp_eq_f32 s1, 0
	s_cselect_b32 s24, -1, 0
	s_lshl_b64 s[36:37], s[6:7], 4
	v_mad_co_u64_u32 v[6:7], null, v9, s7, v[1:2]
	v_dual_mov_b32 v1, v5 :: v_dual_lshlrev_b32 v14, 2, v10
	s_lshl_b64 s[6:7], s[16:17], 2
	s_delay_alu instid0(VALU_DEP_1) | instskip(SKIP_1) | instid1(VALU_DEP_4)
	v_mad_co_u64_u32 v[7:8], null, v9, s21, v[1:2]
	v_mad_co_u64_u32 v[8:9], null, s25, v17, v[3:4]
	v_mov_b32_e32 v1, v6
	v_add_co_u32 v9, s0, s34, v10
	s_wait_alu 0xf1ff
	v_add_co_ci_u32_e64 v10, null, s35, 0, s0
	v_mov_b32_e32 v5, v7
	v_mov_b32_e32 v3, v8
	v_or_b32_e32 v6, s34, v16
	v_lshlrev_b64_e32 v[0:1], 2, v[0:1]
	s_mul_i32 s0, s14, s35
	v_lshlrev_b64_e32 v[4:5], 2, v[4:5]
	v_lshlrev_b64_e32 v[2:3], 2, v[2:3]
	v_mul_lo_u32 v8, s15, v6
	v_mad_co_u64_u32 v[6:7], null, s14, v6, 0
	v_add_co_u32 v16, vcc_lo, s4, v0
	s_delay_alu instid0(VALU_DEP_1) | instskip(SKIP_2) | instid1(VALU_DEP_4)
	v_add_co_ci_u32_e64 v17, null, s5, v1, vcc_lo
	v_add_co_u32 v0, vcc_lo, v2, v11
	s_wait_alu 0xfffe
	v_add3_u32 v7, v7, s0, v8
	s_wait_alu 0xfffd
	v_add_co_ci_u32_e64 v1, null, 0, v3, vcc_lo
	v_cmp_gt_i64_e64 s0, s[28:29], 0
	v_add_co_u32 v0, vcc_lo, s18, v0
	v_lshlrev_b64_e32 v[2:3], 2, v[6:7]
	v_lshlrev_b32_e32 v6, 2, v18
	s_wait_alu 0xfffd
	v_add_co_ci_u32_e64 v1, null, s19, v1, vcc_lo
	s_wait_alu 0xf1ff
	v_cndmask_b32_e64 v8, 0, 1, s0
	s_lshl_b64 s[20:21], s[20:21], 4
	v_add_co_u32 v2, vcc_lo, v2, v6
	s_wait_alu 0xfffd
	v_add_co_ci_u32_e64 v3, null, 0, v3, vcc_lo
	v_lshlrev_b64_e32 v[6:7], 2, v[9:10]
	s_delay_alu instid0(VALU_DEP_3) | instskip(SKIP_1) | instid1(VALU_DEP_3)
	v_add_co_u32 v2, vcc_lo, s12, v2
	s_wait_alu 0xfffd
	v_add_co_ci_u32_e64 v3, null, s13, v3, vcc_lo
	v_cmp_ne_u32_e64 s0, 1, v8
	s_lshl_b64 s[4:5], s[26:27], 2
	s_lshl_b64 s[12:13], s[36:37], 2
	s_wait_alu 0xfffe
	s_lshl_b64 s[14:15], s[20:21], 2
	s_branch .LBB32_3
.LBB32_2:                               ;   in Loop: Header=BB32_3 Depth=1
	s_add_co_i32 s2, s2, 0x10000
	s_wait_alu 0xfffe
	s_cmp_lt_i32 s2, s31
	s_cbranch_scc0 .LBB32_10
.LBB32_3:                               ; =>This Loop Header: Depth=1
                                        ;     Child Loop BB32_5 Depth 2
	v_dual_mov_b32 v33, 0 :: v_dual_mov_b32 v32, 0
	v_dual_mov_b32 v31, 0 :: v_dual_mov_b32 v30, 0
	;; [unrolled: 1-line block ×8, first 2 shown]
	s_and_b32 vcc_lo, exec_lo, s0
	s_wait_alu 0xfffe
	s_cbranch_vccnz .LBB32_6
; %bb.4:                                ;   in Loop: Header=BB32_3 Depth=1
	v_mad_co_u64_u32 v[8:9], null, s4, s2, v[0:1]
	v_mad_co_u64_u32 v[10:11], null, s6, s2, v[2:3]
	v_dual_mov_b32 v18, 0 :: v_dual_mov_b32 v19, 0
	v_dual_mov_b32 v20, 0 :: v_dual_mov_b32 v21, 0
	;; [unrolled: 1-line block ×3, first 2 shown]
	s_delay_alu instid0(VALU_DEP_4) | instskip(SKIP_3) | instid1(VALU_DEP_4)
	v_mad_co_u64_u32 v[28:29], null, s5, s2, v[9:10]
	v_mad_co_u64_u32 v[29:30], null, s7, s2, v[11:12]
	v_dual_mov_b32 v24, 0 :: v_dual_mov_b32 v25, 0
	v_dual_mov_b32 v26, 0 :: v_dual_mov_b32 v27, 0
	;; [unrolled: 1-line block ×3, first 2 shown]
	s_delay_alu instid0(VALU_DEP_4)
	v_dual_mov_b32 v11, v29 :: v_dual_mov_b32 v30, 0
	v_dual_mov_b32 v29, 0 :: v_dual_mov_b32 v32, 0
	v_mov_b32_e32 v31, 0
	v_mov_b32_e32 v33, 0
	s_mov_b64 s[16:17], 0
.LBB32_5:                               ;   Parent Loop BB32_3 Depth=1
                                        ; =>  This Inner Loop Header: Depth=2
	global_load_b32 v34, v[10:11], off
	global_load_b32 v35, v[8:9], off
	s_wait_alu 0xfffe
	s_add_nc_u64 s[16:17], s[16:17], 4
	v_add_co_u32 v8, vcc_lo, v8, 16
	s_wait_alu 0xfffe
	v_cmp_lt_i64_e64 s18, s[16:17], s[28:29]
	s_wait_alu 0xfffd
	v_add_co_ci_u32_e64 v9, null, 0, v9, vcc_lo
	v_add_co_u32 v10, vcc_lo, v10, 16
	s_wait_alu 0xfffd
	v_add_co_ci_u32_e64 v11, null, 0, v11, vcc_lo
	s_and_b32 vcc_lo, exec_lo, s18
	s_wait_loadcnt 0x1
	ds_store_b32 v12, v34
	s_wait_loadcnt 0x0
	ds_store_b32 v13, v35
	s_wait_dscnt 0x0
	s_barrier_signal -1
	s_barrier_wait -1
	global_inv scope:SCOPE_SE
	ds_load_b128 v[34:37], v15
	ds_load_2addr_b32 v[50:51], v14 offset1:16
	ds_load_2addr_b32 v[52:53], v14 offset0:32 offset1:48
	ds_load_b128 v[38:41], v15 offset:256
	ds_load_b128 v[42:45], v15 offset:512
	;; [unrolled: 1-line block ×3, first 2 shown]
	ds_load_2addr_b32 v[54:55], v14 offset0:64 offset1:80
	ds_load_2addr_b32 v[56:57], v14 offset0:96 offset1:112
	;; [unrolled: 1-line block ×6, first 2 shown]
	s_wait_loadcnt_dscnt 0x0
	s_barrier_signal -1
	s_barrier_wait -1
	global_inv scope:SCOPE_SE
	v_fmac_f32_e32 v32, v51, v34
	v_fmac_f32_e32 v33, v50, v34
	;; [unrolled: 1-line block ×15, first 2 shown]
	v_dual_fmac_f32 v19, v52, v46 :: v_dual_fmac_f32 v32, v55, v35
	v_fmac_f32_e32 v33, v54, v35
	v_fmac_f32_e32 v30, v57, v35
	v_fmac_f32_e32 v31, v56, v35
	v_fmac_f32_e32 v28, v55, v39
	v_fmac_f32_e32 v29, v54, v39
	v_fmac_f32_e32 v26, v57, v39
	v_fmac_f32_e32 v27, v56, v39
	v_fmac_f32_e32 v24, v55, v43
	v_fmac_f32_e32 v25, v54, v43
	v_fmac_f32_e32 v22, v57, v43
	v_fmac_f32_e32 v23, v56, v43
	v_fmac_f32_e32 v20, v55, v47
	v_fmac_f32_e32 v21, v54, v47
	v_fmac_f32_e32 v18, v57, v47
	v_dual_fmac_f32 v19, v56, v47 :: v_dual_fmac_f32 v32, v59, v36
	v_fmac_f32_e32 v33, v58, v36
	v_fmac_f32_e32 v30, v61, v36
	v_fmac_f32_e32 v31, v60, v36
	v_fmac_f32_e32 v28, v59, v40
	v_fmac_f32_e32 v29, v58, v40
	v_fmac_f32_e32 v26, v61, v40
	v_fmac_f32_e32 v27, v60, v40
	v_fmac_f32_e32 v24, v59, v44
	v_fmac_f32_e32 v25, v58, v44
	v_fmac_f32_e32 v22, v61, v44
	v_fmac_f32_e32 v23, v60, v44
	v_fmac_f32_e32 v20, v59, v48
	v_fmac_f32_e32 v21, v58, v48
	v_fmac_f32_e32 v18, v61, v48
	v_dual_fmac_f32 v19, v60, v48 :: v_dual_fmac_f32 v32, v63, v37
	v_fmac_f32_e32 v33, v62, v37
	v_fmac_f32_e32 v30, v65, v37
	v_fmac_f32_e32 v31, v64, v37
	v_fmac_f32_e32 v28, v63, v41
	v_fmac_f32_e32 v29, v62, v41
	v_fmac_f32_e32 v26, v65, v41
	v_fmac_f32_e32 v27, v64, v41
	v_fmac_f32_e32 v24, v63, v45
	v_fmac_f32_e32 v25, v62, v45
	v_fmac_f32_e32 v22, v65, v45
	v_fmac_f32_e32 v23, v64, v45
	v_fmac_f32_e32 v20, v63, v49
	v_fmac_f32_e32 v21, v62, v49
	v_fmac_f32_e32 v18, v65, v49
	v_fmac_f32_e32 v19, v64, v49
	s_wait_alu 0xfffe
	s_cbranch_vccnz .LBB32_5
.LBB32_6:                               ;   in Loop: Header=BB32_3 Depth=1
	s_mul_u64 s[16:17], s[22:23], s[2:3]
	s_and_not1_b32 vcc_lo, exec_lo, s24
	s_wait_alu 0xfffe
	s_lshl_b64 s[16:17], s[16:17], 2
	s_wait_alu 0xfffe
	s_add_nc_u64 s[16:17], s[10:11], s[16:17]
	s_cbranch_vccnz .LBB32_8
; %bb.7:                                ;   in Loop: Header=BB32_3 Depth=1
	s_wait_alu 0xfffe
	v_add_co_u32 v10, vcc_lo, s16, v4
	s_wait_alu 0xfffd
	v_add_co_ci_u32_e64 v11, null, s17, v5, vcc_lo
	v_dual_mul_f32 v34, s30, v33 :: v_dual_mul_f32 v35, s30, v32
	s_delay_alu instid0(VALU_DEP_3) | instskip(SKIP_1) | instid1(VALU_DEP_3)
	v_add_co_u32 v8, vcc_lo, v10, v6
	s_wait_alu 0xfffd
	v_add_co_ci_u32_e64 v9, null, v11, v7, vcc_lo
	v_add_co_u32 v10, vcc_lo, v10, s14
	v_dual_mul_f32 v36, s30, v31 :: v_dual_mul_f32 v37, s30, v30
	s_wait_alu 0xfffd
	v_add_co_ci_u32_e64 v11, null, s15, v11, vcc_lo
	s_clause 0x3
	global_store_b32 v[8:9], v34, off
	global_store_b32 v[8:9], v35, off offset:64
	global_store_b32 v[8:9], v36, off offset:128
	;; [unrolled: 1-line block ×3, first 2 shown]
	v_add_co_u32 v8, vcc_lo, v10, v6
	s_wait_alu 0xfffd
	v_add_co_ci_u32_e64 v9, null, v11, v7, vcc_lo
	v_add_co_u32 v38, vcc_lo, v10, s14
	s_wait_alu 0xfffd
	v_add_co_ci_u32_e64 v39, null, s15, v11, vcc_lo
	v_dual_mul_f32 v34, s30, v29 :: v_dual_mul_f32 v35, s30, v28
	v_dual_mul_f32 v36, s30, v27 :: v_dual_mul_f32 v37, s30, v26
	v_add_co_u32 v10, vcc_lo, v38, v6
	v_dual_mul_f32 v40, s30, v25 :: v_dual_mul_f32 v41, s30, v24
	s_wait_alu 0xfffd
	v_add_co_ci_u32_e64 v11, null, v39, v7, vcc_lo
	v_dual_mul_f32 v42, s30, v23 :: v_dual_mul_f32 v43, s30, v22
	s_clause 0x7
	global_store_b32 v[8:9], v34, off
	global_store_b32 v[8:9], v35, off offset:64
	global_store_b32 v[8:9], v36, off offset:128
	;; [unrolled: 1-line block ×3, first 2 shown]
	global_store_b32 v[10:11], v40, off
	global_store_b32 v[10:11], v41, off offset:64
	global_store_b32 v[10:11], v42, off offset:128
	;; [unrolled: 1-line block ×3, first 2 shown]
	v_add_co_u32 v8, vcc_lo, v38, s14
	s_wait_alu 0xfffd
	v_add_co_ci_u32_e64 v9, null, s15, v39, vcc_lo
	v_dual_mul_f32 v10, s30, v21 :: v_dual_mul_f32 v11, s30, v20
	s_delay_alu instid0(VALU_DEP_3) | instskip(SKIP_1) | instid1(VALU_DEP_3)
	v_add_co_u32 v8, vcc_lo, v8, v6
	s_wait_alu 0xfffd
	v_add_co_ci_u32_e64 v9, null, v9, v7, vcc_lo
	v_dual_mul_f32 v34, s30, v19 :: v_dual_mul_f32 v35, s30, v18
	s_clause 0x3
	global_store_b32 v[8:9], v10, off
	global_store_b32 v[8:9], v11, off offset:64
	global_store_b32 v[8:9], v34, off offset:128
	;; [unrolled: 1-line block ×3, first 2 shown]
	s_cbranch_execnz .LBB32_2
	s_branch .LBB32_9
.LBB32_8:                               ;   in Loop: Header=BB32_3 Depth=1
.LBB32_9:                               ;   in Loop: Header=BB32_3 Depth=1
	s_mul_u64 s[18:19], s[8:9], s[2:3]
	s_wait_alu 0xfffe
	s_lshl_b64 s[18:19], s[18:19], 2
	s_wait_alu 0xfffe
	v_add_co_u32 v34, vcc_lo, v16, s18
	s_wait_alu 0xfffd
	v_add_co_ci_u32_e64 v35, null, s19, v17, vcc_lo
	s_delay_alu instid0(VALU_DEP_2) | instskip(SKIP_1) | instid1(VALU_DEP_2)
	v_add_co_u32 v8, vcc_lo, v34, v6
	s_wait_alu 0xfffd
	v_add_co_ci_u32_e64 v9, null, v35, v7, vcc_lo
	v_add_co_u32 v36, vcc_lo, s16, v4
	s_wait_alu 0xfffd
	v_add_co_ci_u32_e64 v37, null, s17, v5, vcc_lo
	global_load_b32 v10, v[8:9], off
	s_wait_loadcnt 0x0
	v_mul_f32_e32 v38, s1, v10
	v_add_co_u32 v10, vcc_lo, v36, v6
	s_wait_alu 0xfffd
	v_add_co_ci_u32_e64 v11, null, v37, v7, vcc_lo
	s_delay_alu instid0(VALU_DEP_3) | instskip(SKIP_4) | instid1(VALU_DEP_1)
	v_fmac_f32_e32 v38, s30, v33
	global_store_b32 v[10:11], v38, off
	global_load_b32 v33, v[8:9], off offset:64
	s_wait_loadcnt 0x0
	v_mul_f32_e32 v33, s1, v33
	v_fmac_f32_e32 v33, s30, v32
	global_store_b32 v[10:11], v33, off offset:64
	global_load_b32 v32, v[8:9], off offset:128
	s_wait_loadcnt 0x0
	v_mul_f32_e32 v32, s1, v32
	s_delay_alu instid0(VALU_DEP_1)
	v_fmac_f32_e32 v32, s30, v31
	global_store_b32 v[10:11], v32, off offset:128
	global_load_b32 v8, v[8:9], off offset:192
	v_add_co_u32 v32, vcc_lo, v34, s12
	s_wait_alu 0xfffd
	v_add_co_ci_u32_e64 v33, null, s13, v35, vcc_lo
	s_wait_loadcnt 0x0
	v_mul_f32_e32 v31, s1, v8
	v_add_co_u32 v8, vcc_lo, v32, v6
	s_wait_alu 0xfffd
	v_add_co_ci_u32_e64 v9, null, v33, v7, vcc_lo
	s_delay_alu instid0(VALU_DEP_3)
	v_fmac_f32_e32 v31, s30, v30
	v_add_co_u32 v30, vcc_lo, v36, s14
	global_store_b32 v[10:11], v31, off offset:192
	global_load_b32 v10, v[8:9], off
	s_wait_alu 0xfffd
	v_add_co_ci_u32_e64 v31, null, s15, v37, vcc_lo
	s_wait_loadcnt 0x0
	v_mul_f32_e32 v34, s1, v10
	v_add_co_u32 v10, vcc_lo, v30, v6
	s_wait_alu 0xfffd
	v_add_co_ci_u32_e64 v11, null, v31, v7, vcc_lo
	s_delay_alu instid0(VALU_DEP_3) | instskip(SKIP_4) | instid1(VALU_DEP_1)
	v_fmac_f32_e32 v34, s30, v29
	global_store_b32 v[10:11], v34, off
	global_load_b32 v29, v[8:9], off offset:64
	s_wait_loadcnt 0x0
	v_mul_f32_e32 v29, s1, v29
	v_fmac_f32_e32 v29, s30, v28
	global_store_b32 v[10:11], v29, off offset:64
	global_load_b32 v28, v[8:9], off offset:128
	s_wait_loadcnt 0x0
	v_mul_f32_e32 v28, s1, v28
	s_delay_alu instid0(VALU_DEP_1)
	v_fmac_f32_e32 v28, s30, v27
	global_store_b32 v[10:11], v28, off offset:128
	global_load_b32 v8, v[8:9], off offset:192
	v_add_co_u32 v28, vcc_lo, v32, s12
	s_wait_alu 0xfffd
	v_add_co_ci_u32_e64 v29, null, s13, v33, vcc_lo
	s_wait_loadcnt 0x0
	v_mul_f32_e32 v27, s1, v8
	v_add_co_u32 v8, vcc_lo, v28, v6
	s_wait_alu 0xfffd
	v_add_co_ci_u32_e64 v9, null, v29, v7, vcc_lo
	s_delay_alu instid0(VALU_DEP_3)
	v_fmac_f32_e32 v27, s30, v26
	v_add_co_u32 v26, vcc_lo, v30, s14
	global_store_b32 v[10:11], v27, off offset:192
	global_load_b32 v10, v[8:9], off
	s_wait_alu 0xfffd
	v_add_co_ci_u32_e64 v27, null, s15, v31, vcc_lo
	s_wait_loadcnt 0x0
	v_mul_f32_e32 v30, s1, v10
	v_add_co_u32 v10, vcc_lo, v26, v6
	s_wait_alu 0xfffd
	v_add_co_ci_u32_e64 v11, null, v27, v7, vcc_lo
	s_delay_alu instid0(VALU_DEP_3) | instskip(SKIP_4) | instid1(VALU_DEP_1)
	v_fmac_f32_e32 v30, s30, v25
	global_store_b32 v[10:11], v30, off
	global_load_b32 v25, v[8:9], off offset:64
	s_wait_loadcnt 0x0
	v_mul_f32_e32 v25, s1, v25
	v_fmac_f32_e32 v25, s30, v24
	global_store_b32 v[10:11], v25, off offset:64
	global_load_b32 v24, v[8:9], off offset:128
	s_wait_loadcnt 0x0
	v_mul_f32_e32 v24, s1, v24
	s_delay_alu instid0(VALU_DEP_1)
	v_fmac_f32_e32 v24, s30, v23
	global_store_b32 v[10:11], v24, off offset:128
	global_load_b32 v8, v[8:9], off offset:192
	s_wait_loadcnt 0x0
	v_mul_f32_e32 v23, s1, v8
	v_add_co_u32 v8, vcc_lo, v28, s12
	s_wait_alu 0xfffd
	v_add_co_ci_u32_e64 v9, null, s13, v29, vcc_lo
	s_delay_alu instid0(VALU_DEP_3) | instskip(NEXT) | instid1(VALU_DEP_3)
	v_fmac_f32_e32 v23, s30, v22
	v_add_co_u32 v8, vcc_lo, v8, v6
	s_wait_alu 0xfffd
	s_delay_alu instid0(VALU_DEP_3)
	v_add_co_ci_u32_e64 v9, null, v9, v7, vcc_lo
	global_store_b32 v[10:11], v23, off offset:192
	global_load_b32 v10, v[8:9], off
	s_wait_loadcnt 0x0
	v_mul_f32_e32 v22, s1, v10
	v_add_co_u32 v10, vcc_lo, v26, s14
	s_wait_alu 0xfffd
	v_add_co_ci_u32_e64 v11, null, s15, v27, vcc_lo
	s_delay_alu instid0(VALU_DEP_3) | instskip(NEXT) | instid1(VALU_DEP_3)
	v_fmac_f32_e32 v22, s30, v21
	v_add_co_u32 v10, vcc_lo, v10, v6
	s_wait_alu 0xfffd
	s_delay_alu instid0(VALU_DEP_3) | instskip(SKIP_4) | instid1(VALU_DEP_1)
	v_add_co_ci_u32_e64 v11, null, v11, v7, vcc_lo
	global_store_b32 v[10:11], v22, off
	global_load_b32 v21, v[8:9], off offset:64
	s_wait_loadcnt 0x0
	v_mul_f32_e32 v21, s1, v21
	v_fmac_f32_e32 v21, s30, v20
	global_store_b32 v[10:11], v21, off offset:64
	global_load_b32 v20, v[8:9], off offset:128
	s_wait_loadcnt 0x0
	v_mul_f32_e32 v20, s1, v20
	s_delay_alu instid0(VALU_DEP_1) | instskip(SKIP_4) | instid1(VALU_DEP_1)
	v_fmac_f32_e32 v20, s30, v19
	global_store_b32 v[10:11], v20, off offset:128
	global_load_b32 v8, v[8:9], off offset:192
	s_wait_loadcnt 0x0
	v_mul_f32_e32 v8, s1, v8
	v_fmac_f32_e32 v8, s30, v18
	global_store_b32 v[10:11], v8, off offset:192
	s_branch .LBB32_2
.LBB32_10:
	s_endpgm
	.section	.rodata,"a",@progbits
	.p2align	6, 0x0
	.amdhsa_kernel _ZN12_GLOBAL__N_127rocblas_gemm_batched_kernelIfLi16ELi16ELi64ELi64ELi4ELi64ELi4ELi4ELi64ELc84ELc78EKfS1_fEEvlllT_PT11_llS4_llS2_PT12_llPT13_lli
		.amdhsa_group_segment_fixed_size 2048
		.amdhsa_private_segment_fixed_size 0
		.amdhsa_kernarg_size 140
		.amdhsa_user_sgpr_count 2
		.amdhsa_user_sgpr_dispatch_ptr 0
		.amdhsa_user_sgpr_queue_ptr 0
		.amdhsa_user_sgpr_kernarg_segment_ptr 1
		.amdhsa_user_sgpr_dispatch_id 0
		.amdhsa_user_sgpr_private_segment_size 0
		.amdhsa_wavefront_size32 1
		.amdhsa_uses_dynamic_stack 0
		.amdhsa_enable_private_segment 0
		.amdhsa_system_sgpr_workgroup_id_x 1
		.amdhsa_system_sgpr_workgroup_id_y 1
		.amdhsa_system_sgpr_workgroup_id_z 1
		.amdhsa_system_sgpr_workgroup_info 0
		.amdhsa_system_vgpr_workitem_id 1
		.amdhsa_next_free_vgpr 66
		.amdhsa_next_free_sgpr 38
		.amdhsa_reserve_vcc 1
		.amdhsa_float_round_mode_32 0
		.amdhsa_float_round_mode_16_64 0
		.amdhsa_float_denorm_mode_32 3
		.amdhsa_float_denorm_mode_16_64 3
		.amdhsa_fp16_overflow 0
		.amdhsa_workgroup_processor_mode 1
		.amdhsa_memory_ordered 1
		.amdhsa_forward_progress 1
		.amdhsa_inst_pref_size 22
		.amdhsa_round_robin_scheduling 0
		.amdhsa_exception_fp_ieee_invalid_op 0
		.amdhsa_exception_fp_denorm_src 0
		.amdhsa_exception_fp_ieee_div_zero 0
		.amdhsa_exception_fp_ieee_overflow 0
		.amdhsa_exception_fp_ieee_underflow 0
		.amdhsa_exception_fp_ieee_inexact 0
		.amdhsa_exception_int_div_zero 0
	.end_amdhsa_kernel
	.section	.text._ZN12_GLOBAL__N_127rocblas_gemm_batched_kernelIfLi16ELi16ELi64ELi64ELi4ELi64ELi4ELi4ELi64ELc84ELc78EKfS1_fEEvlllT_PT11_llS4_llS2_PT12_llPT13_lli,"axG",@progbits,_ZN12_GLOBAL__N_127rocblas_gemm_batched_kernelIfLi16ELi16ELi64ELi64ELi4ELi64ELi4ELi4ELi64ELc84ELc78EKfS1_fEEvlllT_PT11_llS4_llS2_PT12_llPT13_lli,comdat
.Lfunc_end32:
	.size	_ZN12_GLOBAL__N_127rocblas_gemm_batched_kernelIfLi16ELi16ELi64ELi64ELi4ELi64ELi4ELi4ELi64ELc84ELc78EKfS1_fEEvlllT_PT11_llS4_llS2_PT12_llPT13_lli, .Lfunc_end32-_ZN12_GLOBAL__N_127rocblas_gemm_batched_kernelIfLi16ELi16ELi64ELi64ELi4ELi64ELi4ELi4ELi64ELc84ELc78EKfS1_fEEvlllT_PT11_llS4_llS2_PT12_llPT13_lli
                                        ; -- End function
	.set _ZN12_GLOBAL__N_127rocblas_gemm_batched_kernelIfLi16ELi16ELi64ELi64ELi4ELi64ELi4ELi4ELi64ELc84ELc78EKfS1_fEEvlllT_PT11_llS4_llS2_PT12_llPT13_lli.num_vgpr, 66
	.set _ZN12_GLOBAL__N_127rocblas_gemm_batched_kernelIfLi16ELi16ELi64ELi64ELi4ELi64ELi4ELi4ELi64ELc84ELc78EKfS1_fEEvlllT_PT11_llS4_llS2_PT12_llPT13_lli.num_agpr, 0
	.set _ZN12_GLOBAL__N_127rocblas_gemm_batched_kernelIfLi16ELi16ELi64ELi64ELi4ELi64ELi4ELi4ELi64ELc84ELc78EKfS1_fEEvlllT_PT11_llS4_llS2_PT12_llPT13_lli.numbered_sgpr, 38
	.set _ZN12_GLOBAL__N_127rocblas_gemm_batched_kernelIfLi16ELi16ELi64ELi64ELi4ELi64ELi4ELi4ELi64ELc84ELc78EKfS1_fEEvlllT_PT11_llS4_llS2_PT12_llPT13_lli.num_named_barrier, 0
	.set _ZN12_GLOBAL__N_127rocblas_gemm_batched_kernelIfLi16ELi16ELi64ELi64ELi4ELi64ELi4ELi4ELi64ELc84ELc78EKfS1_fEEvlllT_PT11_llS4_llS2_PT12_llPT13_lli.private_seg_size, 0
	.set _ZN12_GLOBAL__N_127rocblas_gemm_batched_kernelIfLi16ELi16ELi64ELi64ELi4ELi64ELi4ELi4ELi64ELc84ELc78EKfS1_fEEvlllT_PT11_llS4_llS2_PT12_llPT13_lli.uses_vcc, 1
	.set _ZN12_GLOBAL__N_127rocblas_gemm_batched_kernelIfLi16ELi16ELi64ELi64ELi4ELi64ELi4ELi4ELi64ELc84ELc78EKfS1_fEEvlllT_PT11_llS4_llS2_PT12_llPT13_lli.uses_flat_scratch, 0
	.set _ZN12_GLOBAL__N_127rocblas_gemm_batched_kernelIfLi16ELi16ELi64ELi64ELi4ELi64ELi4ELi4ELi64ELc84ELc78EKfS1_fEEvlllT_PT11_llS4_llS2_PT12_llPT13_lli.has_dyn_sized_stack, 0
	.set _ZN12_GLOBAL__N_127rocblas_gemm_batched_kernelIfLi16ELi16ELi64ELi64ELi4ELi64ELi4ELi4ELi64ELc84ELc78EKfS1_fEEvlllT_PT11_llS4_llS2_PT12_llPT13_lli.has_recursion, 0
	.set _ZN12_GLOBAL__N_127rocblas_gemm_batched_kernelIfLi16ELi16ELi64ELi64ELi4ELi64ELi4ELi4ELi64ELc84ELc78EKfS1_fEEvlllT_PT11_llS4_llS2_PT12_llPT13_lli.has_indirect_call, 0
	.section	.AMDGPU.csdata,"",@progbits
; Kernel info:
; codeLenInByte = 2708
; TotalNumSgprs: 40
; NumVgprs: 66
; ScratchSize: 0
; MemoryBound: 0
; FloatMode: 240
; IeeeMode: 1
; LDSByteSize: 2048 bytes/workgroup (compile time only)
; SGPRBlocks: 0
; VGPRBlocks: 8
; NumSGPRsForWavesPerEU: 40
; NumVGPRsForWavesPerEU: 66
; Occupancy: 16
; WaveLimiterHint : 0
; COMPUTE_PGM_RSRC2:SCRATCH_EN: 0
; COMPUTE_PGM_RSRC2:USER_SGPR: 2
; COMPUTE_PGM_RSRC2:TRAP_HANDLER: 0
; COMPUTE_PGM_RSRC2:TGID_X_EN: 1
; COMPUTE_PGM_RSRC2:TGID_Y_EN: 1
; COMPUTE_PGM_RSRC2:TGID_Z_EN: 1
; COMPUTE_PGM_RSRC2:TIDIG_COMP_CNT: 1
	.section	.text._ZN12_GLOBAL__N_127rocblas_gemm_batched_kernelIfLi16ELi16ELi64ELi64ELi4ELi64ELi4ELi4ELi64ELc78ELc84EKfS1_fEEvlllT_PT11_llS4_llS2_PT12_llPT13_lli,"axG",@progbits,_ZN12_GLOBAL__N_127rocblas_gemm_batched_kernelIfLi16ELi16ELi64ELi64ELi4ELi64ELi4ELi4ELi64ELc78ELc84EKfS1_fEEvlllT_PT11_llS4_llS2_PT12_llPT13_lli,comdat
	.globl	_ZN12_GLOBAL__N_127rocblas_gemm_batched_kernelIfLi16ELi16ELi64ELi64ELi4ELi64ELi4ELi4ELi64ELc78ELc84EKfS1_fEEvlllT_PT11_llS4_llS2_PT12_llPT13_lli ; -- Begin function _ZN12_GLOBAL__N_127rocblas_gemm_batched_kernelIfLi16ELi16ELi64ELi64ELi4ELi64ELi4ELi4ELi64ELc78ELc84EKfS1_fEEvlllT_PT11_llS4_llS2_PT12_llPT13_lli
	.p2align	8
	.type	_ZN12_GLOBAL__N_127rocblas_gemm_batched_kernelIfLi16ELi16ELi64ELi64ELi4ELi64ELi4ELi4ELi64ELc78ELc84EKfS1_fEEvlllT_PT11_llS4_llS2_PT12_llPT13_lli,@function
_ZN12_GLOBAL__N_127rocblas_gemm_batched_kernelIfLi16ELi16ELi64ELi64ELi4ELi64ELi4ELi4ELi64ELc78ELc84EKfS1_fEEvlllT_PT11_llS4_llS2_PT12_llPT13_lli: ; @_ZN12_GLOBAL__N_127rocblas_gemm_batched_kernelIfLi16ELi16ELi64ELi64ELi4ELi64ELi4ELi4ELi64ELc78ELc84EKfS1_fEEvlllT_PT11_llS4_llS2_PT12_llPT13_lli
; %bb.0:
	s_load_b32 s31, s[0:1], 0x88
	s_lshr_b32 s2, ttmp7, 16
	s_wait_kmcnt 0x0
	s_cmp_ge_i32 s2, s31
	s_cbranch_scc1 .LBB33_10
; %bb.1:
	v_bfe_u32 v2, v0, 10, 10
	s_clause 0x3
	s_load_b96 s[28:30], s[0:1], 0x10
	s_load_b256 s[12:19], s[0:1], 0x20
	s_load_b128 s[20:23], s[0:1], 0x78
	s_load_b256 s[4:11], s[0:1], 0x58
	v_dual_mov_b32 v1, 0 :: v_dual_and_b32 v8, 0x3ff, v0
	s_clause 0x1
	s_load_b128 s[24:27], s[0:1], 0x40
	s_load_b32 s1, s[0:1], 0x50
	v_lshlrev_b32_e32 v6, 4, v2
	v_and_b32_e32 v11, 3, v0
	s_lshl_b32 s0, ttmp7, 6
	s_mov_b32 s34, ttmp9
	s_and_b32 s0, s0, 0x3fffc0
	v_add_nc_u32_e32 v3, v6, v8
	v_add_nc_u32_e32 v7, s0, v2
	;; [unrolled: 1-line block ×3, first 2 shown]
	s_ashr_i32 s35, ttmp9, 31
	v_lshlrev_b32_e32 v14, 2, v8
	v_and_b32_e32 v20, 63, v3
	v_lshrrev_b32_e32 v18, 6, v3
	v_lshrrev_b32_e32 v0, 2, v3
	v_lshlrev_b32_e32 v3, 2, v11
	s_lshl_b64 s[34:35], s[34:35], 6
	s_wait_kmcnt 0x0
	v_mad_co_u64_u32 v[4:5], null, v7, s20, 0
	s_mov_b32 s3, 0
	v_lshl_or_b32 v10, v0, 4, v3
	v_mad_co_u64_u32 v[2:3], null, v7, s6, 0
	v_mad_co_u64_u32 v[0:1], null, s24, v11, v[0:1]
	;; [unrolled: 1-line block ×3, first 2 shown]
	s_delay_alu instid0(VALU_DEP_4) | instskip(SKIP_1) | instid1(VALU_DEP_4)
	v_add_nc_u32_e32 v13, 0x400, v10
	s_cmp_eq_f32 s1, 0
	v_mad_co_u64_u32 v[6:7], null, v7, s7, v[3:4]
	s_delay_alu instid0(VALU_DEP_4) | instskip(SKIP_1) | instid1(VALU_DEP_1)
	v_mad_co_u64_u32 v[16:17], null, s25, v11, v[1:2]
	v_add_co_u32 v7, s36, s34, v8
	v_add_co_ci_u32_e64 v8, null, s35, 0, s36
	s_delay_alu instid0(VALU_DEP_4) | instskip(SKIP_2) | instid1(VALU_DEP_3)
	v_mov_b32_e32 v3, v6
	v_lshlrev_b32_e32 v9, 2, v20
	s_cselect_b32 s33, -1, 0
	v_lshlrev_b64_e32 v[6:7], 2, v[7:8]
	s_lshl_b64 s[20:21], s[20:21], 4
	v_lshlrev_b64_e32 v[1:2], 2, v[2:3]
	v_lshl_or_b32 v12, v18, 8, v9
	v_mad_co_u64_u32 v[9:10], null, s14, v18, s[34:35]
	s_lshl_b64 s[34:35], s[6:7], 4
	s_lshl_b64 s[6:7], s[24:25], 4
	v_mov_b32_e32 v3, v10
	v_add_co_u32 v10, vcc_lo, v0, s0
	s_delay_alu instid0(VALU_DEP_1) | instskip(NEXT) | instid1(VALU_DEP_3)
	v_add_co_ci_u32_e64 v11, null, 0, v16, vcc_lo
	v_mad_co_u64_u32 v[18:19], null, s15, v18, v[3:4]
	v_add_co_u32 v16, vcc_lo, s4, v1
	s_wait_alu 0xfffd
	v_add_co_ci_u32_e64 v17, null, s5, v2, vcc_lo
	v_add_co_u32 v2, vcc_lo, v9, v20
	s_wait_alu 0xfffd
	s_delay_alu instid0(VALU_DEP_4) | instskip(SKIP_3) | instid1(VALU_DEP_4)
	v_add_co_ci_u32_e64 v3, null, 0, v18, vcc_lo
	v_cmp_gt_i64_e64 s0, s[28:29], 0
	v_lshlrev_b64_e32 v[0:1], 2, v[10:11]
	v_lshlrev_b64_e32 v[4:5], 2, v[4:5]
	;; [unrolled: 1-line block ×3, first 2 shown]
	s_lshl_b64 s[4:5], s[26:27], 2
	s_lshl_b64 s[14:15], s[14:15], 4
	v_cndmask_b32_e64 v9, 0, 1, s0
	v_add_co_u32 v0, vcc_lo, s18, v0
	s_wait_alu 0xfffd
	v_add_co_ci_u32_e64 v1, null, s19, v1, vcc_lo
	v_add_co_u32 v2, vcc_lo, s12, v2
	s_wait_alu 0xfffd
	v_add_co_ci_u32_e64 v3, null, s13, v3, vcc_lo
	v_cmp_ne_u32_e64 s0, 1, v9
	s_lshl_b64 s[12:13], s[16:17], 2
	s_wait_alu 0xfffe
	s_lshl_b64 s[16:17], s[34:35], 2
	s_lshl_b64 s[18:19], s[20:21], 2
	s_branch .LBB33_3
.LBB33_2:                               ;   in Loop: Header=BB33_3 Depth=1
	s_add_co_i32 s2, s2, 0x10000
	s_wait_alu 0xfffe
	s_cmp_lt_i32 s2, s31
	s_cbranch_scc0 .LBB33_10
.LBB33_3:                               ; =>This Loop Header: Depth=1
                                        ;     Child Loop BB33_5 Depth 2
	v_dual_mov_b32 v33, 0 :: v_dual_mov_b32 v32, 0
	v_dual_mov_b32 v31, 0 :: v_dual_mov_b32 v30, 0
	;; [unrolled: 1-line block ×8, first 2 shown]
	s_and_b32 vcc_lo, exec_lo, s0
	s_wait_alu 0xfffe
	s_cbranch_vccnz .LBB33_6
; %bb.4:                                ;   in Loop: Header=BB33_3 Depth=1
	v_mad_co_u64_u32 v[8:9], null, s4, s2, v[0:1]
	v_mad_co_u64_u32 v[10:11], null, s12, s2, v[2:3]
	v_dual_mov_b32 v18, 0 :: v_dual_mov_b32 v19, 0
	v_dual_mov_b32 v20, 0 :: v_dual_mov_b32 v21, 0
	;; [unrolled: 1-line block ×3, first 2 shown]
	s_delay_alu instid0(VALU_DEP_4) | instskip(SKIP_3) | instid1(VALU_DEP_4)
	v_mad_co_u64_u32 v[28:29], null, s5, s2, v[9:10]
	v_mad_co_u64_u32 v[29:30], null, s13, s2, v[11:12]
	v_dual_mov_b32 v24, 0 :: v_dual_mov_b32 v25, 0
	v_dual_mov_b32 v26, 0 :: v_dual_mov_b32 v27, 0
	;; [unrolled: 1-line block ×3, first 2 shown]
	s_delay_alu instid0(VALU_DEP_4)
	v_dual_mov_b32 v11, v29 :: v_dual_mov_b32 v30, 0
	v_dual_mov_b32 v29, 0 :: v_dual_mov_b32 v32, 0
	v_mov_b32_e32 v31, 0
	v_mov_b32_e32 v33, 0
	s_mov_b64 s[20:21], 0
.LBB33_5:                               ;   Parent Loop BB33_3 Depth=1
                                        ; =>  This Inner Loop Header: Depth=2
	global_load_b32 v34, v[10:11], off
	global_load_b32 v35, v[8:9], off
	s_wait_alu 0xfffe
	s_add_nc_u64 s[20:21], s[20:21], 4
	v_add_co_u32 v8, vcc_lo, v8, s6
	s_wait_alu 0xfffe
	v_cmp_lt_i64_e64 s24, s[20:21], s[28:29]
	s_wait_alu 0xfffd
	v_add_co_ci_u32_e64 v9, null, s7, v9, vcc_lo
	v_add_co_u32 v10, vcc_lo, v10, s14
	s_wait_alu 0xfffd
	v_add_co_ci_u32_e64 v11, null, s15, v11, vcc_lo
	s_and_b32 vcc_lo, exec_lo, s24
	s_wait_loadcnt 0x1
	ds_store_b32 v12, v34
	s_wait_loadcnt 0x0
	ds_store_b32 v13, v35
	s_wait_dscnt 0x0
	s_barrier_signal -1
	s_barrier_wait -1
	global_inv scope:SCOPE_SE
	ds_load_b128 v[34:37], v15
	ds_load_2addr_b32 v[50:51], v14 offset1:16
	ds_load_2addr_b32 v[52:53], v14 offset0:32 offset1:48
	ds_load_b128 v[38:41], v15 offset:256
	ds_load_b128 v[42:45], v15 offset:512
	;; [unrolled: 1-line block ×3, first 2 shown]
	ds_load_2addr_b32 v[54:55], v14 offset0:64 offset1:80
	ds_load_2addr_b32 v[56:57], v14 offset0:96 offset1:112
	;; [unrolled: 1-line block ×6, first 2 shown]
	s_wait_loadcnt_dscnt 0x0
	s_barrier_signal -1
	s_barrier_wait -1
	global_inv scope:SCOPE_SE
	v_fmac_f32_e32 v32, v51, v34
	v_fmac_f32_e32 v33, v50, v34
	v_fmac_f32_e32 v30, v53, v34
	v_fmac_f32_e32 v31, v52, v34
	v_fmac_f32_e32 v28, v51, v38
	v_fmac_f32_e32 v29, v50, v38
	v_fmac_f32_e32 v26, v53, v38
	v_fmac_f32_e32 v27, v52, v38
	v_fmac_f32_e32 v24, v51, v42
	v_fmac_f32_e32 v25, v50, v42
	v_fmac_f32_e32 v22, v53, v42
	v_fmac_f32_e32 v23, v52, v42
	v_fmac_f32_e32 v20, v51, v46
	v_fmac_f32_e32 v21, v50, v46
	v_fmac_f32_e32 v18, v53, v46
	v_dual_fmac_f32 v19, v52, v46 :: v_dual_fmac_f32 v32, v55, v35
	v_fmac_f32_e32 v33, v54, v35
	v_fmac_f32_e32 v30, v57, v35
	v_fmac_f32_e32 v31, v56, v35
	v_fmac_f32_e32 v28, v55, v39
	v_fmac_f32_e32 v29, v54, v39
	v_fmac_f32_e32 v26, v57, v39
	v_fmac_f32_e32 v27, v56, v39
	v_fmac_f32_e32 v24, v55, v43
	v_fmac_f32_e32 v25, v54, v43
	v_fmac_f32_e32 v22, v57, v43
	v_fmac_f32_e32 v23, v56, v43
	v_fmac_f32_e32 v20, v55, v47
	v_fmac_f32_e32 v21, v54, v47
	v_fmac_f32_e32 v18, v57, v47
	v_dual_fmac_f32 v19, v56, v47 :: v_dual_fmac_f32 v32, v59, v36
	v_fmac_f32_e32 v33, v58, v36
	v_fmac_f32_e32 v30, v61, v36
	v_fmac_f32_e32 v31, v60, v36
	v_fmac_f32_e32 v28, v59, v40
	v_fmac_f32_e32 v29, v58, v40
	v_fmac_f32_e32 v26, v61, v40
	v_fmac_f32_e32 v27, v60, v40
	v_fmac_f32_e32 v24, v59, v44
	v_fmac_f32_e32 v25, v58, v44
	v_fmac_f32_e32 v22, v61, v44
	v_fmac_f32_e32 v23, v60, v44
	v_fmac_f32_e32 v20, v59, v48
	v_fmac_f32_e32 v21, v58, v48
	v_fmac_f32_e32 v18, v61, v48
	;; [unrolled: 15-line block ×3, first 2 shown]
	v_fmac_f32_e32 v19, v64, v49
	s_wait_alu 0xfffe
	s_cbranch_vccnz .LBB33_5
.LBB33_6:                               ;   in Loop: Header=BB33_3 Depth=1
	s_mul_u64 s[20:21], s[22:23], s[2:3]
	s_and_not1_b32 vcc_lo, exec_lo, s33
	s_wait_alu 0xfffe
	s_lshl_b64 s[20:21], s[20:21], 2
	s_wait_alu 0xfffe
	s_add_nc_u64 s[20:21], s[10:11], s[20:21]
	s_cbranch_vccnz .LBB33_8
; %bb.7:                                ;   in Loop: Header=BB33_3 Depth=1
	s_wait_alu 0xfffe
	v_add_co_u32 v10, vcc_lo, s20, v4
	s_wait_alu 0xfffd
	v_add_co_ci_u32_e64 v11, null, s21, v5, vcc_lo
	v_dual_mul_f32 v34, s30, v33 :: v_dual_mul_f32 v35, s30, v32
	s_delay_alu instid0(VALU_DEP_3) | instskip(SKIP_1) | instid1(VALU_DEP_3)
	v_add_co_u32 v8, vcc_lo, v10, v6
	s_wait_alu 0xfffd
	v_add_co_ci_u32_e64 v9, null, v11, v7, vcc_lo
	v_add_co_u32 v10, vcc_lo, v10, s18
	v_dual_mul_f32 v36, s30, v31 :: v_dual_mul_f32 v37, s30, v30
	s_wait_alu 0xfffd
	v_add_co_ci_u32_e64 v11, null, s19, v11, vcc_lo
	s_clause 0x3
	global_store_b32 v[8:9], v34, off
	global_store_b32 v[8:9], v35, off offset:64
	global_store_b32 v[8:9], v36, off offset:128
	;; [unrolled: 1-line block ×3, first 2 shown]
	v_add_co_u32 v8, vcc_lo, v10, v6
	s_wait_alu 0xfffd
	v_add_co_ci_u32_e64 v9, null, v11, v7, vcc_lo
	v_add_co_u32 v38, vcc_lo, v10, s18
	s_wait_alu 0xfffd
	v_add_co_ci_u32_e64 v39, null, s19, v11, vcc_lo
	v_dual_mul_f32 v34, s30, v29 :: v_dual_mul_f32 v35, s30, v28
	v_dual_mul_f32 v36, s30, v27 :: v_dual_mul_f32 v37, s30, v26
	v_add_co_u32 v10, vcc_lo, v38, v6
	v_dual_mul_f32 v40, s30, v25 :: v_dual_mul_f32 v41, s30, v24
	s_wait_alu 0xfffd
	v_add_co_ci_u32_e64 v11, null, v39, v7, vcc_lo
	v_dual_mul_f32 v42, s30, v23 :: v_dual_mul_f32 v43, s30, v22
	s_clause 0x7
	global_store_b32 v[8:9], v34, off
	global_store_b32 v[8:9], v35, off offset:64
	global_store_b32 v[8:9], v36, off offset:128
	;; [unrolled: 1-line block ×3, first 2 shown]
	global_store_b32 v[10:11], v40, off
	global_store_b32 v[10:11], v41, off offset:64
	global_store_b32 v[10:11], v42, off offset:128
	;; [unrolled: 1-line block ×3, first 2 shown]
	v_add_co_u32 v8, vcc_lo, v38, s18
	s_wait_alu 0xfffd
	v_add_co_ci_u32_e64 v9, null, s19, v39, vcc_lo
	v_dual_mul_f32 v10, s30, v21 :: v_dual_mul_f32 v11, s30, v20
	s_delay_alu instid0(VALU_DEP_3) | instskip(SKIP_1) | instid1(VALU_DEP_3)
	v_add_co_u32 v8, vcc_lo, v8, v6
	s_wait_alu 0xfffd
	v_add_co_ci_u32_e64 v9, null, v9, v7, vcc_lo
	v_dual_mul_f32 v34, s30, v19 :: v_dual_mul_f32 v35, s30, v18
	s_clause 0x3
	global_store_b32 v[8:9], v10, off
	global_store_b32 v[8:9], v11, off offset:64
	global_store_b32 v[8:9], v34, off offset:128
	;; [unrolled: 1-line block ×3, first 2 shown]
	s_cbranch_execnz .LBB33_2
	s_branch .LBB33_9
.LBB33_8:                               ;   in Loop: Header=BB33_3 Depth=1
.LBB33_9:                               ;   in Loop: Header=BB33_3 Depth=1
	s_mul_u64 s[24:25], s[8:9], s[2:3]
	s_wait_alu 0xfffe
	s_lshl_b64 s[24:25], s[24:25], 2
	s_wait_alu 0xfffe
	v_add_co_u32 v34, vcc_lo, v16, s24
	s_wait_alu 0xfffd
	v_add_co_ci_u32_e64 v35, null, s25, v17, vcc_lo
	s_delay_alu instid0(VALU_DEP_2) | instskip(SKIP_1) | instid1(VALU_DEP_2)
	v_add_co_u32 v8, vcc_lo, v34, v6
	s_wait_alu 0xfffd
	v_add_co_ci_u32_e64 v9, null, v35, v7, vcc_lo
	v_add_co_u32 v36, vcc_lo, s20, v4
	s_wait_alu 0xfffd
	v_add_co_ci_u32_e64 v37, null, s21, v5, vcc_lo
	global_load_b32 v10, v[8:9], off
	s_wait_loadcnt 0x0
	v_mul_f32_e32 v38, s1, v10
	v_add_co_u32 v10, vcc_lo, v36, v6
	s_wait_alu 0xfffd
	v_add_co_ci_u32_e64 v11, null, v37, v7, vcc_lo
	s_delay_alu instid0(VALU_DEP_3) | instskip(SKIP_4) | instid1(VALU_DEP_1)
	v_fmac_f32_e32 v38, s30, v33
	global_store_b32 v[10:11], v38, off
	global_load_b32 v33, v[8:9], off offset:64
	s_wait_loadcnt 0x0
	v_mul_f32_e32 v33, s1, v33
	v_fmac_f32_e32 v33, s30, v32
	global_store_b32 v[10:11], v33, off offset:64
	global_load_b32 v32, v[8:9], off offset:128
	s_wait_loadcnt 0x0
	v_mul_f32_e32 v32, s1, v32
	s_delay_alu instid0(VALU_DEP_1)
	v_fmac_f32_e32 v32, s30, v31
	global_store_b32 v[10:11], v32, off offset:128
	global_load_b32 v8, v[8:9], off offset:192
	v_add_co_u32 v32, vcc_lo, v34, s16
	s_wait_alu 0xfffd
	v_add_co_ci_u32_e64 v33, null, s17, v35, vcc_lo
	s_wait_loadcnt 0x0
	v_mul_f32_e32 v31, s1, v8
	v_add_co_u32 v8, vcc_lo, v32, v6
	s_wait_alu 0xfffd
	v_add_co_ci_u32_e64 v9, null, v33, v7, vcc_lo
	s_delay_alu instid0(VALU_DEP_3)
	v_fmac_f32_e32 v31, s30, v30
	v_add_co_u32 v30, vcc_lo, v36, s18
	global_store_b32 v[10:11], v31, off offset:192
	global_load_b32 v10, v[8:9], off
	s_wait_alu 0xfffd
	v_add_co_ci_u32_e64 v31, null, s19, v37, vcc_lo
	s_wait_loadcnt 0x0
	v_mul_f32_e32 v34, s1, v10
	v_add_co_u32 v10, vcc_lo, v30, v6
	s_wait_alu 0xfffd
	v_add_co_ci_u32_e64 v11, null, v31, v7, vcc_lo
	s_delay_alu instid0(VALU_DEP_3) | instskip(SKIP_4) | instid1(VALU_DEP_1)
	v_fmac_f32_e32 v34, s30, v29
	global_store_b32 v[10:11], v34, off
	global_load_b32 v29, v[8:9], off offset:64
	s_wait_loadcnt 0x0
	v_mul_f32_e32 v29, s1, v29
	v_fmac_f32_e32 v29, s30, v28
	global_store_b32 v[10:11], v29, off offset:64
	global_load_b32 v28, v[8:9], off offset:128
	s_wait_loadcnt 0x0
	v_mul_f32_e32 v28, s1, v28
	s_delay_alu instid0(VALU_DEP_1)
	v_fmac_f32_e32 v28, s30, v27
	global_store_b32 v[10:11], v28, off offset:128
	global_load_b32 v8, v[8:9], off offset:192
	v_add_co_u32 v28, vcc_lo, v32, s16
	s_wait_alu 0xfffd
	v_add_co_ci_u32_e64 v29, null, s17, v33, vcc_lo
	s_wait_loadcnt 0x0
	v_mul_f32_e32 v27, s1, v8
	v_add_co_u32 v8, vcc_lo, v28, v6
	s_wait_alu 0xfffd
	v_add_co_ci_u32_e64 v9, null, v29, v7, vcc_lo
	s_delay_alu instid0(VALU_DEP_3)
	v_fmac_f32_e32 v27, s30, v26
	v_add_co_u32 v26, vcc_lo, v30, s18
	global_store_b32 v[10:11], v27, off offset:192
	global_load_b32 v10, v[8:9], off
	s_wait_alu 0xfffd
	v_add_co_ci_u32_e64 v27, null, s19, v31, vcc_lo
	s_wait_loadcnt 0x0
	v_mul_f32_e32 v30, s1, v10
	v_add_co_u32 v10, vcc_lo, v26, v6
	s_wait_alu 0xfffd
	v_add_co_ci_u32_e64 v11, null, v27, v7, vcc_lo
	s_delay_alu instid0(VALU_DEP_3) | instskip(SKIP_4) | instid1(VALU_DEP_1)
	v_fmac_f32_e32 v30, s30, v25
	global_store_b32 v[10:11], v30, off
	global_load_b32 v25, v[8:9], off offset:64
	s_wait_loadcnt 0x0
	v_mul_f32_e32 v25, s1, v25
	v_fmac_f32_e32 v25, s30, v24
	global_store_b32 v[10:11], v25, off offset:64
	global_load_b32 v24, v[8:9], off offset:128
	s_wait_loadcnt 0x0
	v_mul_f32_e32 v24, s1, v24
	s_delay_alu instid0(VALU_DEP_1)
	v_fmac_f32_e32 v24, s30, v23
	global_store_b32 v[10:11], v24, off offset:128
	global_load_b32 v8, v[8:9], off offset:192
	s_wait_loadcnt 0x0
	v_mul_f32_e32 v23, s1, v8
	v_add_co_u32 v8, vcc_lo, v28, s16
	s_wait_alu 0xfffd
	v_add_co_ci_u32_e64 v9, null, s17, v29, vcc_lo
	s_delay_alu instid0(VALU_DEP_3) | instskip(NEXT) | instid1(VALU_DEP_3)
	v_fmac_f32_e32 v23, s30, v22
	v_add_co_u32 v8, vcc_lo, v8, v6
	s_wait_alu 0xfffd
	s_delay_alu instid0(VALU_DEP_3)
	v_add_co_ci_u32_e64 v9, null, v9, v7, vcc_lo
	global_store_b32 v[10:11], v23, off offset:192
	global_load_b32 v10, v[8:9], off
	s_wait_loadcnt 0x0
	v_mul_f32_e32 v22, s1, v10
	v_add_co_u32 v10, vcc_lo, v26, s18
	s_wait_alu 0xfffd
	v_add_co_ci_u32_e64 v11, null, s19, v27, vcc_lo
	s_delay_alu instid0(VALU_DEP_3) | instskip(NEXT) | instid1(VALU_DEP_3)
	v_fmac_f32_e32 v22, s30, v21
	v_add_co_u32 v10, vcc_lo, v10, v6
	s_wait_alu 0xfffd
	s_delay_alu instid0(VALU_DEP_3) | instskip(SKIP_4) | instid1(VALU_DEP_1)
	v_add_co_ci_u32_e64 v11, null, v11, v7, vcc_lo
	global_store_b32 v[10:11], v22, off
	global_load_b32 v21, v[8:9], off offset:64
	s_wait_loadcnt 0x0
	v_mul_f32_e32 v21, s1, v21
	v_fmac_f32_e32 v21, s30, v20
	global_store_b32 v[10:11], v21, off offset:64
	global_load_b32 v20, v[8:9], off offset:128
	s_wait_loadcnt 0x0
	v_mul_f32_e32 v20, s1, v20
	s_delay_alu instid0(VALU_DEP_1) | instskip(SKIP_4) | instid1(VALU_DEP_1)
	v_fmac_f32_e32 v20, s30, v19
	global_store_b32 v[10:11], v20, off offset:128
	global_load_b32 v8, v[8:9], off offset:192
	s_wait_loadcnt 0x0
	v_mul_f32_e32 v8, s1, v8
	v_fmac_f32_e32 v8, s30, v18
	global_store_b32 v[10:11], v8, off offset:192
	s_branch .LBB33_2
.LBB33_10:
	s_endpgm
	.section	.rodata,"a",@progbits
	.p2align	6, 0x0
	.amdhsa_kernel _ZN12_GLOBAL__N_127rocblas_gemm_batched_kernelIfLi16ELi16ELi64ELi64ELi4ELi64ELi4ELi4ELi64ELc78ELc84EKfS1_fEEvlllT_PT11_llS4_llS2_PT12_llPT13_lli
		.amdhsa_group_segment_fixed_size 2048
		.amdhsa_private_segment_fixed_size 0
		.amdhsa_kernarg_size 140
		.amdhsa_user_sgpr_count 2
		.amdhsa_user_sgpr_dispatch_ptr 0
		.amdhsa_user_sgpr_queue_ptr 0
		.amdhsa_user_sgpr_kernarg_segment_ptr 1
		.amdhsa_user_sgpr_dispatch_id 0
		.amdhsa_user_sgpr_private_segment_size 0
		.amdhsa_wavefront_size32 1
		.amdhsa_uses_dynamic_stack 0
		.amdhsa_enable_private_segment 0
		.amdhsa_system_sgpr_workgroup_id_x 1
		.amdhsa_system_sgpr_workgroup_id_y 1
		.amdhsa_system_sgpr_workgroup_id_z 1
		.amdhsa_system_sgpr_workgroup_info 0
		.amdhsa_system_vgpr_workitem_id 1
		.amdhsa_next_free_vgpr 66
		.amdhsa_next_free_sgpr 37
		.amdhsa_reserve_vcc 1
		.amdhsa_float_round_mode_32 0
		.amdhsa_float_round_mode_16_64 0
		.amdhsa_float_denorm_mode_32 3
		.amdhsa_float_denorm_mode_16_64 3
		.amdhsa_fp16_overflow 0
		.amdhsa_workgroup_processor_mode 1
		.amdhsa_memory_ordered 1
		.amdhsa_forward_progress 1
		.amdhsa_inst_pref_size 21
		.amdhsa_round_robin_scheduling 0
		.amdhsa_exception_fp_ieee_invalid_op 0
		.amdhsa_exception_fp_denorm_src 0
		.amdhsa_exception_fp_ieee_div_zero 0
		.amdhsa_exception_fp_ieee_overflow 0
		.amdhsa_exception_fp_ieee_underflow 0
		.amdhsa_exception_fp_ieee_inexact 0
		.amdhsa_exception_int_div_zero 0
	.end_amdhsa_kernel
	.section	.text._ZN12_GLOBAL__N_127rocblas_gemm_batched_kernelIfLi16ELi16ELi64ELi64ELi4ELi64ELi4ELi4ELi64ELc78ELc84EKfS1_fEEvlllT_PT11_llS4_llS2_PT12_llPT13_lli,"axG",@progbits,_ZN12_GLOBAL__N_127rocblas_gemm_batched_kernelIfLi16ELi16ELi64ELi64ELi4ELi64ELi4ELi4ELi64ELc78ELc84EKfS1_fEEvlllT_PT11_llS4_llS2_PT12_llPT13_lli,comdat
.Lfunc_end33:
	.size	_ZN12_GLOBAL__N_127rocblas_gemm_batched_kernelIfLi16ELi16ELi64ELi64ELi4ELi64ELi4ELi4ELi64ELc78ELc84EKfS1_fEEvlllT_PT11_llS4_llS2_PT12_llPT13_lli, .Lfunc_end33-_ZN12_GLOBAL__N_127rocblas_gemm_batched_kernelIfLi16ELi16ELi64ELi64ELi4ELi64ELi4ELi4ELi64ELc78ELc84EKfS1_fEEvlllT_PT11_llS4_llS2_PT12_llPT13_lli
                                        ; -- End function
	.set _ZN12_GLOBAL__N_127rocblas_gemm_batched_kernelIfLi16ELi16ELi64ELi64ELi4ELi64ELi4ELi4ELi64ELc78ELc84EKfS1_fEEvlllT_PT11_llS4_llS2_PT12_llPT13_lli.num_vgpr, 66
	.set _ZN12_GLOBAL__N_127rocblas_gemm_batched_kernelIfLi16ELi16ELi64ELi64ELi4ELi64ELi4ELi4ELi64ELc78ELc84EKfS1_fEEvlllT_PT11_llS4_llS2_PT12_llPT13_lli.num_agpr, 0
	.set _ZN12_GLOBAL__N_127rocblas_gemm_batched_kernelIfLi16ELi16ELi64ELi64ELi4ELi64ELi4ELi4ELi64ELc78ELc84EKfS1_fEEvlllT_PT11_llS4_llS2_PT12_llPT13_lli.numbered_sgpr, 37
	.set _ZN12_GLOBAL__N_127rocblas_gemm_batched_kernelIfLi16ELi16ELi64ELi64ELi4ELi64ELi4ELi4ELi64ELc78ELc84EKfS1_fEEvlllT_PT11_llS4_llS2_PT12_llPT13_lli.num_named_barrier, 0
	.set _ZN12_GLOBAL__N_127rocblas_gemm_batched_kernelIfLi16ELi16ELi64ELi64ELi4ELi64ELi4ELi4ELi64ELc78ELc84EKfS1_fEEvlllT_PT11_llS4_llS2_PT12_llPT13_lli.private_seg_size, 0
	.set _ZN12_GLOBAL__N_127rocblas_gemm_batched_kernelIfLi16ELi16ELi64ELi64ELi4ELi64ELi4ELi4ELi64ELc78ELc84EKfS1_fEEvlllT_PT11_llS4_llS2_PT12_llPT13_lli.uses_vcc, 1
	.set _ZN12_GLOBAL__N_127rocblas_gemm_batched_kernelIfLi16ELi16ELi64ELi64ELi4ELi64ELi4ELi4ELi64ELc78ELc84EKfS1_fEEvlllT_PT11_llS4_llS2_PT12_llPT13_lli.uses_flat_scratch, 0
	.set _ZN12_GLOBAL__N_127rocblas_gemm_batched_kernelIfLi16ELi16ELi64ELi64ELi4ELi64ELi4ELi4ELi64ELc78ELc84EKfS1_fEEvlllT_PT11_llS4_llS2_PT12_llPT13_lli.has_dyn_sized_stack, 0
	.set _ZN12_GLOBAL__N_127rocblas_gemm_batched_kernelIfLi16ELi16ELi64ELi64ELi4ELi64ELi4ELi4ELi64ELc78ELc84EKfS1_fEEvlllT_PT11_llS4_llS2_PT12_llPT13_lli.has_recursion, 0
	.set _ZN12_GLOBAL__N_127rocblas_gemm_batched_kernelIfLi16ELi16ELi64ELi64ELi4ELi64ELi4ELi4ELi64ELc78ELc84EKfS1_fEEvlllT_PT11_llS4_llS2_PT12_llPT13_lli.has_indirect_call, 0
	.section	.AMDGPU.csdata,"",@progbits
; Kernel info:
; codeLenInByte = 2684
; TotalNumSgprs: 39
; NumVgprs: 66
; ScratchSize: 0
; MemoryBound: 0
; FloatMode: 240
; IeeeMode: 1
; LDSByteSize: 2048 bytes/workgroup (compile time only)
; SGPRBlocks: 0
; VGPRBlocks: 8
; NumSGPRsForWavesPerEU: 39
; NumVGPRsForWavesPerEU: 66
; Occupancy: 16
; WaveLimiterHint : 0
; COMPUTE_PGM_RSRC2:SCRATCH_EN: 0
; COMPUTE_PGM_RSRC2:USER_SGPR: 2
; COMPUTE_PGM_RSRC2:TRAP_HANDLER: 0
; COMPUTE_PGM_RSRC2:TGID_X_EN: 1
; COMPUTE_PGM_RSRC2:TGID_Y_EN: 1
; COMPUTE_PGM_RSRC2:TGID_Z_EN: 1
; COMPUTE_PGM_RSRC2:TIDIG_COMP_CNT: 1
	.section	.text._ZN12_GLOBAL__N_127rocblas_gemm_batched_kernelIfLi16ELi16ELi64ELi64ELi4ELi64ELi4ELi4ELi64ELc84ELc84EKfS1_fEEvlllT_PT11_llS4_llS2_PT12_llPT13_lli,"axG",@progbits,_ZN12_GLOBAL__N_127rocblas_gemm_batched_kernelIfLi16ELi16ELi64ELi64ELi4ELi64ELi4ELi4ELi64ELc84ELc84EKfS1_fEEvlllT_PT11_llS4_llS2_PT12_llPT13_lli,comdat
	.globl	_ZN12_GLOBAL__N_127rocblas_gemm_batched_kernelIfLi16ELi16ELi64ELi64ELi4ELi64ELi4ELi4ELi64ELc84ELc84EKfS1_fEEvlllT_PT11_llS4_llS2_PT12_llPT13_lli ; -- Begin function _ZN12_GLOBAL__N_127rocblas_gemm_batched_kernelIfLi16ELi16ELi64ELi64ELi4ELi64ELi4ELi4ELi64ELc84ELc84EKfS1_fEEvlllT_PT11_llS4_llS2_PT12_llPT13_lli
	.p2align	8
	.type	_ZN12_GLOBAL__N_127rocblas_gemm_batched_kernelIfLi16ELi16ELi64ELi64ELi4ELi64ELi4ELi4ELi64ELc84ELc84EKfS1_fEEvlllT_PT11_llS4_llS2_PT12_llPT13_lli,@function
_ZN12_GLOBAL__N_127rocblas_gemm_batched_kernelIfLi16ELi16ELi64ELi64ELi4ELi64ELi4ELi4ELi64ELc84ELc84EKfS1_fEEvlllT_PT11_llS4_llS2_PT12_llPT13_lli: ; @_ZN12_GLOBAL__N_127rocblas_gemm_batched_kernelIfLi16ELi16ELi64ELi64ELi4ELi64ELi4ELi4ELi64ELc84ELc84EKfS1_fEEvlllT_PT11_llS4_llS2_PT12_llPT13_lli
; %bb.0:
	s_load_b32 s27, s[0:1], 0x88
	s_lshr_b32 s28, ttmp7, 16
	s_wait_kmcnt 0x0
	s_cmp_ge_i32 s28, s27
	s_cbranch_scc1 .LBB34_10
; %bb.1:
	v_bfe_u32 v2, v0, 10, 10
	s_clause 0x1
	s_load_b96 s[24:26], s[0:1], 0x10
	s_load_b128 s[16:19], s[0:1], 0x78
	v_dual_mov_b32 v1, 0 :: v_dual_and_b32 v8, 0x3ff, v0
	s_clause 0x3
	s_load_b256 s[8:15], s[0:1], 0x20
	s_load_b128 s[20:23], s[0:1], 0x40
	s_load_b32 s30, s[0:1], 0x50
	s_load_b256 s[0:7], s[0:1], 0x58
	v_lshlrev_b32_e32 v6, 4, v2
	v_and_b32_e32 v9, 3, v0
	s_lshl_b32 s31, ttmp7, 6
	s_mov_b32 s34, ttmp9
	s_and_b32 s33, s31, 0x3fffc0
	v_add_nc_u32_e32 v3, v6, v8
	v_lshlrev_b32_e32 v4, 2, v9
	v_add_nc_u32_e32 v7, s33, v2
	v_add_nc_u32_e32 v15, 0x400, v6
	s_ashr_i32 s35, ttmp9, 31
	v_and_b32_e32 v10, 63, v3
	v_lshrrev_b32_e32 v0, 2, v3
	v_lshrrev_b32_e32 v18, 6, v3
	s_lshl_b64 s[34:35], s[34:35], 6
	v_lshlrev_b32_e32 v14, 2, v8
	v_lshlrev_b32_e32 v2, 2, v10
	v_lshl_or_b32 v11, v0, 4, v4
	s_wait_kmcnt 0x0
	v_mad_co_u64_u32 v[4:5], null, v7, s16, 0
	v_mad_co_u64_u32 v[0:1], null, s20, v9, v[0:1]
	v_lshl_or_b32 v12, v18, 8, v2
	v_mad_co_u64_u32 v[2:3], null, v7, s2, 0
	v_add_nc_u32_e32 v13, 0x400, v11
	v_mad_co_u64_u32 v[5:6], null, v7, s17, v[5:6]
	s_cmp_eq_f32 s30, 0
	v_add_co_u32 v0, vcc_lo, v0, s33
	v_mad_co_u64_u32 v[6:7], null, v7, s3, v[3:4]
	v_add_co_u32 v7, s36, s34, v8
	s_cselect_b32 s31, -1, 0
	v_add_co_ci_u32_e64 v8, null, s35, 0, s36
	s_lshl_b64 s[36:37], s[2:3], 4
	v_mov_b32_e32 v3, v6
	v_or_b32_e32 v11, s34, v10
	v_mad_co_u64_u32 v[9:10], null, s21, v9, v[1:2]
	s_mul_i32 s2, s10, s35
	v_lshlrev_b64_e32 v[2:3], 2, v[2:3]
	v_mul_lo_u32 v6, s11, v11
	v_mad_co_u64_u32 v[10:11], null, s10, v11, 0
	v_lshlrev_b64_e32 v[4:5], 2, v[4:5]
	v_add_co_ci_u32_e64 v1, null, 0, v9, vcc_lo
	v_add_co_u32 v16, vcc_lo, s0, v2
	s_wait_alu 0xfffd
	v_add_co_ci_u32_e64 v17, null, s1, v3, vcc_lo
	s_wait_alu 0xfffe
	v_add3_u32 v11, v11, s2, v6
	v_lshlrev_b64_e32 v[0:1], 2, v[0:1]
	v_lshlrev_b32_e32 v6, 2, v18
	v_cmp_gt_i64_e64 s0, s[24:25], 0
	s_lshl_b64 s[16:17], s[16:17], 4
	v_lshlrev_b64_e32 v[2:3], 2, v[10:11]
	s_mov_b32 s29, 0
	v_add_co_u32 v0, vcc_lo, s14, v0
	s_wait_alu 0xfffd
	v_add_co_ci_u32_e64 v1, null, s15, v1, vcc_lo
	s_delay_alu instid0(VALU_DEP_3) | instskip(SKIP_3) | instid1(VALU_DEP_3)
	v_add_co_u32 v2, vcc_lo, v2, v6
	s_wait_alu 0xfffd
	v_add_co_ci_u32_e64 v3, null, 0, v3, vcc_lo
	v_cndmask_b32_e64 v9, 0, 1, s0
	v_add_co_u32 v2, vcc_lo, s8, v2
	v_lshlrev_b64_e32 v[6:7], 2, v[7:8]
	s_wait_alu 0xfffd
	v_add_co_ci_u32_e64 v3, null, s9, v3, vcc_lo
	v_cmp_ne_u32_e64 s0, 1, v9
	s_lshl_b64 s[2:3], s[22:23], 2
	s_lshl_b64 s[10:11], s[20:21], 4
	;; [unrolled: 1-line block ×4, first 2 shown]
	s_wait_alu 0xfffe
	s_lshl_b64 s[14:15], s[16:17], 2
	s_branch .LBB34_3
.LBB34_2:                               ;   in Loop: Header=BB34_3 Depth=1
	s_add_co_i32 s28, s28, 0x10000
	s_wait_alu 0xfffe
	s_cmp_lt_i32 s28, s27
	s_cbranch_scc0 .LBB34_10
.LBB34_3:                               ; =>This Loop Header: Depth=1
                                        ;     Child Loop BB34_5 Depth 2
	v_dual_mov_b32 v33, 0 :: v_dual_mov_b32 v32, 0
	v_dual_mov_b32 v31, 0 :: v_dual_mov_b32 v30, 0
	;; [unrolled: 1-line block ×8, first 2 shown]
	s_and_b32 vcc_lo, exec_lo, s0
	s_wait_alu 0xfffe
	s_cbranch_vccnz .LBB34_6
; %bb.4:                                ;   in Loop: Header=BB34_3 Depth=1
	v_mad_co_u64_u32 v[8:9], null, s2, s28, v[0:1]
	v_mad_co_u64_u32 v[10:11], null, s8, s28, v[2:3]
	v_dual_mov_b32 v18, 0 :: v_dual_mov_b32 v19, 0
	v_dual_mov_b32 v20, 0 :: v_dual_mov_b32 v21, 0
	;; [unrolled: 1-line block ×3, first 2 shown]
	s_delay_alu instid0(VALU_DEP_4) | instskip(SKIP_3) | instid1(VALU_DEP_4)
	v_mad_co_u64_u32 v[28:29], null, s3, s28, v[9:10]
	v_mad_co_u64_u32 v[29:30], null, s9, s28, v[11:12]
	v_dual_mov_b32 v24, 0 :: v_dual_mov_b32 v25, 0
	v_dual_mov_b32 v26, 0 :: v_dual_mov_b32 v27, 0
	;; [unrolled: 1-line block ×3, first 2 shown]
	s_delay_alu instid0(VALU_DEP_4)
	v_dual_mov_b32 v11, v29 :: v_dual_mov_b32 v30, 0
	v_dual_mov_b32 v29, 0 :: v_dual_mov_b32 v32, 0
	v_mov_b32_e32 v31, 0
	v_mov_b32_e32 v33, 0
	s_mov_b64 s[16:17], 0
.LBB34_5:                               ;   Parent Loop BB34_3 Depth=1
                                        ; =>  This Inner Loop Header: Depth=2
	global_load_b32 v34, v[10:11], off
	global_load_b32 v35, v[8:9], off
	s_wait_alu 0xfffe
	s_add_nc_u64 s[16:17], s[16:17], 4
	v_add_co_u32 v8, vcc_lo, v8, s10
	s_wait_alu 0xfffe
	v_cmp_lt_i64_e64 s1, s[16:17], s[24:25]
	s_wait_alu 0xfffd
	v_add_co_ci_u32_e64 v9, null, s11, v9, vcc_lo
	v_add_co_u32 v10, vcc_lo, v10, 16
	s_wait_alu 0xfffd
	v_add_co_ci_u32_e64 v11, null, 0, v11, vcc_lo
	s_and_b32 vcc_lo, exec_lo, s1
	s_wait_loadcnt 0x1
	ds_store_b32 v12, v34
	s_wait_loadcnt 0x0
	ds_store_b32 v13, v35
	s_wait_dscnt 0x0
	s_barrier_signal -1
	s_barrier_wait -1
	global_inv scope:SCOPE_SE
	ds_load_b128 v[34:37], v15
	ds_load_2addr_b32 v[50:51], v14 offset1:16
	ds_load_2addr_b32 v[52:53], v14 offset0:32 offset1:48
	ds_load_b128 v[38:41], v15 offset:256
	ds_load_b128 v[42:45], v15 offset:512
	;; [unrolled: 1-line block ×3, first 2 shown]
	ds_load_2addr_b32 v[54:55], v14 offset0:64 offset1:80
	ds_load_2addr_b32 v[56:57], v14 offset0:96 offset1:112
	;; [unrolled: 1-line block ×6, first 2 shown]
	s_wait_loadcnt_dscnt 0x0
	s_barrier_signal -1
	s_barrier_wait -1
	global_inv scope:SCOPE_SE
	v_fmac_f32_e32 v32, v51, v34
	v_fmac_f32_e32 v33, v50, v34
	;; [unrolled: 1-line block ×15, first 2 shown]
	v_dual_fmac_f32 v19, v52, v46 :: v_dual_fmac_f32 v32, v55, v35
	v_fmac_f32_e32 v33, v54, v35
	v_fmac_f32_e32 v30, v57, v35
	v_fmac_f32_e32 v31, v56, v35
	v_fmac_f32_e32 v28, v55, v39
	v_fmac_f32_e32 v29, v54, v39
	v_fmac_f32_e32 v26, v57, v39
	v_fmac_f32_e32 v27, v56, v39
	v_fmac_f32_e32 v24, v55, v43
	v_fmac_f32_e32 v25, v54, v43
	v_fmac_f32_e32 v22, v57, v43
	v_fmac_f32_e32 v23, v56, v43
	v_fmac_f32_e32 v20, v55, v47
	v_fmac_f32_e32 v21, v54, v47
	v_fmac_f32_e32 v18, v57, v47
	v_dual_fmac_f32 v19, v56, v47 :: v_dual_fmac_f32 v32, v59, v36
	v_fmac_f32_e32 v33, v58, v36
	v_fmac_f32_e32 v30, v61, v36
	v_fmac_f32_e32 v31, v60, v36
	v_fmac_f32_e32 v28, v59, v40
	v_fmac_f32_e32 v29, v58, v40
	v_fmac_f32_e32 v26, v61, v40
	v_fmac_f32_e32 v27, v60, v40
	v_fmac_f32_e32 v24, v59, v44
	v_fmac_f32_e32 v25, v58, v44
	v_fmac_f32_e32 v22, v61, v44
	v_fmac_f32_e32 v23, v60, v44
	v_fmac_f32_e32 v20, v59, v48
	v_fmac_f32_e32 v21, v58, v48
	v_fmac_f32_e32 v18, v61, v48
	;; [unrolled: 15-line block ×3, first 2 shown]
	v_fmac_f32_e32 v19, v64, v49
	s_wait_alu 0xfffe
	s_cbranch_vccnz .LBB34_5
.LBB34_6:                               ;   in Loop: Header=BB34_3 Depth=1
	s_mul_u64 s[16:17], s[18:19], s[28:29]
	s_and_not1_b32 vcc_lo, exec_lo, s31
	s_wait_alu 0xfffe
	s_lshl_b64 s[16:17], s[16:17], 2
	s_wait_alu 0xfffe
	s_add_nc_u64 s[16:17], s[6:7], s[16:17]
	s_cbranch_vccnz .LBB34_8
; %bb.7:                                ;   in Loop: Header=BB34_3 Depth=1
	s_wait_alu 0xfffe
	v_add_co_u32 v10, vcc_lo, s16, v4
	s_wait_alu 0xfffd
	v_add_co_ci_u32_e64 v11, null, s17, v5, vcc_lo
	v_dual_mul_f32 v34, s26, v33 :: v_dual_mul_f32 v35, s26, v32
	s_delay_alu instid0(VALU_DEP_3) | instskip(SKIP_1) | instid1(VALU_DEP_3)
	v_add_co_u32 v8, vcc_lo, v10, v6
	s_wait_alu 0xfffd
	v_add_co_ci_u32_e64 v9, null, v11, v7, vcc_lo
	v_add_co_u32 v10, vcc_lo, v10, s14
	v_dual_mul_f32 v36, s26, v31 :: v_dual_mul_f32 v37, s26, v30
	s_wait_alu 0xfffd
	v_add_co_ci_u32_e64 v11, null, s15, v11, vcc_lo
	s_clause 0x3
	global_store_b32 v[8:9], v34, off
	global_store_b32 v[8:9], v35, off offset:64
	global_store_b32 v[8:9], v36, off offset:128
	;; [unrolled: 1-line block ×3, first 2 shown]
	v_add_co_u32 v8, vcc_lo, v10, v6
	s_wait_alu 0xfffd
	v_add_co_ci_u32_e64 v9, null, v11, v7, vcc_lo
	v_add_co_u32 v38, vcc_lo, v10, s14
	s_wait_alu 0xfffd
	v_add_co_ci_u32_e64 v39, null, s15, v11, vcc_lo
	v_dual_mul_f32 v34, s26, v29 :: v_dual_mul_f32 v35, s26, v28
	v_dual_mul_f32 v36, s26, v27 :: v_dual_mul_f32 v37, s26, v26
	v_add_co_u32 v10, vcc_lo, v38, v6
	v_dual_mul_f32 v40, s26, v25 :: v_dual_mul_f32 v41, s26, v24
	s_wait_alu 0xfffd
	v_add_co_ci_u32_e64 v11, null, v39, v7, vcc_lo
	v_dual_mul_f32 v42, s26, v23 :: v_dual_mul_f32 v43, s26, v22
	s_clause 0x7
	global_store_b32 v[8:9], v34, off
	global_store_b32 v[8:9], v35, off offset:64
	global_store_b32 v[8:9], v36, off offset:128
	global_store_b32 v[8:9], v37, off offset:192
	global_store_b32 v[10:11], v40, off
	global_store_b32 v[10:11], v41, off offset:64
	global_store_b32 v[10:11], v42, off offset:128
	global_store_b32 v[10:11], v43, off offset:192
	v_add_co_u32 v8, vcc_lo, v38, s14
	s_wait_alu 0xfffd
	v_add_co_ci_u32_e64 v9, null, s15, v39, vcc_lo
	v_dual_mul_f32 v10, s26, v21 :: v_dual_mul_f32 v11, s26, v20
	s_delay_alu instid0(VALU_DEP_3) | instskip(SKIP_1) | instid1(VALU_DEP_3)
	v_add_co_u32 v8, vcc_lo, v8, v6
	s_wait_alu 0xfffd
	v_add_co_ci_u32_e64 v9, null, v9, v7, vcc_lo
	v_dual_mul_f32 v34, s26, v19 :: v_dual_mul_f32 v35, s26, v18
	s_clause 0x3
	global_store_b32 v[8:9], v10, off
	global_store_b32 v[8:9], v11, off offset:64
	global_store_b32 v[8:9], v34, off offset:128
	;; [unrolled: 1-line block ×3, first 2 shown]
	s_cbranch_execnz .LBB34_2
	s_branch .LBB34_9
.LBB34_8:                               ;   in Loop: Header=BB34_3 Depth=1
.LBB34_9:                               ;   in Loop: Header=BB34_3 Depth=1
	s_mul_u64 s[20:21], s[4:5], s[28:29]
	s_wait_alu 0xfffe
	s_lshl_b64 s[20:21], s[20:21], 2
	s_wait_alu 0xfffe
	v_add_co_u32 v34, vcc_lo, v16, s20
	s_wait_alu 0xfffd
	v_add_co_ci_u32_e64 v35, null, s21, v17, vcc_lo
	s_delay_alu instid0(VALU_DEP_2) | instskip(SKIP_1) | instid1(VALU_DEP_2)
	v_add_co_u32 v8, vcc_lo, v34, v6
	s_wait_alu 0xfffd
	v_add_co_ci_u32_e64 v9, null, v35, v7, vcc_lo
	v_add_co_u32 v36, vcc_lo, s16, v4
	s_wait_alu 0xfffd
	v_add_co_ci_u32_e64 v37, null, s17, v5, vcc_lo
	global_load_b32 v10, v[8:9], off
	s_wait_loadcnt 0x0
	v_mul_f32_e32 v38, s30, v10
	v_add_co_u32 v10, vcc_lo, v36, v6
	s_wait_alu 0xfffd
	v_add_co_ci_u32_e64 v11, null, v37, v7, vcc_lo
	s_delay_alu instid0(VALU_DEP_3) | instskip(SKIP_4) | instid1(VALU_DEP_1)
	v_fmac_f32_e32 v38, s26, v33
	global_store_b32 v[10:11], v38, off
	global_load_b32 v33, v[8:9], off offset:64
	s_wait_loadcnt 0x0
	v_mul_f32_e32 v33, s30, v33
	v_fmac_f32_e32 v33, s26, v32
	global_store_b32 v[10:11], v33, off offset:64
	global_load_b32 v32, v[8:9], off offset:128
	s_wait_loadcnt 0x0
	v_mul_f32_e32 v32, s30, v32
	s_delay_alu instid0(VALU_DEP_1)
	v_fmac_f32_e32 v32, s26, v31
	global_store_b32 v[10:11], v32, off offset:128
	global_load_b32 v8, v[8:9], off offset:192
	v_add_co_u32 v32, vcc_lo, v34, s12
	s_wait_alu 0xfffd
	v_add_co_ci_u32_e64 v33, null, s13, v35, vcc_lo
	s_wait_loadcnt 0x0
	v_mul_f32_e32 v31, s30, v8
	v_add_co_u32 v8, vcc_lo, v32, v6
	s_wait_alu 0xfffd
	v_add_co_ci_u32_e64 v9, null, v33, v7, vcc_lo
	s_delay_alu instid0(VALU_DEP_3)
	v_fmac_f32_e32 v31, s26, v30
	v_add_co_u32 v30, vcc_lo, v36, s14
	global_store_b32 v[10:11], v31, off offset:192
	global_load_b32 v10, v[8:9], off
	s_wait_alu 0xfffd
	v_add_co_ci_u32_e64 v31, null, s15, v37, vcc_lo
	s_wait_loadcnt 0x0
	v_mul_f32_e32 v34, s30, v10
	v_add_co_u32 v10, vcc_lo, v30, v6
	s_wait_alu 0xfffd
	v_add_co_ci_u32_e64 v11, null, v31, v7, vcc_lo
	s_delay_alu instid0(VALU_DEP_3) | instskip(SKIP_4) | instid1(VALU_DEP_1)
	v_fmac_f32_e32 v34, s26, v29
	global_store_b32 v[10:11], v34, off
	global_load_b32 v29, v[8:9], off offset:64
	s_wait_loadcnt 0x0
	v_mul_f32_e32 v29, s30, v29
	v_fmac_f32_e32 v29, s26, v28
	global_store_b32 v[10:11], v29, off offset:64
	global_load_b32 v28, v[8:9], off offset:128
	s_wait_loadcnt 0x0
	v_mul_f32_e32 v28, s30, v28
	s_delay_alu instid0(VALU_DEP_1)
	v_fmac_f32_e32 v28, s26, v27
	global_store_b32 v[10:11], v28, off offset:128
	global_load_b32 v8, v[8:9], off offset:192
	v_add_co_u32 v28, vcc_lo, v32, s12
	s_wait_alu 0xfffd
	v_add_co_ci_u32_e64 v29, null, s13, v33, vcc_lo
	s_wait_loadcnt 0x0
	v_mul_f32_e32 v27, s30, v8
	v_add_co_u32 v8, vcc_lo, v28, v6
	s_wait_alu 0xfffd
	v_add_co_ci_u32_e64 v9, null, v29, v7, vcc_lo
	s_delay_alu instid0(VALU_DEP_3)
	v_fmac_f32_e32 v27, s26, v26
	v_add_co_u32 v26, vcc_lo, v30, s14
	global_store_b32 v[10:11], v27, off offset:192
	global_load_b32 v10, v[8:9], off
	s_wait_alu 0xfffd
	v_add_co_ci_u32_e64 v27, null, s15, v31, vcc_lo
	s_wait_loadcnt 0x0
	v_mul_f32_e32 v30, s30, v10
	v_add_co_u32 v10, vcc_lo, v26, v6
	s_wait_alu 0xfffd
	v_add_co_ci_u32_e64 v11, null, v27, v7, vcc_lo
	s_delay_alu instid0(VALU_DEP_3) | instskip(SKIP_4) | instid1(VALU_DEP_1)
	v_fmac_f32_e32 v30, s26, v25
	global_store_b32 v[10:11], v30, off
	global_load_b32 v25, v[8:9], off offset:64
	s_wait_loadcnt 0x0
	v_mul_f32_e32 v25, s30, v25
	v_fmac_f32_e32 v25, s26, v24
	global_store_b32 v[10:11], v25, off offset:64
	global_load_b32 v24, v[8:9], off offset:128
	s_wait_loadcnt 0x0
	v_mul_f32_e32 v24, s30, v24
	s_delay_alu instid0(VALU_DEP_1)
	v_fmac_f32_e32 v24, s26, v23
	global_store_b32 v[10:11], v24, off offset:128
	global_load_b32 v8, v[8:9], off offset:192
	s_wait_loadcnt 0x0
	v_mul_f32_e32 v23, s30, v8
	v_add_co_u32 v8, vcc_lo, v28, s12
	s_wait_alu 0xfffd
	v_add_co_ci_u32_e64 v9, null, s13, v29, vcc_lo
	s_delay_alu instid0(VALU_DEP_3) | instskip(NEXT) | instid1(VALU_DEP_3)
	v_fmac_f32_e32 v23, s26, v22
	v_add_co_u32 v8, vcc_lo, v8, v6
	s_wait_alu 0xfffd
	s_delay_alu instid0(VALU_DEP_3)
	v_add_co_ci_u32_e64 v9, null, v9, v7, vcc_lo
	global_store_b32 v[10:11], v23, off offset:192
	global_load_b32 v10, v[8:9], off
	s_wait_loadcnt 0x0
	v_mul_f32_e32 v22, s30, v10
	v_add_co_u32 v10, vcc_lo, v26, s14
	s_wait_alu 0xfffd
	v_add_co_ci_u32_e64 v11, null, s15, v27, vcc_lo
	s_delay_alu instid0(VALU_DEP_3) | instskip(NEXT) | instid1(VALU_DEP_3)
	v_fmac_f32_e32 v22, s26, v21
	v_add_co_u32 v10, vcc_lo, v10, v6
	s_wait_alu 0xfffd
	s_delay_alu instid0(VALU_DEP_3) | instskip(SKIP_4) | instid1(VALU_DEP_1)
	v_add_co_ci_u32_e64 v11, null, v11, v7, vcc_lo
	global_store_b32 v[10:11], v22, off
	global_load_b32 v21, v[8:9], off offset:64
	s_wait_loadcnt 0x0
	v_mul_f32_e32 v21, s30, v21
	v_fmac_f32_e32 v21, s26, v20
	global_store_b32 v[10:11], v21, off offset:64
	global_load_b32 v20, v[8:9], off offset:128
	s_wait_loadcnt 0x0
	v_mul_f32_e32 v20, s30, v20
	s_delay_alu instid0(VALU_DEP_1) | instskip(SKIP_4) | instid1(VALU_DEP_1)
	v_fmac_f32_e32 v20, s26, v19
	global_store_b32 v[10:11], v20, off offset:128
	global_load_b32 v8, v[8:9], off offset:192
	s_wait_loadcnt 0x0
	v_mul_f32_e32 v8, s30, v8
	v_fmac_f32_e32 v8, s26, v18
	global_store_b32 v[10:11], v8, off offset:192
	s_branch .LBB34_2
.LBB34_10:
	s_endpgm
	.section	.rodata,"a",@progbits
	.p2align	6, 0x0
	.amdhsa_kernel _ZN12_GLOBAL__N_127rocblas_gemm_batched_kernelIfLi16ELi16ELi64ELi64ELi4ELi64ELi4ELi4ELi64ELc84ELc84EKfS1_fEEvlllT_PT11_llS4_llS2_PT12_llPT13_lli
		.amdhsa_group_segment_fixed_size 2048
		.amdhsa_private_segment_fixed_size 0
		.amdhsa_kernarg_size 140
		.amdhsa_user_sgpr_count 2
		.amdhsa_user_sgpr_dispatch_ptr 0
		.amdhsa_user_sgpr_queue_ptr 0
		.amdhsa_user_sgpr_kernarg_segment_ptr 1
		.amdhsa_user_sgpr_dispatch_id 0
		.amdhsa_user_sgpr_private_segment_size 0
		.amdhsa_wavefront_size32 1
		.amdhsa_uses_dynamic_stack 0
		.amdhsa_enable_private_segment 0
		.amdhsa_system_sgpr_workgroup_id_x 1
		.amdhsa_system_sgpr_workgroup_id_y 1
		.amdhsa_system_sgpr_workgroup_id_z 1
		.amdhsa_system_sgpr_workgroup_info 0
		.amdhsa_system_vgpr_workitem_id 1
		.amdhsa_next_free_vgpr 66
		.amdhsa_next_free_sgpr 38
		.amdhsa_reserve_vcc 1
		.amdhsa_float_round_mode_32 0
		.amdhsa_float_round_mode_16_64 0
		.amdhsa_float_denorm_mode_32 3
		.amdhsa_float_denorm_mode_16_64 3
		.amdhsa_fp16_overflow 0
		.amdhsa_workgroup_processor_mode 1
		.amdhsa_memory_ordered 1
		.amdhsa_forward_progress 1
		.amdhsa_inst_pref_size 21
		.amdhsa_round_robin_scheduling 0
		.amdhsa_exception_fp_ieee_invalid_op 0
		.amdhsa_exception_fp_denorm_src 0
		.amdhsa_exception_fp_ieee_div_zero 0
		.amdhsa_exception_fp_ieee_overflow 0
		.amdhsa_exception_fp_ieee_underflow 0
		.amdhsa_exception_fp_ieee_inexact 0
		.amdhsa_exception_int_div_zero 0
	.end_amdhsa_kernel
	.section	.text._ZN12_GLOBAL__N_127rocblas_gemm_batched_kernelIfLi16ELi16ELi64ELi64ELi4ELi64ELi4ELi4ELi64ELc84ELc84EKfS1_fEEvlllT_PT11_llS4_llS2_PT12_llPT13_lli,"axG",@progbits,_ZN12_GLOBAL__N_127rocblas_gemm_batched_kernelIfLi16ELi16ELi64ELi64ELi4ELi64ELi4ELi4ELi64ELc84ELc84EKfS1_fEEvlllT_PT11_llS4_llS2_PT12_llPT13_lli,comdat
.Lfunc_end34:
	.size	_ZN12_GLOBAL__N_127rocblas_gemm_batched_kernelIfLi16ELi16ELi64ELi64ELi4ELi64ELi4ELi4ELi64ELc84ELc84EKfS1_fEEvlllT_PT11_llS4_llS2_PT12_llPT13_lli, .Lfunc_end34-_ZN12_GLOBAL__N_127rocblas_gemm_batched_kernelIfLi16ELi16ELi64ELi64ELi4ELi64ELi4ELi4ELi64ELc84ELc84EKfS1_fEEvlllT_PT11_llS4_llS2_PT12_llPT13_lli
                                        ; -- End function
	.set _ZN12_GLOBAL__N_127rocblas_gemm_batched_kernelIfLi16ELi16ELi64ELi64ELi4ELi64ELi4ELi4ELi64ELc84ELc84EKfS1_fEEvlllT_PT11_llS4_llS2_PT12_llPT13_lli.num_vgpr, 66
	.set _ZN12_GLOBAL__N_127rocblas_gemm_batched_kernelIfLi16ELi16ELi64ELi64ELi4ELi64ELi4ELi4ELi64ELc84ELc84EKfS1_fEEvlllT_PT11_llS4_llS2_PT12_llPT13_lli.num_agpr, 0
	.set _ZN12_GLOBAL__N_127rocblas_gemm_batched_kernelIfLi16ELi16ELi64ELi64ELi4ELi64ELi4ELi4ELi64ELc84ELc84EKfS1_fEEvlllT_PT11_llS4_llS2_PT12_llPT13_lli.numbered_sgpr, 38
	.set _ZN12_GLOBAL__N_127rocblas_gemm_batched_kernelIfLi16ELi16ELi64ELi64ELi4ELi64ELi4ELi4ELi64ELc84ELc84EKfS1_fEEvlllT_PT11_llS4_llS2_PT12_llPT13_lli.num_named_barrier, 0
	.set _ZN12_GLOBAL__N_127rocblas_gemm_batched_kernelIfLi16ELi16ELi64ELi64ELi4ELi64ELi4ELi4ELi64ELc84ELc84EKfS1_fEEvlllT_PT11_llS4_llS2_PT12_llPT13_lli.private_seg_size, 0
	.set _ZN12_GLOBAL__N_127rocblas_gemm_batched_kernelIfLi16ELi16ELi64ELi64ELi4ELi64ELi4ELi4ELi64ELc84ELc84EKfS1_fEEvlllT_PT11_llS4_llS2_PT12_llPT13_lli.uses_vcc, 1
	.set _ZN12_GLOBAL__N_127rocblas_gemm_batched_kernelIfLi16ELi16ELi64ELi64ELi4ELi64ELi4ELi4ELi64ELc84ELc84EKfS1_fEEvlllT_PT11_llS4_llS2_PT12_llPT13_lli.uses_flat_scratch, 0
	.set _ZN12_GLOBAL__N_127rocblas_gemm_batched_kernelIfLi16ELi16ELi64ELi64ELi4ELi64ELi4ELi4ELi64ELc84ELc84EKfS1_fEEvlllT_PT11_llS4_llS2_PT12_llPT13_lli.has_dyn_sized_stack, 0
	.set _ZN12_GLOBAL__N_127rocblas_gemm_batched_kernelIfLi16ELi16ELi64ELi64ELi4ELi64ELi4ELi4ELi64ELc84ELc84EKfS1_fEEvlllT_PT11_llS4_llS2_PT12_llPT13_lli.has_recursion, 0
	.set _ZN12_GLOBAL__N_127rocblas_gemm_batched_kernelIfLi16ELi16ELi64ELi64ELi4ELi64ELi4ELi4ELi64ELc84ELc84EKfS1_fEEvlllT_PT11_llS4_llS2_PT12_llPT13_lli.has_indirect_call, 0
	.section	.AMDGPU.csdata,"",@progbits
; Kernel info:
; codeLenInByte = 2684
; TotalNumSgprs: 40
; NumVgprs: 66
; ScratchSize: 0
; MemoryBound: 0
; FloatMode: 240
; IeeeMode: 1
; LDSByteSize: 2048 bytes/workgroup (compile time only)
; SGPRBlocks: 0
; VGPRBlocks: 8
; NumSGPRsForWavesPerEU: 40
; NumVGPRsForWavesPerEU: 66
; Occupancy: 16
; WaveLimiterHint : 0
; COMPUTE_PGM_RSRC2:SCRATCH_EN: 0
; COMPUTE_PGM_RSRC2:USER_SGPR: 2
; COMPUTE_PGM_RSRC2:TRAP_HANDLER: 0
; COMPUTE_PGM_RSRC2:TGID_X_EN: 1
; COMPUTE_PGM_RSRC2:TGID_Y_EN: 1
; COMPUTE_PGM_RSRC2:TGID_Z_EN: 1
; COMPUTE_PGM_RSRC2:TIDIG_COMP_CNT: 1
	.section	.text._ZN12_GLOBAL__N_127rocblas_gemm_batched_kernelIfLi16ELi16ELi64ELi64ELi4ELi64ELi4ELi4ELi64ELc67ELc67EKfS1_fEEvlllT_PT11_llS4_llS2_PT12_llPT13_lli,"axG",@progbits,_ZN12_GLOBAL__N_127rocblas_gemm_batched_kernelIfLi16ELi16ELi64ELi64ELi4ELi64ELi4ELi4ELi64ELc67ELc67EKfS1_fEEvlllT_PT11_llS4_llS2_PT12_llPT13_lli,comdat
	.globl	_ZN12_GLOBAL__N_127rocblas_gemm_batched_kernelIfLi16ELi16ELi64ELi64ELi4ELi64ELi4ELi4ELi64ELc67ELc67EKfS1_fEEvlllT_PT11_llS4_llS2_PT12_llPT13_lli ; -- Begin function _ZN12_GLOBAL__N_127rocblas_gemm_batched_kernelIfLi16ELi16ELi64ELi64ELi4ELi64ELi4ELi4ELi64ELc67ELc67EKfS1_fEEvlllT_PT11_llS4_llS2_PT12_llPT13_lli
	.p2align	8
	.type	_ZN12_GLOBAL__N_127rocblas_gemm_batched_kernelIfLi16ELi16ELi64ELi64ELi4ELi64ELi4ELi4ELi64ELc67ELc67EKfS1_fEEvlllT_PT11_llS4_llS2_PT12_llPT13_lli,@function
_ZN12_GLOBAL__N_127rocblas_gemm_batched_kernelIfLi16ELi16ELi64ELi64ELi4ELi64ELi4ELi4ELi64ELc67ELc67EKfS1_fEEvlllT_PT11_llS4_llS2_PT12_llPT13_lli: ; @_ZN12_GLOBAL__N_127rocblas_gemm_batched_kernelIfLi16ELi16ELi64ELi64ELi4ELi64ELi4ELi4ELi64ELc67ELc67EKfS1_fEEvlllT_PT11_llS4_llS2_PT12_llPT13_lli
; %bb.0:
	s_load_b32 s27, s[0:1], 0x88
	s_lshr_b32 s28, ttmp7, 16
	s_wait_kmcnt 0x0
	s_cmp_ge_i32 s28, s27
	s_cbranch_scc1 .LBB35_10
; %bb.1:
	v_bfe_u32 v2, v0, 10, 10
	s_clause 0x1
	s_load_b96 s[24:26], s[0:1], 0x10
	s_load_b128 s[16:19], s[0:1], 0x78
	v_dual_mov_b32 v1, 0 :: v_dual_and_b32 v8, 0x3ff, v0
	s_clause 0x3
	s_load_b256 s[8:15], s[0:1], 0x20
	s_load_b128 s[20:23], s[0:1], 0x40
	s_load_b32 s30, s[0:1], 0x50
	s_load_b256 s[0:7], s[0:1], 0x58
	v_lshlrev_b32_e32 v6, 4, v2
	v_and_b32_e32 v9, 3, v0
	s_lshl_b32 s31, ttmp7, 6
	s_mov_b32 s34, ttmp9
	s_and_b32 s33, s31, 0x3fffc0
	v_add_nc_u32_e32 v3, v6, v8
	v_lshlrev_b32_e32 v4, 2, v9
	v_add_nc_u32_e32 v7, s33, v2
	v_add_nc_u32_e32 v15, 0x400, v6
	s_ashr_i32 s35, ttmp9, 31
	v_and_b32_e32 v10, 63, v3
	v_lshrrev_b32_e32 v0, 2, v3
	v_lshrrev_b32_e32 v18, 6, v3
	s_lshl_b64 s[34:35], s[34:35], 6
	v_lshlrev_b32_e32 v14, 2, v8
	v_lshlrev_b32_e32 v2, 2, v10
	v_lshl_or_b32 v11, v0, 4, v4
	s_wait_kmcnt 0x0
	v_mad_co_u64_u32 v[4:5], null, v7, s16, 0
	v_mad_co_u64_u32 v[0:1], null, s20, v9, v[0:1]
	v_lshl_or_b32 v12, v18, 8, v2
	v_mad_co_u64_u32 v[2:3], null, v7, s2, 0
	v_add_nc_u32_e32 v13, 0x400, v11
	v_mad_co_u64_u32 v[5:6], null, v7, s17, v[5:6]
	s_cmp_eq_f32 s30, 0
	v_add_co_u32 v0, vcc_lo, v0, s33
	v_mad_co_u64_u32 v[6:7], null, v7, s3, v[3:4]
	v_add_co_u32 v7, s36, s34, v8
	s_cselect_b32 s31, -1, 0
	v_add_co_ci_u32_e64 v8, null, s35, 0, s36
	s_lshl_b64 s[36:37], s[2:3], 4
	v_mov_b32_e32 v3, v6
	v_or_b32_e32 v11, s34, v10
	v_mad_co_u64_u32 v[9:10], null, s21, v9, v[1:2]
	s_mul_i32 s2, s10, s35
	v_lshlrev_b64_e32 v[2:3], 2, v[2:3]
	v_mul_lo_u32 v6, s11, v11
	v_mad_co_u64_u32 v[10:11], null, s10, v11, 0
	v_lshlrev_b64_e32 v[4:5], 2, v[4:5]
	v_add_co_ci_u32_e64 v1, null, 0, v9, vcc_lo
	v_add_co_u32 v16, vcc_lo, s0, v2
	s_wait_alu 0xfffd
	v_add_co_ci_u32_e64 v17, null, s1, v3, vcc_lo
	s_wait_alu 0xfffe
	v_add3_u32 v11, v11, s2, v6
	v_lshlrev_b64_e32 v[0:1], 2, v[0:1]
	v_lshlrev_b32_e32 v6, 2, v18
	v_cmp_gt_i64_e64 s0, s[24:25], 0
	s_lshl_b64 s[16:17], s[16:17], 4
	v_lshlrev_b64_e32 v[2:3], 2, v[10:11]
	s_mov_b32 s29, 0
	v_add_co_u32 v0, vcc_lo, s14, v0
	s_wait_alu 0xfffd
	v_add_co_ci_u32_e64 v1, null, s15, v1, vcc_lo
	s_delay_alu instid0(VALU_DEP_3) | instskip(SKIP_3) | instid1(VALU_DEP_3)
	v_add_co_u32 v2, vcc_lo, v2, v6
	s_wait_alu 0xfffd
	v_add_co_ci_u32_e64 v3, null, 0, v3, vcc_lo
	v_cndmask_b32_e64 v9, 0, 1, s0
	v_add_co_u32 v2, vcc_lo, s8, v2
	v_lshlrev_b64_e32 v[6:7], 2, v[7:8]
	s_wait_alu 0xfffd
	v_add_co_ci_u32_e64 v3, null, s9, v3, vcc_lo
	v_cmp_ne_u32_e64 s0, 1, v9
	s_lshl_b64 s[2:3], s[22:23], 2
	s_lshl_b64 s[10:11], s[20:21], 4
	;; [unrolled: 1-line block ×4, first 2 shown]
	s_wait_alu 0xfffe
	s_lshl_b64 s[14:15], s[16:17], 2
	s_branch .LBB35_3
.LBB35_2:                               ;   in Loop: Header=BB35_3 Depth=1
	s_add_co_i32 s28, s28, 0x10000
	s_wait_alu 0xfffe
	s_cmp_lt_i32 s28, s27
	s_cbranch_scc0 .LBB35_10
.LBB35_3:                               ; =>This Loop Header: Depth=1
                                        ;     Child Loop BB35_5 Depth 2
	v_dual_mov_b32 v33, 0 :: v_dual_mov_b32 v32, 0
	v_dual_mov_b32 v31, 0 :: v_dual_mov_b32 v30, 0
	;; [unrolled: 1-line block ×8, first 2 shown]
	s_and_b32 vcc_lo, exec_lo, s0
	s_wait_alu 0xfffe
	s_cbranch_vccnz .LBB35_6
; %bb.4:                                ;   in Loop: Header=BB35_3 Depth=1
	v_mad_co_u64_u32 v[8:9], null, s2, s28, v[0:1]
	v_mad_co_u64_u32 v[10:11], null, s8, s28, v[2:3]
	v_dual_mov_b32 v18, 0 :: v_dual_mov_b32 v19, 0
	v_dual_mov_b32 v20, 0 :: v_dual_mov_b32 v21, 0
	;; [unrolled: 1-line block ×3, first 2 shown]
	s_delay_alu instid0(VALU_DEP_4) | instskip(SKIP_3) | instid1(VALU_DEP_4)
	v_mad_co_u64_u32 v[28:29], null, s3, s28, v[9:10]
	v_mad_co_u64_u32 v[29:30], null, s9, s28, v[11:12]
	v_dual_mov_b32 v24, 0 :: v_dual_mov_b32 v25, 0
	v_dual_mov_b32 v26, 0 :: v_dual_mov_b32 v27, 0
	;; [unrolled: 1-line block ×3, first 2 shown]
	s_delay_alu instid0(VALU_DEP_4)
	v_dual_mov_b32 v11, v29 :: v_dual_mov_b32 v30, 0
	v_dual_mov_b32 v29, 0 :: v_dual_mov_b32 v32, 0
	v_mov_b32_e32 v31, 0
	v_mov_b32_e32 v33, 0
	s_mov_b64 s[16:17], 0
.LBB35_5:                               ;   Parent Loop BB35_3 Depth=1
                                        ; =>  This Inner Loop Header: Depth=2
	global_load_b32 v34, v[10:11], off
	global_load_b32 v35, v[8:9], off
	s_wait_alu 0xfffe
	s_add_nc_u64 s[16:17], s[16:17], 4
	v_add_co_u32 v8, vcc_lo, v8, s10
	s_wait_alu 0xfffe
	v_cmp_lt_i64_e64 s1, s[16:17], s[24:25]
	s_wait_alu 0xfffd
	v_add_co_ci_u32_e64 v9, null, s11, v9, vcc_lo
	v_add_co_u32 v10, vcc_lo, v10, 16
	s_wait_alu 0xfffd
	v_add_co_ci_u32_e64 v11, null, 0, v11, vcc_lo
	s_and_b32 vcc_lo, exec_lo, s1
	s_wait_loadcnt 0x1
	ds_store_b32 v12, v34
	s_wait_loadcnt 0x0
	ds_store_b32 v13, v35
	s_wait_dscnt 0x0
	s_barrier_signal -1
	s_barrier_wait -1
	global_inv scope:SCOPE_SE
	ds_load_b128 v[34:37], v15
	ds_load_2addr_b32 v[50:51], v14 offset1:16
	ds_load_2addr_b32 v[52:53], v14 offset0:32 offset1:48
	ds_load_b128 v[38:41], v15 offset:256
	ds_load_b128 v[42:45], v15 offset:512
	;; [unrolled: 1-line block ×3, first 2 shown]
	ds_load_2addr_b32 v[54:55], v14 offset0:64 offset1:80
	ds_load_2addr_b32 v[56:57], v14 offset0:96 offset1:112
	;; [unrolled: 1-line block ×6, first 2 shown]
	s_wait_loadcnt_dscnt 0x0
	s_barrier_signal -1
	s_barrier_wait -1
	global_inv scope:SCOPE_SE
	v_fmac_f32_e32 v32, v51, v34
	v_fmac_f32_e32 v33, v50, v34
	;; [unrolled: 1-line block ×15, first 2 shown]
	v_dual_fmac_f32 v19, v52, v46 :: v_dual_fmac_f32 v32, v55, v35
	v_fmac_f32_e32 v33, v54, v35
	v_fmac_f32_e32 v30, v57, v35
	v_fmac_f32_e32 v31, v56, v35
	v_fmac_f32_e32 v28, v55, v39
	v_fmac_f32_e32 v29, v54, v39
	v_fmac_f32_e32 v26, v57, v39
	v_fmac_f32_e32 v27, v56, v39
	v_fmac_f32_e32 v24, v55, v43
	v_fmac_f32_e32 v25, v54, v43
	v_fmac_f32_e32 v22, v57, v43
	v_fmac_f32_e32 v23, v56, v43
	v_fmac_f32_e32 v20, v55, v47
	v_fmac_f32_e32 v21, v54, v47
	v_fmac_f32_e32 v18, v57, v47
	v_dual_fmac_f32 v19, v56, v47 :: v_dual_fmac_f32 v32, v59, v36
	v_fmac_f32_e32 v33, v58, v36
	v_fmac_f32_e32 v30, v61, v36
	v_fmac_f32_e32 v31, v60, v36
	v_fmac_f32_e32 v28, v59, v40
	v_fmac_f32_e32 v29, v58, v40
	v_fmac_f32_e32 v26, v61, v40
	v_fmac_f32_e32 v27, v60, v40
	v_fmac_f32_e32 v24, v59, v44
	v_fmac_f32_e32 v25, v58, v44
	v_fmac_f32_e32 v22, v61, v44
	v_fmac_f32_e32 v23, v60, v44
	v_fmac_f32_e32 v20, v59, v48
	v_fmac_f32_e32 v21, v58, v48
	v_fmac_f32_e32 v18, v61, v48
	v_dual_fmac_f32 v19, v60, v48 :: v_dual_fmac_f32 v32, v63, v37
	v_fmac_f32_e32 v33, v62, v37
	v_fmac_f32_e32 v30, v65, v37
	v_fmac_f32_e32 v31, v64, v37
	v_fmac_f32_e32 v28, v63, v41
	v_fmac_f32_e32 v29, v62, v41
	v_fmac_f32_e32 v26, v65, v41
	v_fmac_f32_e32 v27, v64, v41
	v_fmac_f32_e32 v24, v63, v45
	v_fmac_f32_e32 v25, v62, v45
	v_fmac_f32_e32 v22, v65, v45
	v_fmac_f32_e32 v23, v64, v45
	v_fmac_f32_e32 v20, v63, v49
	v_fmac_f32_e32 v21, v62, v49
	v_fmac_f32_e32 v18, v65, v49
	v_fmac_f32_e32 v19, v64, v49
	s_wait_alu 0xfffe
	s_cbranch_vccnz .LBB35_5
.LBB35_6:                               ;   in Loop: Header=BB35_3 Depth=1
	s_mul_u64 s[16:17], s[18:19], s[28:29]
	s_and_not1_b32 vcc_lo, exec_lo, s31
	s_wait_alu 0xfffe
	s_lshl_b64 s[16:17], s[16:17], 2
	s_wait_alu 0xfffe
	s_add_nc_u64 s[16:17], s[6:7], s[16:17]
	s_cbranch_vccnz .LBB35_8
; %bb.7:                                ;   in Loop: Header=BB35_3 Depth=1
	s_wait_alu 0xfffe
	v_add_co_u32 v10, vcc_lo, s16, v4
	s_wait_alu 0xfffd
	v_add_co_ci_u32_e64 v11, null, s17, v5, vcc_lo
	v_dual_mul_f32 v34, s26, v33 :: v_dual_mul_f32 v35, s26, v32
	s_delay_alu instid0(VALU_DEP_3) | instskip(SKIP_1) | instid1(VALU_DEP_3)
	v_add_co_u32 v8, vcc_lo, v10, v6
	s_wait_alu 0xfffd
	v_add_co_ci_u32_e64 v9, null, v11, v7, vcc_lo
	v_add_co_u32 v10, vcc_lo, v10, s14
	v_dual_mul_f32 v36, s26, v31 :: v_dual_mul_f32 v37, s26, v30
	s_wait_alu 0xfffd
	v_add_co_ci_u32_e64 v11, null, s15, v11, vcc_lo
	s_clause 0x3
	global_store_b32 v[8:9], v34, off
	global_store_b32 v[8:9], v35, off offset:64
	global_store_b32 v[8:9], v36, off offset:128
	global_store_b32 v[8:9], v37, off offset:192
	v_add_co_u32 v8, vcc_lo, v10, v6
	s_wait_alu 0xfffd
	v_add_co_ci_u32_e64 v9, null, v11, v7, vcc_lo
	v_add_co_u32 v38, vcc_lo, v10, s14
	s_wait_alu 0xfffd
	v_add_co_ci_u32_e64 v39, null, s15, v11, vcc_lo
	v_dual_mul_f32 v34, s26, v29 :: v_dual_mul_f32 v35, s26, v28
	v_dual_mul_f32 v36, s26, v27 :: v_dual_mul_f32 v37, s26, v26
	v_add_co_u32 v10, vcc_lo, v38, v6
	v_dual_mul_f32 v40, s26, v25 :: v_dual_mul_f32 v41, s26, v24
	s_wait_alu 0xfffd
	v_add_co_ci_u32_e64 v11, null, v39, v7, vcc_lo
	v_dual_mul_f32 v42, s26, v23 :: v_dual_mul_f32 v43, s26, v22
	s_clause 0x7
	global_store_b32 v[8:9], v34, off
	global_store_b32 v[8:9], v35, off offset:64
	global_store_b32 v[8:9], v36, off offset:128
	;; [unrolled: 1-line block ×3, first 2 shown]
	global_store_b32 v[10:11], v40, off
	global_store_b32 v[10:11], v41, off offset:64
	global_store_b32 v[10:11], v42, off offset:128
	;; [unrolled: 1-line block ×3, first 2 shown]
	v_add_co_u32 v8, vcc_lo, v38, s14
	s_wait_alu 0xfffd
	v_add_co_ci_u32_e64 v9, null, s15, v39, vcc_lo
	v_dual_mul_f32 v10, s26, v21 :: v_dual_mul_f32 v11, s26, v20
	s_delay_alu instid0(VALU_DEP_3) | instskip(SKIP_1) | instid1(VALU_DEP_3)
	v_add_co_u32 v8, vcc_lo, v8, v6
	s_wait_alu 0xfffd
	v_add_co_ci_u32_e64 v9, null, v9, v7, vcc_lo
	v_dual_mul_f32 v34, s26, v19 :: v_dual_mul_f32 v35, s26, v18
	s_clause 0x3
	global_store_b32 v[8:9], v10, off
	global_store_b32 v[8:9], v11, off offset:64
	global_store_b32 v[8:9], v34, off offset:128
	;; [unrolled: 1-line block ×3, first 2 shown]
	s_cbranch_execnz .LBB35_2
	s_branch .LBB35_9
.LBB35_8:                               ;   in Loop: Header=BB35_3 Depth=1
.LBB35_9:                               ;   in Loop: Header=BB35_3 Depth=1
	s_mul_u64 s[20:21], s[4:5], s[28:29]
	s_wait_alu 0xfffe
	s_lshl_b64 s[20:21], s[20:21], 2
	s_wait_alu 0xfffe
	v_add_co_u32 v34, vcc_lo, v16, s20
	s_wait_alu 0xfffd
	v_add_co_ci_u32_e64 v35, null, s21, v17, vcc_lo
	s_delay_alu instid0(VALU_DEP_2) | instskip(SKIP_1) | instid1(VALU_DEP_2)
	v_add_co_u32 v8, vcc_lo, v34, v6
	s_wait_alu 0xfffd
	v_add_co_ci_u32_e64 v9, null, v35, v7, vcc_lo
	v_add_co_u32 v36, vcc_lo, s16, v4
	s_wait_alu 0xfffd
	v_add_co_ci_u32_e64 v37, null, s17, v5, vcc_lo
	global_load_b32 v10, v[8:9], off
	s_wait_loadcnt 0x0
	v_mul_f32_e32 v38, s30, v10
	v_add_co_u32 v10, vcc_lo, v36, v6
	s_wait_alu 0xfffd
	v_add_co_ci_u32_e64 v11, null, v37, v7, vcc_lo
	s_delay_alu instid0(VALU_DEP_3) | instskip(SKIP_4) | instid1(VALU_DEP_1)
	v_fmac_f32_e32 v38, s26, v33
	global_store_b32 v[10:11], v38, off
	global_load_b32 v33, v[8:9], off offset:64
	s_wait_loadcnt 0x0
	v_mul_f32_e32 v33, s30, v33
	v_fmac_f32_e32 v33, s26, v32
	global_store_b32 v[10:11], v33, off offset:64
	global_load_b32 v32, v[8:9], off offset:128
	s_wait_loadcnt 0x0
	v_mul_f32_e32 v32, s30, v32
	s_delay_alu instid0(VALU_DEP_1)
	v_fmac_f32_e32 v32, s26, v31
	global_store_b32 v[10:11], v32, off offset:128
	global_load_b32 v8, v[8:9], off offset:192
	v_add_co_u32 v32, vcc_lo, v34, s12
	s_wait_alu 0xfffd
	v_add_co_ci_u32_e64 v33, null, s13, v35, vcc_lo
	s_wait_loadcnt 0x0
	v_mul_f32_e32 v31, s30, v8
	v_add_co_u32 v8, vcc_lo, v32, v6
	s_wait_alu 0xfffd
	v_add_co_ci_u32_e64 v9, null, v33, v7, vcc_lo
	s_delay_alu instid0(VALU_DEP_3)
	v_fmac_f32_e32 v31, s26, v30
	v_add_co_u32 v30, vcc_lo, v36, s14
	global_store_b32 v[10:11], v31, off offset:192
	global_load_b32 v10, v[8:9], off
	s_wait_alu 0xfffd
	v_add_co_ci_u32_e64 v31, null, s15, v37, vcc_lo
	s_wait_loadcnt 0x0
	v_mul_f32_e32 v34, s30, v10
	v_add_co_u32 v10, vcc_lo, v30, v6
	s_wait_alu 0xfffd
	v_add_co_ci_u32_e64 v11, null, v31, v7, vcc_lo
	s_delay_alu instid0(VALU_DEP_3) | instskip(SKIP_4) | instid1(VALU_DEP_1)
	v_fmac_f32_e32 v34, s26, v29
	global_store_b32 v[10:11], v34, off
	global_load_b32 v29, v[8:9], off offset:64
	s_wait_loadcnt 0x0
	v_mul_f32_e32 v29, s30, v29
	v_fmac_f32_e32 v29, s26, v28
	global_store_b32 v[10:11], v29, off offset:64
	global_load_b32 v28, v[8:9], off offset:128
	s_wait_loadcnt 0x0
	v_mul_f32_e32 v28, s30, v28
	s_delay_alu instid0(VALU_DEP_1)
	v_fmac_f32_e32 v28, s26, v27
	global_store_b32 v[10:11], v28, off offset:128
	global_load_b32 v8, v[8:9], off offset:192
	v_add_co_u32 v28, vcc_lo, v32, s12
	s_wait_alu 0xfffd
	v_add_co_ci_u32_e64 v29, null, s13, v33, vcc_lo
	s_wait_loadcnt 0x0
	v_mul_f32_e32 v27, s30, v8
	v_add_co_u32 v8, vcc_lo, v28, v6
	s_wait_alu 0xfffd
	v_add_co_ci_u32_e64 v9, null, v29, v7, vcc_lo
	s_delay_alu instid0(VALU_DEP_3)
	v_fmac_f32_e32 v27, s26, v26
	v_add_co_u32 v26, vcc_lo, v30, s14
	global_store_b32 v[10:11], v27, off offset:192
	global_load_b32 v10, v[8:9], off
	s_wait_alu 0xfffd
	v_add_co_ci_u32_e64 v27, null, s15, v31, vcc_lo
	s_wait_loadcnt 0x0
	v_mul_f32_e32 v30, s30, v10
	v_add_co_u32 v10, vcc_lo, v26, v6
	s_wait_alu 0xfffd
	v_add_co_ci_u32_e64 v11, null, v27, v7, vcc_lo
	s_delay_alu instid0(VALU_DEP_3) | instskip(SKIP_4) | instid1(VALU_DEP_1)
	v_fmac_f32_e32 v30, s26, v25
	global_store_b32 v[10:11], v30, off
	global_load_b32 v25, v[8:9], off offset:64
	s_wait_loadcnt 0x0
	v_mul_f32_e32 v25, s30, v25
	v_fmac_f32_e32 v25, s26, v24
	global_store_b32 v[10:11], v25, off offset:64
	global_load_b32 v24, v[8:9], off offset:128
	s_wait_loadcnt 0x0
	v_mul_f32_e32 v24, s30, v24
	s_delay_alu instid0(VALU_DEP_1)
	v_fmac_f32_e32 v24, s26, v23
	global_store_b32 v[10:11], v24, off offset:128
	global_load_b32 v8, v[8:9], off offset:192
	s_wait_loadcnt 0x0
	v_mul_f32_e32 v23, s30, v8
	v_add_co_u32 v8, vcc_lo, v28, s12
	s_wait_alu 0xfffd
	v_add_co_ci_u32_e64 v9, null, s13, v29, vcc_lo
	s_delay_alu instid0(VALU_DEP_3) | instskip(NEXT) | instid1(VALU_DEP_3)
	v_fmac_f32_e32 v23, s26, v22
	v_add_co_u32 v8, vcc_lo, v8, v6
	s_wait_alu 0xfffd
	s_delay_alu instid0(VALU_DEP_3)
	v_add_co_ci_u32_e64 v9, null, v9, v7, vcc_lo
	global_store_b32 v[10:11], v23, off offset:192
	global_load_b32 v10, v[8:9], off
	s_wait_loadcnt 0x0
	v_mul_f32_e32 v22, s30, v10
	v_add_co_u32 v10, vcc_lo, v26, s14
	s_wait_alu 0xfffd
	v_add_co_ci_u32_e64 v11, null, s15, v27, vcc_lo
	s_delay_alu instid0(VALU_DEP_3) | instskip(NEXT) | instid1(VALU_DEP_3)
	v_fmac_f32_e32 v22, s26, v21
	v_add_co_u32 v10, vcc_lo, v10, v6
	s_wait_alu 0xfffd
	s_delay_alu instid0(VALU_DEP_3) | instskip(SKIP_4) | instid1(VALU_DEP_1)
	v_add_co_ci_u32_e64 v11, null, v11, v7, vcc_lo
	global_store_b32 v[10:11], v22, off
	global_load_b32 v21, v[8:9], off offset:64
	s_wait_loadcnt 0x0
	v_mul_f32_e32 v21, s30, v21
	v_fmac_f32_e32 v21, s26, v20
	global_store_b32 v[10:11], v21, off offset:64
	global_load_b32 v20, v[8:9], off offset:128
	s_wait_loadcnt 0x0
	v_mul_f32_e32 v20, s30, v20
	s_delay_alu instid0(VALU_DEP_1) | instskip(SKIP_4) | instid1(VALU_DEP_1)
	v_fmac_f32_e32 v20, s26, v19
	global_store_b32 v[10:11], v20, off offset:128
	global_load_b32 v8, v[8:9], off offset:192
	s_wait_loadcnt 0x0
	v_mul_f32_e32 v8, s30, v8
	v_fmac_f32_e32 v8, s26, v18
	global_store_b32 v[10:11], v8, off offset:192
	s_branch .LBB35_2
.LBB35_10:
	s_endpgm
	.section	.rodata,"a",@progbits
	.p2align	6, 0x0
	.amdhsa_kernel _ZN12_GLOBAL__N_127rocblas_gemm_batched_kernelIfLi16ELi16ELi64ELi64ELi4ELi64ELi4ELi4ELi64ELc67ELc67EKfS1_fEEvlllT_PT11_llS4_llS2_PT12_llPT13_lli
		.amdhsa_group_segment_fixed_size 2048
		.amdhsa_private_segment_fixed_size 0
		.amdhsa_kernarg_size 140
		.amdhsa_user_sgpr_count 2
		.amdhsa_user_sgpr_dispatch_ptr 0
		.amdhsa_user_sgpr_queue_ptr 0
		.amdhsa_user_sgpr_kernarg_segment_ptr 1
		.amdhsa_user_sgpr_dispatch_id 0
		.amdhsa_user_sgpr_private_segment_size 0
		.amdhsa_wavefront_size32 1
		.amdhsa_uses_dynamic_stack 0
		.amdhsa_enable_private_segment 0
		.amdhsa_system_sgpr_workgroup_id_x 1
		.amdhsa_system_sgpr_workgroup_id_y 1
		.amdhsa_system_sgpr_workgroup_id_z 1
		.amdhsa_system_sgpr_workgroup_info 0
		.amdhsa_system_vgpr_workitem_id 1
		.amdhsa_next_free_vgpr 66
		.amdhsa_next_free_sgpr 38
		.amdhsa_reserve_vcc 1
		.amdhsa_float_round_mode_32 0
		.amdhsa_float_round_mode_16_64 0
		.amdhsa_float_denorm_mode_32 3
		.amdhsa_float_denorm_mode_16_64 3
		.amdhsa_fp16_overflow 0
		.amdhsa_workgroup_processor_mode 1
		.amdhsa_memory_ordered 1
		.amdhsa_forward_progress 1
		.amdhsa_inst_pref_size 21
		.amdhsa_round_robin_scheduling 0
		.amdhsa_exception_fp_ieee_invalid_op 0
		.amdhsa_exception_fp_denorm_src 0
		.amdhsa_exception_fp_ieee_div_zero 0
		.amdhsa_exception_fp_ieee_overflow 0
		.amdhsa_exception_fp_ieee_underflow 0
		.amdhsa_exception_fp_ieee_inexact 0
		.amdhsa_exception_int_div_zero 0
	.end_amdhsa_kernel
	.section	.text._ZN12_GLOBAL__N_127rocblas_gemm_batched_kernelIfLi16ELi16ELi64ELi64ELi4ELi64ELi4ELi4ELi64ELc67ELc67EKfS1_fEEvlllT_PT11_llS4_llS2_PT12_llPT13_lli,"axG",@progbits,_ZN12_GLOBAL__N_127rocblas_gemm_batched_kernelIfLi16ELi16ELi64ELi64ELi4ELi64ELi4ELi4ELi64ELc67ELc67EKfS1_fEEvlllT_PT11_llS4_llS2_PT12_llPT13_lli,comdat
.Lfunc_end35:
	.size	_ZN12_GLOBAL__N_127rocblas_gemm_batched_kernelIfLi16ELi16ELi64ELi64ELi4ELi64ELi4ELi4ELi64ELc67ELc67EKfS1_fEEvlllT_PT11_llS4_llS2_PT12_llPT13_lli, .Lfunc_end35-_ZN12_GLOBAL__N_127rocblas_gemm_batched_kernelIfLi16ELi16ELi64ELi64ELi4ELi64ELi4ELi4ELi64ELc67ELc67EKfS1_fEEvlllT_PT11_llS4_llS2_PT12_llPT13_lli
                                        ; -- End function
	.set _ZN12_GLOBAL__N_127rocblas_gemm_batched_kernelIfLi16ELi16ELi64ELi64ELi4ELi64ELi4ELi4ELi64ELc67ELc67EKfS1_fEEvlllT_PT11_llS4_llS2_PT12_llPT13_lli.num_vgpr, 66
	.set _ZN12_GLOBAL__N_127rocblas_gemm_batched_kernelIfLi16ELi16ELi64ELi64ELi4ELi64ELi4ELi4ELi64ELc67ELc67EKfS1_fEEvlllT_PT11_llS4_llS2_PT12_llPT13_lli.num_agpr, 0
	.set _ZN12_GLOBAL__N_127rocblas_gemm_batched_kernelIfLi16ELi16ELi64ELi64ELi4ELi64ELi4ELi4ELi64ELc67ELc67EKfS1_fEEvlllT_PT11_llS4_llS2_PT12_llPT13_lli.numbered_sgpr, 38
	.set _ZN12_GLOBAL__N_127rocblas_gemm_batched_kernelIfLi16ELi16ELi64ELi64ELi4ELi64ELi4ELi4ELi64ELc67ELc67EKfS1_fEEvlllT_PT11_llS4_llS2_PT12_llPT13_lli.num_named_barrier, 0
	.set _ZN12_GLOBAL__N_127rocblas_gemm_batched_kernelIfLi16ELi16ELi64ELi64ELi4ELi64ELi4ELi4ELi64ELc67ELc67EKfS1_fEEvlllT_PT11_llS4_llS2_PT12_llPT13_lli.private_seg_size, 0
	.set _ZN12_GLOBAL__N_127rocblas_gemm_batched_kernelIfLi16ELi16ELi64ELi64ELi4ELi64ELi4ELi4ELi64ELc67ELc67EKfS1_fEEvlllT_PT11_llS4_llS2_PT12_llPT13_lli.uses_vcc, 1
	.set _ZN12_GLOBAL__N_127rocblas_gemm_batched_kernelIfLi16ELi16ELi64ELi64ELi4ELi64ELi4ELi4ELi64ELc67ELc67EKfS1_fEEvlllT_PT11_llS4_llS2_PT12_llPT13_lli.uses_flat_scratch, 0
	.set _ZN12_GLOBAL__N_127rocblas_gemm_batched_kernelIfLi16ELi16ELi64ELi64ELi4ELi64ELi4ELi4ELi64ELc67ELc67EKfS1_fEEvlllT_PT11_llS4_llS2_PT12_llPT13_lli.has_dyn_sized_stack, 0
	.set _ZN12_GLOBAL__N_127rocblas_gemm_batched_kernelIfLi16ELi16ELi64ELi64ELi4ELi64ELi4ELi4ELi64ELc67ELc67EKfS1_fEEvlllT_PT11_llS4_llS2_PT12_llPT13_lli.has_recursion, 0
	.set _ZN12_GLOBAL__N_127rocblas_gemm_batched_kernelIfLi16ELi16ELi64ELi64ELi4ELi64ELi4ELi4ELi64ELc67ELc67EKfS1_fEEvlllT_PT11_llS4_llS2_PT12_llPT13_lli.has_indirect_call, 0
	.section	.AMDGPU.csdata,"",@progbits
; Kernel info:
; codeLenInByte = 2684
; TotalNumSgprs: 40
; NumVgprs: 66
; ScratchSize: 0
; MemoryBound: 0
; FloatMode: 240
; IeeeMode: 1
; LDSByteSize: 2048 bytes/workgroup (compile time only)
; SGPRBlocks: 0
; VGPRBlocks: 8
; NumSGPRsForWavesPerEU: 40
; NumVGPRsForWavesPerEU: 66
; Occupancy: 16
; WaveLimiterHint : 0
; COMPUTE_PGM_RSRC2:SCRATCH_EN: 0
; COMPUTE_PGM_RSRC2:USER_SGPR: 2
; COMPUTE_PGM_RSRC2:TRAP_HANDLER: 0
; COMPUTE_PGM_RSRC2:TGID_X_EN: 1
; COMPUTE_PGM_RSRC2:TGID_Y_EN: 1
; COMPUTE_PGM_RSRC2:TGID_Z_EN: 1
; COMPUTE_PGM_RSRC2:TIDIG_COMP_CNT: 1
	.section	.text._ZN12_GLOBAL__N_127rocblas_gemm_batched_kernelIfLi16ELi16ELi64ELi64ELi4ELi64ELi4ELi4ELi64ELc67ELc78EKfS1_fEEvlllT_PT11_llS4_llS2_PT12_llPT13_lli,"axG",@progbits,_ZN12_GLOBAL__N_127rocblas_gemm_batched_kernelIfLi16ELi16ELi64ELi64ELi4ELi64ELi4ELi4ELi64ELc67ELc78EKfS1_fEEvlllT_PT11_llS4_llS2_PT12_llPT13_lli,comdat
	.globl	_ZN12_GLOBAL__N_127rocblas_gemm_batched_kernelIfLi16ELi16ELi64ELi64ELi4ELi64ELi4ELi4ELi64ELc67ELc78EKfS1_fEEvlllT_PT11_llS4_llS2_PT12_llPT13_lli ; -- Begin function _ZN12_GLOBAL__N_127rocblas_gemm_batched_kernelIfLi16ELi16ELi64ELi64ELi4ELi64ELi4ELi4ELi64ELc67ELc78EKfS1_fEEvlllT_PT11_llS4_llS2_PT12_llPT13_lli
	.p2align	8
	.type	_ZN12_GLOBAL__N_127rocblas_gemm_batched_kernelIfLi16ELi16ELi64ELi64ELi4ELi64ELi4ELi4ELi64ELc67ELc78EKfS1_fEEvlllT_PT11_llS4_llS2_PT12_llPT13_lli,@function
_ZN12_GLOBAL__N_127rocblas_gemm_batched_kernelIfLi16ELi16ELi64ELi64ELi4ELi64ELi4ELi4ELi64ELc67ELc78EKfS1_fEEvlllT_PT11_llS4_llS2_PT12_llPT13_lli: ; @_ZN12_GLOBAL__N_127rocblas_gemm_batched_kernelIfLi16ELi16ELi64ELi64ELi4ELi64ELi4ELi4ELi64ELc67ELc78EKfS1_fEEvlllT_PT11_llS4_llS2_PT12_llPT13_lli
; %bb.0:
	s_load_b32 s31, s[0:1], 0x88
	s_lshr_b32 s2, ttmp7, 16
	s_wait_kmcnt 0x0
	s_cmp_ge_i32 s2, s31
	s_cbranch_scc1 .LBB36_10
; %bb.1:
	v_bfe_u32 v1, v0, 10, 10
	s_clause 0x1
	s_load_b96 s[28:30], s[0:1], 0x10
	s_load_b256 s[4:11], s[0:1], 0x58
	v_and_b32_e32 v10, 0x3ff, v0
	s_clause 0x3
	s_load_b256 s[12:19], s[0:1], 0x20
	s_load_b128 s[20:23], s[0:1], 0x78
	s_load_b128 s[24:27], s[0:1], 0x40
	s_load_b32 s1, s[0:1], 0x50
	v_lshlrev_b32_e32 v8, 4, v1
	v_lshlrev_b32_e32 v0, 2, v0
	s_lshl_b32 s3, ttmp7, 6
	s_mov_b32 s34, ttmp9
	s_and_b32 s0, s3, 0x3fffc0
	v_add_nc_u32_e32 v2, v8, v10
	v_and_b32_e32 v11, 12, v0
	v_add_nc_u32_e32 v9, s0, v1
	v_add_nc_u32_e32 v15, 0x400, v8
	s_ashr_i32 s35, ttmp9, 31
	v_and_b32_e32 v16, 63, v2
	v_lshrrev_b32_e32 v3, 2, v2
	v_lshrrev_b32_e32 v18, 6, v2
	s_lshl_b64 s[34:35], s[34:35], 6
	s_mov_b32 s3, 0
	v_lshlrev_b32_e32 v2, 2, v16
	v_lshl_or_b32 v4, v3, 4, v11
	v_add_nc_u32_e32 v17, s0, v3
	s_wait_kmcnt 0x0
	v_mad_co_u64_u32 v[0:1], null, v9, s6, 0
	v_lshl_or_b32 v12, v18, 8, v2
	v_add_nc_u32_e32 v13, 0x400, v4
	v_mad_co_u64_u32 v[4:5], null, v9, s20, 0
	v_mad_co_u64_u32 v[2:3], null, s24, v17, 0
	s_cmp_eq_f32 s1, 0
	s_cselect_b32 s24, -1, 0
	s_lshl_b64 s[36:37], s[6:7], 4
	v_mad_co_u64_u32 v[6:7], null, v9, s7, v[1:2]
	v_dual_mov_b32 v1, v5 :: v_dual_lshlrev_b32 v14, 2, v10
	s_lshl_b64 s[6:7], s[16:17], 2
	s_delay_alu instid0(VALU_DEP_1) | instskip(SKIP_1) | instid1(VALU_DEP_4)
	v_mad_co_u64_u32 v[7:8], null, v9, s21, v[1:2]
	v_mad_co_u64_u32 v[8:9], null, s25, v17, v[3:4]
	v_mov_b32_e32 v1, v6
	v_add_co_u32 v9, s0, s34, v10
	s_wait_alu 0xf1ff
	v_add_co_ci_u32_e64 v10, null, s35, 0, s0
	v_mov_b32_e32 v5, v7
	v_mov_b32_e32 v3, v8
	v_or_b32_e32 v6, s34, v16
	v_lshlrev_b64_e32 v[0:1], 2, v[0:1]
	s_mul_i32 s0, s14, s35
	v_lshlrev_b64_e32 v[4:5], 2, v[4:5]
	v_lshlrev_b64_e32 v[2:3], 2, v[2:3]
	v_mul_lo_u32 v8, s15, v6
	v_mad_co_u64_u32 v[6:7], null, s14, v6, 0
	v_add_co_u32 v16, vcc_lo, s4, v0
	s_delay_alu instid0(VALU_DEP_1) | instskip(SKIP_2) | instid1(VALU_DEP_4)
	v_add_co_ci_u32_e64 v17, null, s5, v1, vcc_lo
	v_add_co_u32 v0, vcc_lo, v2, v11
	s_wait_alu 0xfffe
	v_add3_u32 v7, v7, s0, v8
	s_wait_alu 0xfffd
	v_add_co_ci_u32_e64 v1, null, 0, v3, vcc_lo
	v_cmp_gt_i64_e64 s0, s[28:29], 0
	v_add_co_u32 v0, vcc_lo, s18, v0
	v_lshlrev_b64_e32 v[2:3], 2, v[6:7]
	v_lshlrev_b32_e32 v6, 2, v18
	s_wait_alu 0xfffd
	v_add_co_ci_u32_e64 v1, null, s19, v1, vcc_lo
	s_wait_alu 0xf1ff
	v_cndmask_b32_e64 v8, 0, 1, s0
	s_lshl_b64 s[20:21], s[20:21], 4
	v_add_co_u32 v2, vcc_lo, v2, v6
	s_wait_alu 0xfffd
	v_add_co_ci_u32_e64 v3, null, 0, v3, vcc_lo
	v_lshlrev_b64_e32 v[6:7], 2, v[9:10]
	s_delay_alu instid0(VALU_DEP_3) | instskip(SKIP_1) | instid1(VALU_DEP_3)
	v_add_co_u32 v2, vcc_lo, s12, v2
	s_wait_alu 0xfffd
	v_add_co_ci_u32_e64 v3, null, s13, v3, vcc_lo
	v_cmp_ne_u32_e64 s0, 1, v8
	s_lshl_b64 s[4:5], s[26:27], 2
	s_lshl_b64 s[12:13], s[36:37], 2
	s_wait_alu 0xfffe
	s_lshl_b64 s[14:15], s[20:21], 2
	s_branch .LBB36_3
.LBB36_2:                               ;   in Loop: Header=BB36_3 Depth=1
	s_add_co_i32 s2, s2, 0x10000
	s_wait_alu 0xfffe
	s_cmp_lt_i32 s2, s31
	s_cbranch_scc0 .LBB36_10
.LBB36_3:                               ; =>This Loop Header: Depth=1
                                        ;     Child Loop BB36_5 Depth 2
	v_dual_mov_b32 v33, 0 :: v_dual_mov_b32 v32, 0
	v_dual_mov_b32 v31, 0 :: v_dual_mov_b32 v30, 0
	;; [unrolled: 1-line block ×8, first 2 shown]
	s_and_b32 vcc_lo, exec_lo, s0
	s_wait_alu 0xfffe
	s_cbranch_vccnz .LBB36_6
; %bb.4:                                ;   in Loop: Header=BB36_3 Depth=1
	v_mad_co_u64_u32 v[8:9], null, s4, s2, v[0:1]
	v_mad_co_u64_u32 v[10:11], null, s6, s2, v[2:3]
	v_dual_mov_b32 v18, 0 :: v_dual_mov_b32 v19, 0
	v_dual_mov_b32 v20, 0 :: v_dual_mov_b32 v21, 0
	;; [unrolled: 1-line block ×3, first 2 shown]
	s_delay_alu instid0(VALU_DEP_4) | instskip(SKIP_3) | instid1(VALU_DEP_4)
	v_mad_co_u64_u32 v[28:29], null, s5, s2, v[9:10]
	v_mad_co_u64_u32 v[29:30], null, s7, s2, v[11:12]
	v_dual_mov_b32 v24, 0 :: v_dual_mov_b32 v25, 0
	v_dual_mov_b32 v26, 0 :: v_dual_mov_b32 v27, 0
	;; [unrolled: 1-line block ×3, first 2 shown]
	s_delay_alu instid0(VALU_DEP_4)
	v_dual_mov_b32 v11, v29 :: v_dual_mov_b32 v30, 0
	v_dual_mov_b32 v29, 0 :: v_dual_mov_b32 v32, 0
	v_mov_b32_e32 v31, 0
	v_mov_b32_e32 v33, 0
	s_mov_b64 s[16:17], 0
.LBB36_5:                               ;   Parent Loop BB36_3 Depth=1
                                        ; =>  This Inner Loop Header: Depth=2
	global_load_b32 v34, v[10:11], off
	global_load_b32 v35, v[8:9], off
	s_wait_alu 0xfffe
	s_add_nc_u64 s[16:17], s[16:17], 4
	v_add_co_u32 v8, vcc_lo, v8, 16
	s_wait_alu 0xfffe
	v_cmp_lt_i64_e64 s18, s[16:17], s[28:29]
	s_wait_alu 0xfffd
	v_add_co_ci_u32_e64 v9, null, 0, v9, vcc_lo
	v_add_co_u32 v10, vcc_lo, v10, 16
	s_wait_alu 0xfffd
	v_add_co_ci_u32_e64 v11, null, 0, v11, vcc_lo
	s_and_b32 vcc_lo, exec_lo, s18
	s_wait_loadcnt 0x1
	ds_store_b32 v12, v34
	s_wait_loadcnt 0x0
	ds_store_b32 v13, v35
	s_wait_dscnt 0x0
	s_barrier_signal -1
	s_barrier_wait -1
	global_inv scope:SCOPE_SE
	ds_load_b128 v[34:37], v15
	ds_load_2addr_b32 v[50:51], v14 offset1:16
	ds_load_2addr_b32 v[52:53], v14 offset0:32 offset1:48
	ds_load_b128 v[38:41], v15 offset:256
	ds_load_b128 v[42:45], v15 offset:512
	;; [unrolled: 1-line block ×3, first 2 shown]
	ds_load_2addr_b32 v[54:55], v14 offset0:64 offset1:80
	ds_load_2addr_b32 v[56:57], v14 offset0:96 offset1:112
	;; [unrolled: 1-line block ×6, first 2 shown]
	s_wait_loadcnt_dscnt 0x0
	s_barrier_signal -1
	s_barrier_wait -1
	global_inv scope:SCOPE_SE
	v_fmac_f32_e32 v32, v51, v34
	v_fmac_f32_e32 v33, v50, v34
	;; [unrolled: 1-line block ×15, first 2 shown]
	v_dual_fmac_f32 v19, v52, v46 :: v_dual_fmac_f32 v32, v55, v35
	v_fmac_f32_e32 v33, v54, v35
	v_fmac_f32_e32 v30, v57, v35
	v_fmac_f32_e32 v31, v56, v35
	v_fmac_f32_e32 v28, v55, v39
	v_fmac_f32_e32 v29, v54, v39
	v_fmac_f32_e32 v26, v57, v39
	v_fmac_f32_e32 v27, v56, v39
	v_fmac_f32_e32 v24, v55, v43
	v_fmac_f32_e32 v25, v54, v43
	v_fmac_f32_e32 v22, v57, v43
	v_fmac_f32_e32 v23, v56, v43
	v_fmac_f32_e32 v20, v55, v47
	v_fmac_f32_e32 v21, v54, v47
	v_fmac_f32_e32 v18, v57, v47
	v_dual_fmac_f32 v19, v56, v47 :: v_dual_fmac_f32 v32, v59, v36
	v_fmac_f32_e32 v33, v58, v36
	v_fmac_f32_e32 v30, v61, v36
	v_fmac_f32_e32 v31, v60, v36
	v_fmac_f32_e32 v28, v59, v40
	v_fmac_f32_e32 v29, v58, v40
	v_fmac_f32_e32 v26, v61, v40
	v_fmac_f32_e32 v27, v60, v40
	v_fmac_f32_e32 v24, v59, v44
	v_fmac_f32_e32 v25, v58, v44
	v_fmac_f32_e32 v22, v61, v44
	v_fmac_f32_e32 v23, v60, v44
	v_fmac_f32_e32 v20, v59, v48
	v_fmac_f32_e32 v21, v58, v48
	v_fmac_f32_e32 v18, v61, v48
	v_dual_fmac_f32 v19, v60, v48 :: v_dual_fmac_f32 v32, v63, v37
	v_fmac_f32_e32 v33, v62, v37
	v_fmac_f32_e32 v30, v65, v37
	v_fmac_f32_e32 v31, v64, v37
	v_fmac_f32_e32 v28, v63, v41
	v_fmac_f32_e32 v29, v62, v41
	v_fmac_f32_e32 v26, v65, v41
	v_fmac_f32_e32 v27, v64, v41
	v_fmac_f32_e32 v24, v63, v45
	v_fmac_f32_e32 v25, v62, v45
	v_fmac_f32_e32 v22, v65, v45
	v_fmac_f32_e32 v23, v64, v45
	v_fmac_f32_e32 v20, v63, v49
	v_fmac_f32_e32 v21, v62, v49
	v_fmac_f32_e32 v18, v65, v49
	v_fmac_f32_e32 v19, v64, v49
	s_wait_alu 0xfffe
	s_cbranch_vccnz .LBB36_5
.LBB36_6:                               ;   in Loop: Header=BB36_3 Depth=1
	s_mul_u64 s[16:17], s[22:23], s[2:3]
	s_and_not1_b32 vcc_lo, exec_lo, s24
	s_wait_alu 0xfffe
	s_lshl_b64 s[16:17], s[16:17], 2
	s_wait_alu 0xfffe
	s_add_nc_u64 s[16:17], s[10:11], s[16:17]
	s_cbranch_vccnz .LBB36_8
; %bb.7:                                ;   in Loop: Header=BB36_3 Depth=1
	s_wait_alu 0xfffe
	v_add_co_u32 v10, vcc_lo, s16, v4
	s_wait_alu 0xfffd
	v_add_co_ci_u32_e64 v11, null, s17, v5, vcc_lo
	v_dual_mul_f32 v34, s30, v33 :: v_dual_mul_f32 v35, s30, v32
	s_delay_alu instid0(VALU_DEP_3) | instskip(SKIP_1) | instid1(VALU_DEP_3)
	v_add_co_u32 v8, vcc_lo, v10, v6
	s_wait_alu 0xfffd
	v_add_co_ci_u32_e64 v9, null, v11, v7, vcc_lo
	v_add_co_u32 v10, vcc_lo, v10, s14
	v_dual_mul_f32 v36, s30, v31 :: v_dual_mul_f32 v37, s30, v30
	s_wait_alu 0xfffd
	v_add_co_ci_u32_e64 v11, null, s15, v11, vcc_lo
	s_clause 0x3
	global_store_b32 v[8:9], v34, off
	global_store_b32 v[8:9], v35, off offset:64
	global_store_b32 v[8:9], v36, off offset:128
	;; [unrolled: 1-line block ×3, first 2 shown]
	v_add_co_u32 v8, vcc_lo, v10, v6
	s_wait_alu 0xfffd
	v_add_co_ci_u32_e64 v9, null, v11, v7, vcc_lo
	v_add_co_u32 v38, vcc_lo, v10, s14
	s_wait_alu 0xfffd
	v_add_co_ci_u32_e64 v39, null, s15, v11, vcc_lo
	v_dual_mul_f32 v34, s30, v29 :: v_dual_mul_f32 v35, s30, v28
	v_dual_mul_f32 v36, s30, v27 :: v_dual_mul_f32 v37, s30, v26
	v_add_co_u32 v10, vcc_lo, v38, v6
	v_dual_mul_f32 v40, s30, v25 :: v_dual_mul_f32 v41, s30, v24
	s_wait_alu 0xfffd
	v_add_co_ci_u32_e64 v11, null, v39, v7, vcc_lo
	v_dual_mul_f32 v42, s30, v23 :: v_dual_mul_f32 v43, s30, v22
	s_clause 0x7
	global_store_b32 v[8:9], v34, off
	global_store_b32 v[8:9], v35, off offset:64
	global_store_b32 v[8:9], v36, off offset:128
	;; [unrolled: 1-line block ×3, first 2 shown]
	global_store_b32 v[10:11], v40, off
	global_store_b32 v[10:11], v41, off offset:64
	global_store_b32 v[10:11], v42, off offset:128
	;; [unrolled: 1-line block ×3, first 2 shown]
	v_add_co_u32 v8, vcc_lo, v38, s14
	s_wait_alu 0xfffd
	v_add_co_ci_u32_e64 v9, null, s15, v39, vcc_lo
	v_dual_mul_f32 v10, s30, v21 :: v_dual_mul_f32 v11, s30, v20
	s_delay_alu instid0(VALU_DEP_3) | instskip(SKIP_1) | instid1(VALU_DEP_3)
	v_add_co_u32 v8, vcc_lo, v8, v6
	s_wait_alu 0xfffd
	v_add_co_ci_u32_e64 v9, null, v9, v7, vcc_lo
	v_dual_mul_f32 v34, s30, v19 :: v_dual_mul_f32 v35, s30, v18
	s_clause 0x3
	global_store_b32 v[8:9], v10, off
	global_store_b32 v[8:9], v11, off offset:64
	global_store_b32 v[8:9], v34, off offset:128
	;; [unrolled: 1-line block ×3, first 2 shown]
	s_cbranch_execnz .LBB36_2
	s_branch .LBB36_9
.LBB36_8:                               ;   in Loop: Header=BB36_3 Depth=1
.LBB36_9:                               ;   in Loop: Header=BB36_3 Depth=1
	s_mul_u64 s[18:19], s[8:9], s[2:3]
	s_wait_alu 0xfffe
	s_lshl_b64 s[18:19], s[18:19], 2
	s_wait_alu 0xfffe
	v_add_co_u32 v34, vcc_lo, v16, s18
	s_wait_alu 0xfffd
	v_add_co_ci_u32_e64 v35, null, s19, v17, vcc_lo
	s_delay_alu instid0(VALU_DEP_2) | instskip(SKIP_1) | instid1(VALU_DEP_2)
	v_add_co_u32 v8, vcc_lo, v34, v6
	s_wait_alu 0xfffd
	v_add_co_ci_u32_e64 v9, null, v35, v7, vcc_lo
	v_add_co_u32 v36, vcc_lo, s16, v4
	s_wait_alu 0xfffd
	v_add_co_ci_u32_e64 v37, null, s17, v5, vcc_lo
	global_load_b32 v10, v[8:9], off
	s_wait_loadcnt 0x0
	v_mul_f32_e32 v38, s1, v10
	v_add_co_u32 v10, vcc_lo, v36, v6
	s_wait_alu 0xfffd
	v_add_co_ci_u32_e64 v11, null, v37, v7, vcc_lo
	s_delay_alu instid0(VALU_DEP_3) | instskip(SKIP_4) | instid1(VALU_DEP_1)
	v_fmac_f32_e32 v38, s30, v33
	global_store_b32 v[10:11], v38, off
	global_load_b32 v33, v[8:9], off offset:64
	s_wait_loadcnt 0x0
	v_mul_f32_e32 v33, s1, v33
	v_fmac_f32_e32 v33, s30, v32
	global_store_b32 v[10:11], v33, off offset:64
	global_load_b32 v32, v[8:9], off offset:128
	s_wait_loadcnt 0x0
	v_mul_f32_e32 v32, s1, v32
	s_delay_alu instid0(VALU_DEP_1)
	v_fmac_f32_e32 v32, s30, v31
	global_store_b32 v[10:11], v32, off offset:128
	global_load_b32 v8, v[8:9], off offset:192
	v_add_co_u32 v32, vcc_lo, v34, s12
	s_wait_alu 0xfffd
	v_add_co_ci_u32_e64 v33, null, s13, v35, vcc_lo
	s_wait_loadcnt 0x0
	v_mul_f32_e32 v31, s1, v8
	v_add_co_u32 v8, vcc_lo, v32, v6
	s_wait_alu 0xfffd
	v_add_co_ci_u32_e64 v9, null, v33, v7, vcc_lo
	s_delay_alu instid0(VALU_DEP_3)
	v_fmac_f32_e32 v31, s30, v30
	v_add_co_u32 v30, vcc_lo, v36, s14
	global_store_b32 v[10:11], v31, off offset:192
	global_load_b32 v10, v[8:9], off
	s_wait_alu 0xfffd
	v_add_co_ci_u32_e64 v31, null, s15, v37, vcc_lo
	s_wait_loadcnt 0x0
	v_mul_f32_e32 v34, s1, v10
	v_add_co_u32 v10, vcc_lo, v30, v6
	s_wait_alu 0xfffd
	v_add_co_ci_u32_e64 v11, null, v31, v7, vcc_lo
	s_delay_alu instid0(VALU_DEP_3) | instskip(SKIP_4) | instid1(VALU_DEP_1)
	v_fmac_f32_e32 v34, s30, v29
	global_store_b32 v[10:11], v34, off
	global_load_b32 v29, v[8:9], off offset:64
	s_wait_loadcnt 0x0
	v_mul_f32_e32 v29, s1, v29
	v_fmac_f32_e32 v29, s30, v28
	global_store_b32 v[10:11], v29, off offset:64
	global_load_b32 v28, v[8:9], off offset:128
	s_wait_loadcnt 0x0
	v_mul_f32_e32 v28, s1, v28
	s_delay_alu instid0(VALU_DEP_1)
	v_fmac_f32_e32 v28, s30, v27
	global_store_b32 v[10:11], v28, off offset:128
	global_load_b32 v8, v[8:9], off offset:192
	v_add_co_u32 v28, vcc_lo, v32, s12
	s_wait_alu 0xfffd
	v_add_co_ci_u32_e64 v29, null, s13, v33, vcc_lo
	s_wait_loadcnt 0x0
	v_mul_f32_e32 v27, s1, v8
	v_add_co_u32 v8, vcc_lo, v28, v6
	s_wait_alu 0xfffd
	v_add_co_ci_u32_e64 v9, null, v29, v7, vcc_lo
	s_delay_alu instid0(VALU_DEP_3)
	v_fmac_f32_e32 v27, s30, v26
	v_add_co_u32 v26, vcc_lo, v30, s14
	global_store_b32 v[10:11], v27, off offset:192
	global_load_b32 v10, v[8:9], off
	s_wait_alu 0xfffd
	v_add_co_ci_u32_e64 v27, null, s15, v31, vcc_lo
	s_wait_loadcnt 0x0
	v_mul_f32_e32 v30, s1, v10
	v_add_co_u32 v10, vcc_lo, v26, v6
	s_wait_alu 0xfffd
	v_add_co_ci_u32_e64 v11, null, v27, v7, vcc_lo
	s_delay_alu instid0(VALU_DEP_3) | instskip(SKIP_4) | instid1(VALU_DEP_1)
	v_fmac_f32_e32 v30, s30, v25
	global_store_b32 v[10:11], v30, off
	global_load_b32 v25, v[8:9], off offset:64
	s_wait_loadcnt 0x0
	v_mul_f32_e32 v25, s1, v25
	v_fmac_f32_e32 v25, s30, v24
	global_store_b32 v[10:11], v25, off offset:64
	global_load_b32 v24, v[8:9], off offset:128
	s_wait_loadcnt 0x0
	v_mul_f32_e32 v24, s1, v24
	s_delay_alu instid0(VALU_DEP_1)
	v_fmac_f32_e32 v24, s30, v23
	global_store_b32 v[10:11], v24, off offset:128
	global_load_b32 v8, v[8:9], off offset:192
	s_wait_loadcnt 0x0
	v_mul_f32_e32 v23, s1, v8
	v_add_co_u32 v8, vcc_lo, v28, s12
	s_wait_alu 0xfffd
	v_add_co_ci_u32_e64 v9, null, s13, v29, vcc_lo
	s_delay_alu instid0(VALU_DEP_3) | instskip(NEXT) | instid1(VALU_DEP_3)
	v_fmac_f32_e32 v23, s30, v22
	v_add_co_u32 v8, vcc_lo, v8, v6
	s_wait_alu 0xfffd
	s_delay_alu instid0(VALU_DEP_3)
	v_add_co_ci_u32_e64 v9, null, v9, v7, vcc_lo
	global_store_b32 v[10:11], v23, off offset:192
	global_load_b32 v10, v[8:9], off
	s_wait_loadcnt 0x0
	v_mul_f32_e32 v22, s1, v10
	v_add_co_u32 v10, vcc_lo, v26, s14
	s_wait_alu 0xfffd
	v_add_co_ci_u32_e64 v11, null, s15, v27, vcc_lo
	s_delay_alu instid0(VALU_DEP_3) | instskip(NEXT) | instid1(VALU_DEP_3)
	v_fmac_f32_e32 v22, s30, v21
	v_add_co_u32 v10, vcc_lo, v10, v6
	s_wait_alu 0xfffd
	s_delay_alu instid0(VALU_DEP_3) | instskip(SKIP_4) | instid1(VALU_DEP_1)
	v_add_co_ci_u32_e64 v11, null, v11, v7, vcc_lo
	global_store_b32 v[10:11], v22, off
	global_load_b32 v21, v[8:9], off offset:64
	s_wait_loadcnt 0x0
	v_mul_f32_e32 v21, s1, v21
	v_fmac_f32_e32 v21, s30, v20
	global_store_b32 v[10:11], v21, off offset:64
	global_load_b32 v20, v[8:9], off offset:128
	s_wait_loadcnt 0x0
	v_mul_f32_e32 v20, s1, v20
	s_delay_alu instid0(VALU_DEP_1) | instskip(SKIP_4) | instid1(VALU_DEP_1)
	v_fmac_f32_e32 v20, s30, v19
	global_store_b32 v[10:11], v20, off offset:128
	global_load_b32 v8, v[8:9], off offset:192
	s_wait_loadcnt 0x0
	v_mul_f32_e32 v8, s1, v8
	v_fmac_f32_e32 v8, s30, v18
	global_store_b32 v[10:11], v8, off offset:192
	s_branch .LBB36_2
.LBB36_10:
	s_endpgm
	.section	.rodata,"a",@progbits
	.p2align	6, 0x0
	.amdhsa_kernel _ZN12_GLOBAL__N_127rocblas_gemm_batched_kernelIfLi16ELi16ELi64ELi64ELi4ELi64ELi4ELi4ELi64ELc67ELc78EKfS1_fEEvlllT_PT11_llS4_llS2_PT12_llPT13_lli
		.amdhsa_group_segment_fixed_size 2048
		.amdhsa_private_segment_fixed_size 0
		.amdhsa_kernarg_size 140
		.amdhsa_user_sgpr_count 2
		.amdhsa_user_sgpr_dispatch_ptr 0
		.amdhsa_user_sgpr_queue_ptr 0
		.amdhsa_user_sgpr_kernarg_segment_ptr 1
		.amdhsa_user_sgpr_dispatch_id 0
		.amdhsa_user_sgpr_private_segment_size 0
		.amdhsa_wavefront_size32 1
		.amdhsa_uses_dynamic_stack 0
		.amdhsa_enable_private_segment 0
		.amdhsa_system_sgpr_workgroup_id_x 1
		.amdhsa_system_sgpr_workgroup_id_y 1
		.amdhsa_system_sgpr_workgroup_id_z 1
		.amdhsa_system_sgpr_workgroup_info 0
		.amdhsa_system_vgpr_workitem_id 1
		.amdhsa_next_free_vgpr 66
		.amdhsa_next_free_sgpr 38
		.amdhsa_reserve_vcc 1
		.amdhsa_float_round_mode_32 0
		.amdhsa_float_round_mode_16_64 0
		.amdhsa_float_denorm_mode_32 3
		.amdhsa_float_denorm_mode_16_64 3
		.amdhsa_fp16_overflow 0
		.amdhsa_workgroup_processor_mode 1
		.amdhsa_memory_ordered 1
		.amdhsa_forward_progress 1
		.amdhsa_inst_pref_size 22
		.amdhsa_round_robin_scheduling 0
		.amdhsa_exception_fp_ieee_invalid_op 0
		.amdhsa_exception_fp_denorm_src 0
		.amdhsa_exception_fp_ieee_div_zero 0
		.amdhsa_exception_fp_ieee_overflow 0
		.amdhsa_exception_fp_ieee_underflow 0
		.amdhsa_exception_fp_ieee_inexact 0
		.amdhsa_exception_int_div_zero 0
	.end_amdhsa_kernel
	.section	.text._ZN12_GLOBAL__N_127rocblas_gemm_batched_kernelIfLi16ELi16ELi64ELi64ELi4ELi64ELi4ELi4ELi64ELc67ELc78EKfS1_fEEvlllT_PT11_llS4_llS2_PT12_llPT13_lli,"axG",@progbits,_ZN12_GLOBAL__N_127rocblas_gemm_batched_kernelIfLi16ELi16ELi64ELi64ELi4ELi64ELi4ELi4ELi64ELc67ELc78EKfS1_fEEvlllT_PT11_llS4_llS2_PT12_llPT13_lli,comdat
.Lfunc_end36:
	.size	_ZN12_GLOBAL__N_127rocblas_gemm_batched_kernelIfLi16ELi16ELi64ELi64ELi4ELi64ELi4ELi4ELi64ELc67ELc78EKfS1_fEEvlllT_PT11_llS4_llS2_PT12_llPT13_lli, .Lfunc_end36-_ZN12_GLOBAL__N_127rocblas_gemm_batched_kernelIfLi16ELi16ELi64ELi64ELi4ELi64ELi4ELi4ELi64ELc67ELc78EKfS1_fEEvlllT_PT11_llS4_llS2_PT12_llPT13_lli
                                        ; -- End function
	.set _ZN12_GLOBAL__N_127rocblas_gemm_batched_kernelIfLi16ELi16ELi64ELi64ELi4ELi64ELi4ELi4ELi64ELc67ELc78EKfS1_fEEvlllT_PT11_llS4_llS2_PT12_llPT13_lli.num_vgpr, 66
	.set _ZN12_GLOBAL__N_127rocblas_gemm_batched_kernelIfLi16ELi16ELi64ELi64ELi4ELi64ELi4ELi4ELi64ELc67ELc78EKfS1_fEEvlllT_PT11_llS4_llS2_PT12_llPT13_lli.num_agpr, 0
	.set _ZN12_GLOBAL__N_127rocblas_gemm_batched_kernelIfLi16ELi16ELi64ELi64ELi4ELi64ELi4ELi4ELi64ELc67ELc78EKfS1_fEEvlllT_PT11_llS4_llS2_PT12_llPT13_lli.numbered_sgpr, 38
	.set _ZN12_GLOBAL__N_127rocblas_gemm_batched_kernelIfLi16ELi16ELi64ELi64ELi4ELi64ELi4ELi4ELi64ELc67ELc78EKfS1_fEEvlllT_PT11_llS4_llS2_PT12_llPT13_lli.num_named_barrier, 0
	.set _ZN12_GLOBAL__N_127rocblas_gemm_batched_kernelIfLi16ELi16ELi64ELi64ELi4ELi64ELi4ELi4ELi64ELc67ELc78EKfS1_fEEvlllT_PT11_llS4_llS2_PT12_llPT13_lli.private_seg_size, 0
	.set _ZN12_GLOBAL__N_127rocblas_gemm_batched_kernelIfLi16ELi16ELi64ELi64ELi4ELi64ELi4ELi4ELi64ELc67ELc78EKfS1_fEEvlllT_PT11_llS4_llS2_PT12_llPT13_lli.uses_vcc, 1
	.set _ZN12_GLOBAL__N_127rocblas_gemm_batched_kernelIfLi16ELi16ELi64ELi64ELi4ELi64ELi4ELi4ELi64ELc67ELc78EKfS1_fEEvlllT_PT11_llS4_llS2_PT12_llPT13_lli.uses_flat_scratch, 0
	.set _ZN12_GLOBAL__N_127rocblas_gemm_batched_kernelIfLi16ELi16ELi64ELi64ELi4ELi64ELi4ELi4ELi64ELc67ELc78EKfS1_fEEvlllT_PT11_llS4_llS2_PT12_llPT13_lli.has_dyn_sized_stack, 0
	.set _ZN12_GLOBAL__N_127rocblas_gemm_batched_kernelIfLi16ELi16ELi64ELi64ELi4ELi64ELi4ELi4ELi64ELc67ELc78EKfS1_fEEvlllT_PT11_llS4_llS2_PT12_llPT13_lli.has_recursion, 0
	.set _ZN12_GLOBAL__N_127rocblas_gemm_batched_kernelIfLi16ELi16ELi64ELi64ELi4ELi64ELi4ELi4ELi64ELc67ELc78EKfS1_fEEvlllT_PT11_llS4_llS2_PT12_llPT13_lli.has_indirect_call, 0
	.section	.AMDGPU.csdata,"",@progbits
; Kernel info:
; codeLenInByte = 2708
; TotalNumSgprs: 40
; NumVgprs: 66
; ScratchSize: 0
; MemoryBound: 0
; FloatMode: 240
; IeeeMode: 1
; LDSByteSize: 2048 bytes/workgroup (compile time only)
; SGPRBlocks: 0
; VGPRBlocks: 8
; NumSGPRsForWavesPerEU: 40
; NumVGPRsForWavesPerEU: 66
; Occupancy: 16
; WaveLimiterHint : 0
; COMPUTE_PGM_RSRC2:SCRATCH_EN: 0
; COMPUTE_PGM_RSRC2:USER_SGPR: 2
; COMPUTE_PGM_RSRC2:TRAP_HANDLER: 0
; COMPUTE_PGM_RSRC2:TGID_X_EN: 1
; COMPUTE_PGM_RSRC2:TGID_Y_EN: 1
; COMPUTE_PGM_RSRC2:TGID_Z_EN: 1
; COMPUTE_PGM_RSRC2:TIDIG_COMP_CNT: 1
	.section	.text._ZN12_GLOBAL__N_127rocblas_gemm_batched_kernelIfLi16ELi16ELi64ELi64ELi4ELi64ELi4ELi4ELi64ELc67ELc84EKfS1_fEEvlllT_PT11_llS4_llS2_PT12_llPT13_lli,"axG",@progbits,_ZN12_GLOBAL__N_127rocblas_gemm_batched_kernelIfLi16ELi16ELi64ELi64ELi4ELi64ELi4ELi4ELi64ELc67ELc84EKfS1_fEEvlllT_PT11_llS4_llS2_PT12_llPT13_lli,comdat
	.globl	_ZN12_GLOBAL__N_127rocblas_gemm_batched_kernelIfLi16ELi16ELi64ELi64ELi4ELi64ELi4ELi4ELi64ELc67ELc84EKfS1_fEEvlllT_PT11_llS4_llS2_PT12_llPT13_lli ; -- Begin function _ZN12_GLOBAL__N_127rocblas_gemm_batched_kernelIfLi16ELi16ELi64ELi64ELi4ELi64ELi4ELi4ELi64ELc67ELc84EKfS1_fEEvlllT_PT11_llS4_llS2_PT12_llPT13_lli
	.p2align	8
	.type	_ZN12_GLOBAL__N_127rocblas_gemm_batched_kernelIfLi16ELi16ELi64ELi64ELi4ELi64ELi4ELi4ELi64ELc67ELc84EKfS1_fEEvlllT_PT11_llS4_llS2_PT12_llPT13_lli,@function
_ZN12_GLOBAL__N_127rocblas_gemm_batched_kernelIfLi16ELi16ELi64ELi64ELi4ELi64ELi4ELi4ELi64ELc67ELc84EKfS1_fEEvlllT_PT11_llS4_llS2_PT12_llPT13_lli: ; @_ZN12_GLOBAL__N_127rocblas_gemm_batched_kernelIfLi16ELi16ELi64ELi64ELi4ELi64ELi4ELi4ELi64ELc67ELc84EKfS1_fEEvlllT_PT11_llS4_llS2_PT12_llPT13_lli
; %bb.0:
	s_load_b32 s27, s[0:1], 0x88
	s_lshr_b32 s28, ttmp7, 16
	s_wait_kmcnt 0x0
	s_cmp_ge_i32 s28, s27
	s_cbranch_scc1 .LBB37_10
; %bb.1:
	v_bfe_u32 v2, v0, 10, 10
	s_clause 0x1
	s_load_b96 s[24:26], s[0:1], 0x10
	s_load_b128 s[16:19], s[0:1], 0x78
	v_dual_mov_b32 v1, 0 :: v_dual_and_b32 v8, 0x3ff, v0
	s_clause 0x3
	s_load_b256 s[8:15], s[0:1], 0x20
	s_load_b128 s[20:23], s[0:1], 0x40
	s_load_b32 s30, s[0:1], 0x50
	s_load_b256 s[0:7], s[0:1], 0x58
	v_lshlrev_b32_e32 v6, 4, v2
	v_and_b32_e32 v9, 3, v0
	s_lshl_b32 s31, ttmp7, 6
	s_mov_b32 s34, ttmp9
	s_and_b32 s33, s31, 0x3fffc0
	v_add_nc_u32_e32 v3, v6, v8
	v_lshlrev_b32_e32 v4, 2, v9
	v_add_nc_u32_e32 v7, s33, v2
	v_add_nc_u32_e32 v15, 0x400, v6
	s_ashr_i32 s35, ttmp9, 31
	v_and_b32_e32 v10, 63, v3
	v_lshrrev_b32_e32 v0, 2, v3
	v_lshrrev_b32_e32 v18, 6, v3
	s_lshl_b64 s[34:35], s[34:35], 6
	v_lshlrev_b32_e32 v14, 2, v8
	v_lshlrev_b32_e32 v2, 2, v10
	v_lshl_or_b32 v11, v0, 4, v4
	s_wait_kmcnt 0x0
	v_mad_co_u64_u32 v[4:5], null, v7, s16, 0
	v_mad_co_u64_u32 v[0:1], null, s20, v9, v[0:1]
	v_lshl_or_b32 v12, v18, 8, v2
	v_mad_co_u64_u32 v[2:3], null, v7, s2, 0
	v_add_nc_u32_e32 v13, 0x400, v11
	v_mad_co_u64_u32 v[5:6], null, v7, s17, v[5:6]
	s_cmp_eq_f32 s30, 0
	v_add_co_u32 v0, vcc_lo, v0, s33
	v_mad_co_u64_u32 v[6:7], null, v7, s3, v[3:4]
	v_add_co_u32 v7, s36, s34, v8
	s_cselect_b32 s31, -1, 0
	v_add_co_ci_u32_e64 v8, null, s35, 0, s36
	s_lshl_b64 s[36:37], s[2:3], 4
	v_mov_b32_e32 v3, v6
	v_or_b32_e32 v11, s34, v10
	v_mad_co_u64_u32 v[9:10], null, s21, v9, v[1:2]
	s_mul_i32 s2, s10, s35
	v_lshlrev_b64_e32 v[2:3], 2, v[2:3]
	v_mul_lo_u32 v6, s11, v11
	v_mad_co_u64_u32 v[10:11], null, s10, v11, 0
	v_lshlrev_b64_e32 v[4:5], 2, v[4:5]
	v_add_co_ci_u32_e64 v1, null, 0, v9, vcc_lo
	v_add_co_u32 v16, vcc_lo, s0, v2
	s_wait_alu 0xfffd
	v_add_co_ci_u32_e64 v17, null, s1, v3, vcc_lo
	s_wait_alu 0xfffe
	v_add3_u32 v11, v11, s2, v6
	v_lshlrev_b64_e32 v[0:1], 2, v[0:1]
	v_lshlrev_b32_e32 v6, 2, v18
	v_cmp_gt_i64_e64 s0, s[24:25], 0
	s_lshl_b64 s[16:17], s[16:17], 4
	v_lshlrev_b64_e32 v[2:3], 2, v[10:11]
	s_mov_b32 s29, 0
	v_add_co_u32 v0, vcc_lo, s14, v0
	s_wait_alu 0xfffd
	v_add_co_ci_u32_e64 v1, null, s15, v1, vcc_lo
	s_delay_alu instid0(VALU_DEP_3) | instskip(SKIP_3) | instid1(VALU_DEP_3)
	v_add_co_u32 v2, vcc_lo, v2, v6
	s_wait_alu 0xfffd
	v_add_co_ci_u32_e64 v3, null, 0, v3, vcc_lo
	v_cndmask_b32_e64 v9, 0, 1, s0
	v_add_co_u32 v2, vcc_lo, s8, v2
	v_lshlrev_b64_e32 v[6:7], 2, v[7:8]
	s_wait_alu 0xfffd
	v_add_co_ci_u32_e64 v3, null, s9, v3, vcc_lo
	v_cmp_ne_u32_e64 s0, 1, v9
	s_lshl_b64 s[2:3], s[22:23], 2
	s_lshl_b64 s[10:11], s[20:21], 4
	;; [unrolled: 1-line block ×4, first 2 shown]
	s_wait_alu 0xfffe
	s_lshl_b64 s[14:15], s[16:17], 2
	s_branch .LBB37_3
.LBB37_2:                               ;   in Loop: Header=BB37_3 Depth=1
	s_add_co_i32 s28, s28, 0x10000
	s_wait_alu 0xfffe
	s_cmp_lt_i32 s28, s27
	s_cbranch_scc0 .LBB37_10
.LBB37_3:                               ; =>This Loop Header: Depth=1
                                        ;     Child Loop BB37_5 Depth 2
	v_dual_mov_b32 v33, 0 :: v_dual_mov_b32 v32, 0
	v_dual_mov_b32 v31, 0 :: v_dual_mov_b32 v30, 0
	;; [unrolled: 1-line block ×8, first 2 shown]
	s_and_b32 vcc_lo, exec_lo, s0
	s_wait_alu 0xfffe
	s_cbranch_vccnz .LBB37_6
; %bb.4:                                ;   in Loop: Header=BB37_3 Depth=1
	v_mad_co_u64_u32 v[8:9], null, s2, s28, v[0:1]
	v_mad_co_u64_u32 v[10:11], null, s8, s28, v[2:3]
	v_dual_mov_b32 v18, 0 :: v_dual_mov_b32 v19, 0
	v_dual_mov_b32 v20, 0 :: v_dual_mov_b32 v21, 0
	v_dual_mov_b32 v22, 0 :: v_dual_mov_b32 v23, 0
	s_delay_alu instid0(VALU_DEP_4) | instskip(SKIP_3) | instid1(VALU_DEP_4)
	v_mad_co_u64_u32 v[28:29], null, s3, s28, v[9:10]
	v_mad_co_u64_u32 v[29:30], null, s9, s28, v[11:12]
	v_dual_mov_b32 v24, 0 :: v_dual_mov_b32 v25, 0
	v_dual_mov_b32 v26, 0 :: v_dual_mov_b32 v27, 0
	;; [unrolled: 1-line block ×3, first 2 shown]
	s_delay_alu instid0(VALU_DEP_4)
	v_dual_mov_b32 v11, v29 :: v_dual_mov_b32 v30, 0
	v_dual_mov_b32 v29, 0 :: v_dual_mov_b32 v32, 0
	v_mov_b32_e32 v31, 0
	v_mov_b32_e32 v33, 0
	s_mov_b64 s[16:17], 0
.LBB37_5:                               ;   Parent Loop BB37_3 Depth=1
                                        ; =>  This Inner Loop Header: Depth=2
	global_load_b32 v34, v[10:11], off
	global_load_b32 v35, v[8:9], off
	s_wait_alu 0xfffe
	s_add_nc_u64 s[16:17], s[16:17], 4
	v_add_co_u32 v8, vcc_lo, v8, s10
	s_wait_alu 0xfffe
	v_cmp_lt_i64_e64 s1, s[16:17], s[24:25]
	s_wait_alu 0xfffd
	v_add_co_ci_u32_e64 v9, null, s11, v9, vcc_lo
	v_add_co_u32 v10, vcc_lo, v10, 16
	s_wait_alu 0xfffd
	v_add_co_ci_u32_e64 v11, null, 0, v11, vcc_lo
	s_and_b32 vcc_lo, exec_lo, s1
	s_wait_loadcnt 0x1
	ds_store_b32 v12, v34
	s_wait_loadcnt 0x0
	ds_store_b32 v13, v35
	s_wait_dscnt 0x0
	s_barrier_signal -1
	s_barrier_wait -1
	global_inv scope:SCOPE_SE
	ds_load_b128 v[34:37], v15
	ds_load_2addr_b32 v[50:51], v14 offset1:16
	ds_load_2addr_b32 v[52:53], v14 offset0:32 offset1:48
	ds_load_b128 v[38:41], v15 offset:256
	ds_load_b128 v[42:45], v15 offset:512
	;; [unrolled: 1-line block ×3, first 2 shown]
	ds_load_2addr_b32 v[54:55], v14 offset0:64 offset1:80
	ds_load_2addr_b32 v[56:57], v14 offset0:96 offset1:112
	;; [unrolled: 1-line block ×6, first 2 shown]
	s_wait_loadcnt_dscnt 0x0
	s_barrier_signal -1
	s_barrier_wait -1
	global_inv scope:SCOPE_SE
	v_fmac_f32_e32 v32, v51, v34
	v_fmac_f32_e32 v33, v50, v34
	v_fmac_f32_e32 v30, v53, v34
	v_fmac_f32_e32 v31, v52, v34
	v_fmac_f32_e32 v28, v51, v38
	v_fmac_f32_e32 v29, v50, v38
	v_fmac_f32_e32 v26, v53, v38
	v_fmac_f32_e32 v27, v52, v38
	v_fmac_f32_e32 v24, v51, v42
	v_fmac_f32_e32 v25, v50, v42
	v_fmac_f32_e32 v22, v53, v42
	v_fmac_f32_e32 v23, v52, v42
	v_fmac_f32_e32 v20, v51, v46
	v_fmac_f32_e32 v21, v50, v46
	v_fmac_f32_e32 v18, v53, v46
	v_dual_fmac_f32 v19, v52, v46 :: v_dual_fmac_f32 v32, v55, v35
	v_fmac_f32_e32 v33, v54, v35
	v_fmac_f32_e32 v30, v57, v35
	v_fmac_f32_e32 v31, v56, v35
	v_fmac_f32_e32 v28, v55, v39
	v_fmac_f32_e32 v29, v54, v39
	v_fmac_f32_e32 v26, v57, v39
	v_fmac_f32_e32 v27, v56, v39
	v_fmac_f32_e32 v24, v55, v43
	v_fmac_f32_e32 v25, v54, v43
	v_fmac_f32_e32 v22, v57, v43
	v_fmac_f32_e32 v23, v56, v43
	v_fmac_f32_e32 v20, v55, v47
	v_fmac_f32_e32 v21, v54, v47
	v_fmac_f32_e32 v18, v57, v47
	v_dual_fmac_f32 v19, v56, v47 :: v_dual_fmac_f32 v32, v59, v36
	v_fmac_f32_e32 v33, v58, v36
	v_fmac_f32_e32 v30, v61, v36
	v_fmac_f32_e32 v31, v60, v36
	v_fmac_f32_e32 v28, v59, v40
	v_fmac_f32_e32 v29, v58, v40
	v_fmac_f32_e32 v26, v61, v40
	v_fmac_f32_e32 v27, v60, v40
	v_fmac_f32_e32 v24, v59, v44
	v_fmac_f32_e32 v25, v58, v44
	v_fmac_f32_e32 v22, v61, v44
	v_fmac_f32_e32 v23, v60, v44
	v_fmac_f32_e32 v20, v59, v48
	v_fmac_f32_e32 v21, v58, v48
	v_fmac_f32_e32 v18, v61, v48
	;; [unrolled: 15-line block ×3, first 2 shown]
	v_fmac_f32_e32 v19, v64, v49
	s_wait_alu 0xfffe
	s_cbranch_vccnz .LBB37_5
.LBB37_6:                               ;   in Loop: Header=BB37_3 Depth=1
	s_mul_u64 s[16:17], s[18:19], s[28:29]
	s_and_not1_b32 vcc_lo, exec_lo, s31
	s_wait_alu 0xfffe
	s_lshl_b64 s[16:17], s[16:17], 2
	s_wait_alu 0xfffe
	s_add_nc_u64 s[16:17], s[6:7], s[16:17]
	s_cbranch_vccnz .LBB37_8
; %bb.7:                                ;   in Loop: Header=BB37_3 Depth=1
	s_wait_alu 0xfffe
	v_add_co_u32 v10, vcc_lo, s16, v4
	s_wait_alu 0xfffd
	v_add_co_ci_u32_e64 v11, null, s17, v5, vcc_lo
	v_dual_mul_f32 v34, s26, v33 :: v_dual_mul_f32 v35, s26, v32
	s_delay_alu instid0(VALU_DEP_3) | instskip(SKIP_1) | instid1(VALU_DEP_3)
	v_add_co_u32 v8, vcc_lo, v10, v6
	s_wait_alu 0xfffd
	v_add_co_ci_u32_e64 v9, null, v11, v7, vcc_lo
	v_add_co_u32 v10, vcc_lo, v10, s14
	v_dual_mul_f32 v36, s26, v31 :: v_dual_mul_f32 v37, s26, v30
	s_wait_alu 0xfffd
	v_add_co_ci_u32_e64 v11, null, s15, v11, vcc_lo
	s_clause 0x3
	global_store_b32 v[8:9], v34, off
	global_store_b32 v[8:9], v35, off offset:64
	global_store_b32 v[8:9], v36, off offset:128
	;; [unrolled: 1-line block ×3, first 2 shown]
	v_add_co_u32 v8, vcc_lo, v10, v6
	s_wait_alu 0xfffd
	v_add_co_ci_u32_e64 v9, null, v11, v7, vcc_lo
	v_add_co_u32 v38, vcc_lo, v10, s14
	s_wait_alu 0xfffd
	v_add_co_ci_u32_e64 v39, null, s15, v11, vcc_lo
	v_dual_mul_f32 v34, s26, v29 :: v_dual_mul_f32 v35, s26, v28
	v_dual_mul_f32 v36, s26, v27 :: v_dual_mul_f32 v37, s26, v26
	v_add_co_u32 v10, vcc_lo, v38, v6
	v_dual_mul_f32 v40, s26, v25 :: v_dual_mul_f32 v41, s26, v24
	s_wait_alu 0xfffd
	v_add_co_ci_u32_e64 v11, null, v39, v7, vcc_lo
	v_dual_mul_f32 v42, s26, v23 :: v_dual_mul_f32 v43, s26, v22
	s_clause 0x7
	global_store_b32 v[8:9], v34, off
	global_store_b32 v[8:9], v35, off offset:64
	global_store_b32 v[8:9], v36, off offset:128
	;; [unrolled: 1-line block ×3, first 2 shown]
	global_store_b32 v[10:11], v40, off
	global_store_b32 v[10:11], v41, off offset:64
	global_store_b32 v[10:11], v42, off offset:128
	;; [unrolled: 1-line block ×3, first 2 shown]
	v_add_co_u32 v8, vcc_lo, v38, s14
	s_wait_alu 0xfffd
	v_add_co_ci_u32_e64 v9, null, s15, v39, vcc_lo
	v_dual_mul_f32 v10, s26, v21 :: v_dual_mul_f32 v11, s26, v20
	s_delay_alu instid0(VALU_DEP_3) | instskip(SKIP_1) | instid1(VALU_DEP_3)
	v_add_co_u32 v8, vcc_lo, v8, v6
	s_wait_alu 0xfffd
	v_add_co_ci_u32_e64 v9, null, v9, v7, vcc_lo
	v_dual_mul_f32 v34, s26, v19 :: v_dual_mul_f32 v35, s26, v18
	s_clause 0x3
	global_store_b32 v[8:9], v10, off
	global_store_b32 v[8:9], v11, off offset:64
	global_store_b32 v[8:9], v34, off offset:128
	;; [unrolled: 1-line block ×3, first 2 shown]
	s_cbranch_execnz .LBB37_2
	s_branch .LBB37_9
.LBB37_8:                               ;   in Loop: Header=BB37_3 Depth=1
.LBB37_9:                               ;   in Loop: Header=BB37_3 Depth=1
	s_mul_u64 s[20:21], s[4:5], s[28:29]
	s_wait_alu 0xfffe
	s_lshl_b64 s[20:21], s[20:21], 2
	s_wait_alu 0xfffe
	v_add_co_u32 v34, vcc_lo, v16, s20
	s_wait_alu 0xfffd
	v_add_co_ci_u32_e64 v35, null, s21, v17, vcc_lo
	s_delay_alu instid0(VALU_DEP_2) | instskip(SKIP_1) | instid1(VALU_DEP_2)
	v_add_co_u32 v8, vcc_lo, v34, v6
	s_wait_alu 0xfffd
	v_add_co_ci_u32_e64 v9, null, v35, v7, vcc_lo
	v_add_co_u32 v36, vcc_lo, s16, v4
	s_wait_alu 0xfffd
	v_add_co_ci_u32_e64 v37, null, s17, v5, vcc_lo
	global_load_b32 v10, v[8:9], off
	s_wait_loadcnt 0x0
	v_mul_f32_e32 v38, s30, v10
	v_add_co_u32 v10, vcc_lo, v36, v6
	s_wait_alu 0xfffd
	v_add_co_ci_u32_e64 v11, null, v37, v7, vcc_lo
	s_delay_alu instid0(VALU_DEP_3) | instskip(SKIP_4) | instid1(VALU_DEP_1)
	v_fmac_f32_e32 v38, s26, v33
	global_store_b32 v[10:11], v38, off
	global_load_b32 v33, v[8:9], off offset:64
	s_wait_loadcnt 0x0
	v_mul_f32_e32 v33, s30, v33
	v_fmac_f32_e32 v33, s26, v32
	global_store_b32 v[10:11], v33, off offset:64
	global_load_b32 v32, v[8:9], off offset:128
	s_wait_loadcnt 0x0
	v_mul_f32_e32 v32, s30, v32
	s_delay_alu instid0(VALU_DEP_1)
	v_fmac_f32_e32 v32, s26, v31
	global_store_b32 v[10:11], v32, off offset:128
	global_load_b32 v8, v[8:9], off offset:192
	v_add_co_u32 v32, vcc_lo, v34, s12
	s_wait_alu 0xfffd
	v_add_co_ci_u32_e64 v33, null, s13, v35, vcc_lo
	s_wait_loadcnt 0x0
	v_mul_f32_e32 v31, s30, v8
	v_add_co_u32 v8, vcc_lo, v32, v6
	s_wait_alu 0xfffd
	v_add_co_ci_u32_e64 v9, null, v33, v7, vcc_lo
	s_delay_alu instid0(VALU_DEP_3)
	v_fmac_f32_e32 v31, s26, v30
	v_add_co_u32 v30, vcc_lo, v36, s14
	global_store_b32 v[10:11], v31, off offset:192
	global_load_b32 v10, v[8:9], off
	s_wait_alu 0xfffd
	v_add_co_ci_u32_e64 v31, null, s15, v37, vcc_lo
	s_wait_loadcnt 0x0
	v_mul_f32_e32 v34, s30, v10
	v_add_co_u32 v10, vcc_lo, v30, v6
	s_wait_alu 0xfffd
	v_add_co_ci_u32_e64 v11, null, v31, v7, vcc_lo
	s_delay_alu instid0(VALU_DEP_3) | instskip(SKIP_4) | instid1(VALU_DEP_1)
	v_fmac_f32_e32 v34, s26, v29
	global_store_b32 v[10:11], v34, off
	global_load_b32 v29, v[8:9], off offset:64
	s_wait_loadcnt 0x0
	v_mul_f32_e32 v29, s30, v29
	v_fmac_f32_e32 v29, s26, v28
	global_store_b32 v[10:11], v29, off offset:64
	global_load_b32 v28, v[8:9], off offset:128
	s_wait_loadcnt 0x0
	v_mul_f32_e32 v28, s30, v28
	s_delay_alu instid0(VALU_DEP_1)
	v_fmac_f32_e32 v28, s26, v27
	global_store_b32 v[10:11], v28, off offset:128
	global_load_b32 v8, v[8:9], off offset:192
	v_add_co_u32 v28, vcc_lo, v32, s12
	s_wait_alu 0xfffd
	v_add_co_ci_u32_e64 v29, null, s13, v33, vcc_lo
	s_wait_loadcnt 0x0
	v_mul_f32_e32 v27, s30, v8
	v_add_co_u32 v8, vcc_lo, v28, v6
	s_wait_alu 0xfffd
	v_add_co_ci_u32_e64 v9, null, v29, v7, vcc_lo
	s_delay_alu instid0(VALU_DEP_3)
	v_fmac_f32_e32 v27, s26, v26
	v_add_co_u32 v26, vcc_lo, v30, s14
	global_store_b32 v[10:11], v27, off offset:192
	global_load_b32 v10, v[8:9], off
	s_wait_alu 0xfffd
	v_add_co_ci_u32_e64 v27, null, s15, v31, vcc_lo
	s_wait_loadcnt 0x0
	v_mul_f32_e32 v30, s30, v10
	v_add_co_u32 v10, vcc_lo, v26, v6
	s_wait_alu 0xfffd
	v_add_co_ci_u32_e64 v11, null, v27, v7, vcc_lo
	s_delay_alu instid0(VALU_DEP_3) | instskip(SKIP_4) | instid1(VALU_DEP_1)
	v_fmac_f32_e32 v30, s26, v25
	global_store_b32 v[10:11], v30, off
	global_load_b32 v25, v[8:9], off offset:64
	s_wait_loadcnt 0x0
	v_mul_f32_e32 v25, s30, v25
	v_fmac_f32_e32 v25, s26, v24
	global_store_b32 v[10:11], v25, off offset:64
	global_load_b32 v24, v[8:9], off offset:128
	s_wait_loadcnt 0x0
	v_mul_f32_e32 v24, s30, v24
	s_delay_alu instid0(VALU_DEP_1)
	v_fmac_f32_e32 v24, s26, v23
	global_store_b32 v[10:11], v24, off offset:128
	global_load_b32 v8, v[8:9], off offset:192
	s_wait_loadcnt 0x0
	v_mul_f32_e32 v23, s30, v8
	v_add_co_u32 v8, vcc_lo, v28, s12
	s_wait_alu 0xfffd
	v_add_co_ci_u32_e64 v9, null, s13, v29, vcc_lo
	s_delay_alu instid0(VALU_DEP_3) | instskip(NEXT) | instid1(VALU_DEP_3)
	v_fmac_f32_e32 v23, s26, v22
	v_add_co_u32 v8, vcc_lo, v8, v6
	s_wait_alu 0xfffd
	s_delay_alu instid0(VALU_DEP_3)
	v_add_co_ci_u32_e64 v9, null, v9, v7, vcc_lo
	global_store_b32 v[10:11], v23, off offset:192
	global_load_b32 v10, v[8:9], off
	s_wait_loadcnt 0x0
	v_mul_f32_e32 v22, s30, v10
	v_add_co_u32 v10, vcc_lo, v26, s14
	s_wait_alu 0xfffd
	v_add_co_ci_u32_e64 v11, null, s15, v27, vcc_lo
	s_delay_alu instid0(VALU_DEP_3) | instskip(NEXT) | instid1(VALU_DEP_3)
	v_fmac_f32_e32 v22, s26, v21
	v_add_co_u32 v10, vcc_lo, v10, v6
	s_wait_alu 0xfffd
	s_delay_alu instid0(VALU_DEP_3) | instskip(SKIP_4) | instid1(VALU_DEP_1)
	v_add_co_ci_u32_e64 v11, null, v11, v7, vcc_lo
	global_store_b32 v[10:11], v22, off
	global_load_b32 v21, v[8:9], off offset:64
	s_wait_loadcnt 0x0
	v_mul_f32_e32 v21, s30, v21
	v_fmac_f32_e32 v21, s26, v20
	global_store_b32 v[10:11], v21, off offset:64
	global_load_b32 v20, v[8:9], off offset:128
	s_wait_loadcnt 0x0
	v_mul_f32_e32 v20, s30, v20
	s_delay_alu instid0(VALU_DEP_1) | instskip(SKIP_4) | instid1(VALU_DEP_1)
	v_fmac_f32_e32 v20, s26, v19
	global_store_b32 v[10:11], v20, off offset:128
	global_load_b32 v8, v[8:9], off offset:192
	s_wait_loadcnt 0x0
	v_mul_f32_e32 v8, s30, v8
	v_fmac_f32_e32 v8, s26, v18
	global_store_b32 v[10:11], v8, off offset:192
	s_branch .LBB37_2
.LBB37_10:
	s_endpgm
	.section	.rodata,"a",@progbits
	.p2align	6, 0x0
	.amdhsa_kernel _ZN12_GLOBAL__N_127rocblas_gemm_batched_kernelIfLi16ELi16ELi64ELi64ELi4ELi64ELi4ELi4ELi64ELc67ELc84EKfS1_fEEvlllT_PT11_llS4_llS2_PT12_llPT13_lli
		.amdhsa_group_segment_fixed_size 2048
		.amdhsa_private_segment_fixed_size 0
		.amdhsa_kernarg_size 140
		.amdhsa_user_sgpr_count 2
		.amdhsa_user_sgpr_dispatch_ptr 0
		.amdhsa_user_sgpr_queue_ptr 0
		.amdhsa_user_sgpr_kernarg_segment_ptr 1
		.amdhsa_user_sgpr_dispatch_id 0
		.amdhsa_user_sgpr_private_segment_size 0
		.amdhsa_wavefront_size32 1
		.amdhsa_uses_dynamic_stack 0
		.amdhsa_enable_private_segment 0
		.amdhsa_system_sgpr_workgroup_id_x 1
		.amdhsa_system_sgpr_workgroup_id_y 1
		.amdhsa_system_sgpr_workgroup_id_z 1
		.amdhsa_system_sgpr_workgroup_info 0
		.amdhsa_system_vgpr_workitem_id 1
		.amdhsa_next_free_vgpr 66
		.amdhsa_next_free_sgpr 38
		.amdhsa_reserve_vcc 1
		.amdhsa_float_round_mode_32 0
		.amdhsa_float_round_mode_16_64 0
		.amdhsa_float_denorm_mode_32 3
		.amdhsa_float_denorm_mode_16_64 3
		.amdhsa_fp16_overflow 0
		.amdhsa_workgroup_processor_mode 1
		.amdhsa_memory_ordered 1
		.amdhsa_forward_progress 1
		.amdhsa_inst_pref_size 21
		.amdhsa_round_robin_scheduling 0
		.amdhsa_exception_fp_ieee_invalid_op 0
		.amdhsa_exception_fp_denorm_src 0
		.amdhsa_exception_fp_ieee_div_zero 0
		.amdhsa_exception_fp_ieee_overflow 0
		.amdhsa_exception_fp_ieee_underflow 0
		.amdhsa_exception_fp_ieee_inexact 0
		.amdhsa_exception_int_div_zero 0
	.end_amdhsa_kernel
	.section	.text._ZN12_GLOBAL__N_127rocblas_gemm_batched_kernelIfLi16ELi16ELi64ELi64ELi4ELi64ELi4ELi4ELi64ELc67ELc84EKfS1_fEEvlllT_PT11_llS4_llS2_PT12_llPT13_lli,"axG",@progbits,_ZN12_GLOBAL__N_127rocblas_gemm_batched_kernelIfLi16ELi16ELi64ELi64ELi4ELi64ELi4ELi4ELi64ELc67ELc84EKfS1_fEEvlllT_PT11_llS4_llS2_PT12_llPT13_lli,comdat
.Lfunc_end37:
	.size	_ZN12_GLOBAL__N_127rocblas_gemm_batched_kernelIfLi16ELi16ELi64ELi64ELi4ELi64ELi4ELi4ELi64ELc67ELc84EKfS1_fEEvlllT_PT11_llS4_llS2_PT12_llPT13_lli, .Lfunc_end37-_ZN12_GLOBAL__N_127rocblas_gemm_batched_kernelIfLi16ELi16ELi64ELi64ELi4ELi64ELi4ELi4ELi64ELc67ELc84EKfS1_fEEvlllT_PT11_llS4_llS2_PT12_llPT13_lli
                                        ; -- End function
	.set _ZN12_GLOBAL__N_127rocblas_gemm_batched_kernelIfLi16ELi16ELi64ELi64ELi4ELi64ELi4ELi4ELi64ELc67ELc84EKfS1_fEEvlllT_PT11_llS4_llS2_PT12_llPT13_lli.num_vgpr, 66
	.set _ZN12_GLOBAL__N_127rocblas_gemm_batched_kernelIfLi16ELi16ELi64ELi64ELi4ELi64ELi4ELi4ELi64ELc67ELc84EKfS1_fEEvlllT_PT11_llS4_llS2_PT12_llPT13_lli.num_agpr, 0
	.set _ZN12_GLOBAL__N_127rocblas_gemm_batched_kernelIfLi16ELi16ELi64ELi64ELi4ELi64ELi4ELi4ELi64ELc67ELc84EKfS1_fEEvlllT_PT11_llS4_llS2_PT12_llPT13_lli.numbered_sgpr, 38
	.set _ZN12_GLOBAL__N_127rocblas_gemm_batched_kernelIfLi16ELi16ELi64ELi64ELi4ELi64ELi4ELi4ELi64ELc67ELc84EKfS1_fEEvlllT_PT11_llS4_llS2_PT12_llPT13_lli.num_named_barrier, 0
	.set _ZN12_GLOBAL__N_127rocblas_gemm_batched_kernelIfLi16ELi16ELi64ELi64ELi4ELi64ELi4ELi4ELi64ELc67ELc84EKfS1_fEEvlllT_PT11_llS4_llS2_PT12_llPT13_lli.private_seg_size, 0
	.set _ZN12_GLOBAL__N_127rocblas_gemm_batched_kernelIfLi16ELi16ELi64ELi64ELi4ELi64ELi4ELi4ELi64ELc67ELc84EKfS1_fEEvlllT_PT11_llS4_llS2_PT12_llPT13_lli.uses_vcc, 1
	.set _ZN12_GLOBAL__N_127rocblas_gemm_batched_kernelIfLi16ELi16ELi64ELi64ELi4ELi64ELi4ELi4ELi64ELc67ELc84EKfS1_fEEvlllT_PT11_llS4_llS2_PT12_llPT13_lli.uses_flat_scratch, 0
	.set _ZN12_GLOBAL__N_127rocblas_gemm_batched_kernelIfLi16ELi16ELi64ELi64ELi4ELi64ELi4ELi4ELi64ELc67ELc84EKfS1_fEEvlllT_PT11_llS4_llS2_PT12_llPT13_lli.has_dyn_sized_stack, 0
	.set _ZN12_GLOBAL__N_127rocblas_gemm_batched_kernelIfLi16ELi16ELi64ELi64ELi4ELi64ELi4ELi4ELi64ELc67ELc84EKfS1_fEEvlllT_PT11_llS4_llS2_PT12_llPT13_lli.has_recursion, 0
	.set _ZN12_GLOBAL__N_127rocblas_gemm_batched_kernelIfLi16ELi16ELi64ELi64ELi4ELi64ELi4ELi4ELi64ELc67ELc84EKfS1_fEEvlllT_PT11_llS4_llS2_PT12_llPT13_lli.has_indirect_call, 0
	.section	.AMDGPU.csdata,"",@progbits
; Kernel info:
; codeLenInByte = 2684
; TotalNumSgprs: 40
; NumVgprs: 66
; ScratchSize: 0
; MemoryBound: 0
; FloatMode: 240
; IeeeMode: 1
; LDSByteSize: 2048 bytes/workgroup (compile time only)
; SGPRBlocks: 0
; VGPRBlocks: 8
; NumSGPRsForWavesPerEU: 40
; NumVGPRsForWavesPerEU: 66
; Occupancy: 16
; WaveLimiterHint : 0
; COMPUTE_PGM_RSRC2:SCRATCH_EN: 0
; COMPUTE_PGM_RSRC2:USER_SGPR: 2
; COMPUTE_PGM_RSRC2:TRAP_HANDLER: 0
; COMPUTE_PGM_RSRC2:TGID_X_EN: 1
; COMPUTE_PGM_RSRC2:TGID_Y_EN: 1
; COMPUTE_PGM_RSRC2:TGID_Z_EN: 1
; COMPUTE_PGM_RSRC2:TIDIG_COMP_CNT: 1
	.section	.text._ZN12_GLOBAL__N_127rocblas_gemm_batched_kernelIfLi16ELi16ELi64ELi64ELi4ELi64ELi4ELi4ELi64ELc78ELc67EKfS1_fEEvlllT_PT11_llS4_llS2_PT12_llPT13_lli,"axG",@progbits,_ZN12_GLOBAL__N_127rocblas_gemm_batched_kernelIfLi16ELi16ELi64ELi64ELi4ELi64ELi4ELi4ELi64ELc78ELc67EKfS1_fEEvlllT_PT11_llS4_llS2_PT12_llPT13_lli,comdat
	.globl	_ZN12_GLOBAL__N_127rocblas_gemm_batched_kernelIfLi16ELi16ELi64ELi64ELi4ELi64ELi4ELi4ELi64ELc78ELc67EKfS1_fEEvlllT_PT11_llS4_llS2_PT12_llPT13_lli ; -- Begin function _ZN12_GLOBAL__N_127rocblas_gemm_batched_kernelIfLi16ELi16ELi64ELi64ELi4ELi64ELi4ELi4ELi64ELc78ELc67EKfS1_fEEvlllT_PT11_llS4_llS2_PT12_llPT13_lli
	.p2align	8
	.type	_ZN12_GLOBAL__N_127rocblas_gemm_batched_kernelIfLi16ELi16ELi64ELi64ELi4ELi64ELi4ELi4ELi64ELc78ELc67EKfS1_fEEvlllT_PT11_llS4_llS2_PT12_llPT13_lli,@function
_ZN12_GLOBAL__N_127rocblas_gemm_batched_kernelIfLi16ELi16ELi64ELi64ELi4ELi64ELi4ELi4ELi64ELc78ELc67EKfS1_fEEvlllT_PT11_llS4_llS2_PT12_llPT13_lli: ; @_ZN12_GLOBAL__N_127rocblas_gemm_batched_kernelIfLi16ELi16ELi64ELi64ELi4ELi64ELi4ELi4ELi64ELc78ELc67EKfS1_fEEvlllT_PT11_llS4_llS2_PT12_llPT13_lli
; %bb.0:
	s_load_b32 s31, s[0:1], 0x88
	s_lshr_b32 s2, ttmp7, 16
	s_wait_kmcnt 0x0
	s_cmp_ge_i32 s2, s31
	s_cbranch_scc1 .LBB38_10
; %bb.1:
	v_bfe_u32 v2, v0, 10, 10
	s_clause 0x3
	s_load_b96 s[28:30], s[0:1], 0x10
	s_load_b256 s[12:19], s[0:1], 0x20
	s_load_b128 s[20:23], s[0:1], 0x78
	s_load_b256 s[4:11], s[0:1], 0x58
	v_dual_mov_b32 v1, 0 :: v_dual_and_b32 v8, 0x3ff, v0
	s_clause 0x1
	s_load_b128 s[24:27], s[0:1], 0x40
	s_load_b32 s1, s[0:1], 0x50
	v_lshlrev_b32_e32 v6, 4, v2
	v_and_b32_e32 v11, 3, v0
	s_lshl_b32 s0, ttmp7, 6
	s_mov_b32 s34, ttmp9
	s_and_b32 s0, s0, 0x3fffc0
	v_add_nc_u32_e32 v3, v6, v8
	v_add_nc_u32_e32 v7, s0, v2
	;; [unrolled: 1-line block ×3, first 2 shown]
	s_ashr_i32 s35, ttmp9, 31
	v_lshlrev_b32_e32 v14, 2, v8
	v_and_b32_e32 v20, 63, v3
	v_lshrrev_b32_e32 v18, 6, v3
	v_lshrrev_b32_e32 v0, 2, v3
	v_lshlrev_b32_e32 v3, 2, v11
	s_lshl_b64 s[34:35], s[34:35], 6
	s_wait_kmcnt 0x0
	v_mad_co_u64_u32 v[4:5], null, v7, s20, 0
	s_mov_b32 s3, 0
	v_lshl_or_b32 v10, v0, 4, v3
	v_mad_co_u64_u32 v[2:3], null, v7, s6, 0
	v_mad_co_u64_u32 v[0:1], null, s24, v11, v[0:1]
	v_mad_co_u64_u32 v[5:6], null, v7, s21, v[5:6]
	s_delay_alu instid0(VALU_DEP_4) | instskip(SKIP_1) | instid1(VALU_DEP_4)
	v_add_nc_u32_e32 v13, 0x400, v10
	s_cmp_eq_f32 s1, 0
	v_mad_co_u64_u32 v[6:7], null, v7, s7, v[3:4]
	s_delay_alu instid0(VALU_DEP_4) | instskip(SKIP_1) | instid1(VALU_DEP_1)
	v_mad_co_u64_u32 v[16:17], null, s25, v11, v[1:2]
	v_add_co_u32 v7, s36, s34, v8
	v_add_co_ci_u32_e64 v8, null, s35, 0, s36
	s_delay_alu instid0(VALU_DEP_4) | instskip(SKIP_2) | instid1(VALU_DEP_3)
	v_mov_b32_e32 v3, v6
	v_lshlrev_b32_e32 v9, 2, v20
	s_cselect_b32 s33, -1, 0
	v_lshlrev_b64_e32 v[6:7], 2, v[7:8]
	s_lshl_b64 s[20:21], s[20:21], 4
	v_lshlrev_b64_e32 v[1:2], 2, v[2:3]
	v_lshl_or_b32 v12, v18, 8, v9
	v_mad_co_u64_u32 v[9:10], null, s14, v18, s[34:35]
	s_lshl_b64 s[34:35], s[6:7], 4
	s_lshl_b64 s[6:7], s[24:25], 4
	v_mov_b32_e32 v3, v10
	v_add_co_u32 v10, vcc_lo, v0, s0
	s_delay_alu instid0(VALU_DEP_1) | instskip(NEXT) | instid1(VALU_DEP_3)
	v_add_co_ci_u32_e64 v11, null, 0, v16, vcc_lo
	v_mad_co_u64_u32 v[18:19], null, s15, v18, v[3:4]
	v_add_co_u32 v16, vcc_lo, s4, v1
	s_wait_alu 0xfffd
	v_add_co_ci_u32_e64 v17, null, s5, v2, vcc_lo
	v_add_co_u32 v2, vcc_lo, v9, v20
	s_wait_alu 0xfffd
	s_delay_alu instid0(VALU_DEP_4) | instskip(SKIP_3) | instid1(VALU_DEP_4)
	v_add_co_ci_u32_e64 v3, null, 0, v18, vcc_lo
	v_cmp_gt_i64_e64 s0, s[28:29], 0
	v_lshlrev_b64_e32 v[0:1], 2, v[10:11]
	v_lshlrev_b64_e32 v[4:5], 2, v[4:5]
	;; [unrolled: 1-line block ×3, first 2 shown]
	s_lshl_b64 s[4:5], s[26:27], 2
	s_lshl_b64 s[14:15], s[14:15], 4
	v_cndmask_b32_e64 v9, 0, 1, s0
	v_add_co_u32 v0, vcc_lo, s18, v0
	s_wait_alu 0xfffd
	v_add_co_ci_u32_e64 v1, null, s19, v1, vcc_lo
	v_add_co_u32 v2, vcc_lo, s12, v2
	s_wait_alu 0xfffd
	v_add_co_ci_u32_e64 v3, null, s13, v3, vcc_lo
	v_cmp_ne_u32_e64 s0, 1, v9
	s_lshl_b64 s[12:13], s[16:17], 2
	s_wait_alu 0xfffe
	s_lshl_b64 s[16:17], s[34:35], 2
	s_lshl_b64 s[18:19], s[20:21], 2
	s_branch .LBB38_3
.LBB38_2:                               ;   in Loop: Header=BB38_3 Depth=1
	s_add_co_i32 s2, s2, 0x10000
	s_wait_alu 0xfffe
	s_cmp_lt_i32 s2, s31
	s_cbranch_scc0 .LBB38_10
.LBB38_3:                               ; =>This Loop Header: Depth=1
                                        ;     Child Loop BB38_5 Depth 2
	v_dual_mov_b32 v33, 0 :: v_dual_mov_b32 v32, 0
	v_dual_mov_b32 v31, 0 :: v_dual_mov_b32 v30, 0
	;; [unrolled: 1-line block ×8, first 2 shown]
	s_and_b32 vcc_lo, exec_lo, s0
	s_wait_alu 0xfffe
	s_cbranch_vccnz .LBB38_6
; %bb.4:                                ;   in Loop: Header=BB38_3 Depth=1
	v_mad_co_u64_u32 v[8:9], null, s4, s2, v[0:1]
	v_mad_co_u64_u32 v[10:11], null, s12, s2, v[2:3]
	v_dual_mov_b32 v18, 0 :: v_dual_mov_b32 v19, 0
	v_dual_mov_b32 v20, 0 :: v_dual_mov_b32 v21, 0
	;; [unrolled: 1-line block ×3, first 2 shown]
	s_delay_alu instid0(VALU_DEP_4) | instskip(SKIP_3) | instid1(VALU_DEP_4)
	v_mad_co_u64_u32 v[28:29], null, s5, s2, v[9:10]
	v_mad_co_u64_u32 v[29:30], null, s13, s2, v[11:12]
	v_dual_mov_b32 v24, 0 :: v_dual_mov_b32 v25, 0
	v_dual_mov_b32 v26, 0 :: v_dual_mov_b32 v27, 0
	;; [unrolled: 1-line block ×3, first 2 shown]
	s_delay_alu instid0(VALU_DEP_4)
	v_dual_mov_b32 v11, v29 :: v_dual_mov_b32 v30, 0
	v_dual_mov_b32 v29, 0 :: v_dual_mov_b32 v32, 0
	v_mov_b32_e32 v31, 0
	v_mov_b32_e32 v33, 0
	s_mov_b64 s[20:21], 0
.LBB38_5:                               ;   Parent Loop BB38_3 Depth=1
                                        ; =>  This Inner Loop Header: Depth=2
	global_load_b32 v34, v[10:11], off
	global_load_b32 v35, v[8:9], off
	s_wait_alu 0xfffe
	s_add_nc_u64 s[20:21], s[20:21], 4
	v_add_co_u32 v8, vcc_lo, v8, s6
	s_wait_alu 0xfffe
	v_cmp_lt_i64_e64 s24, s[20:21], s[28:29]
	s_wait_alu 0xfffd
	v_add_co_ci_u32_e64 v9, null, s7, v9, vcc_lo
	v_add_co_u32 v10, vcc_lo, v10, s14
	s_wait_alu 0xfffd
	v_add_co_ci_u32_e64 v11, null, s15, v11, vcc_lo
	s_and_b32 vcc_lo, exec_lo, s24
	s_wait_loadcnt 0x1
	ds_store_b32 v12, v34
	s_wait_loadcnt 0x0
	ds_store_b32 v13, v35
	s_wait_dscnt 0x0
	s_barrier_signal -1
	s_barrier_wait -1
	global_inv scope:SCOPE_SE
	ds_load_b128 v[34:37], v15
	ds_load_2addr_b32 v[50:51], v14 offset1:16
	ds_load_2addr_b32 v[52:53], v14 offset0:32 offset1:48
	ds_load_b128 v[38:41], v15 offset:256
	ds_load_b128 v[42:45], v15 offset:512
	;; [unrolled: 1-line block ×3, first 2 shown]
	ds_load_2addr_b32 v[54:55], v14 offset0:64 offset1:80
	ds_load_2addr_b32 v[56:57], v14 offset0:96 offset1:112
	;; [unrolled: 1-line block ×6, first 2 shown]
	s_wait_loadcnt_dscnt 0x0
	s_barrier_signal -1
	s_barrier_wait -1
	global_inv scope:SCOPE_SE
	v_fmac_f32_e32 v32, v51, v34
	v_fmac_f32_e32 v33, v50, v34
	;; [unrolled: 1-line block ×15, first 2 shown]
	v_dual_fmac_f32 v19, v52, v46 :: v_dual_fmac_f32 v32, v55, v35
	v_fmac_f32_e32 v33, v54, v35
	v_fmac_f32_e32 v30, v57, v35
	v_fmac_f32_e32 v31, v56, v35
	v_fmac_f32_e32 v28, v55, v39
	v_fmac_f32_e32 v29, v54, v39
	v_fmac_f32_e32 v26, v57, v39
	v_fmac_f32_e32 v27, v56, v39
	v_fmac_f32_e32 v24, v55, v43
	v_fmac_f32_e32 v25, v54, v43
	v_fmac_f32_e32 v22, v57, v43
	v_fmac_f32_e32 v23, v56, v43
	v_fmac_f32_e32 v20, v55, v47
	v_fmac_f32_e32 v21, v54, v47
	v_fmac_f32_e32 v18, v57, v47
	v_dual_fmac_f32 v19, v56, v47 :: v_dual_fmac_f32 v32, v59, v36
	v_fmac_f32_e32 v33, v58, v36
	v_fmac_f32_e32 v30, v61, v36
	v_fmac_f32_e32 v31, v60, v36
	v_fmac_f32_e32 v28, v59, v40
	v_fmac_f32_e32 v29, v58, v40
	v_fmac_f32_e32 v26, v61, v40
	v_fmac_f32_e32 v27, v60, v40
	v_fmac_f32_e32 v24, v59, v44
	v_fmac_f32_e32 v25, v58, v44
	v_fmac_f32_e32 v22, v61, v44
	v_fmac_f32_e32 v23, v60, v44
	v_fmac_f32_e32 v20, v59, v48
	v_fmac_f32_e32 v21, v58, v48
	v_fmac_f32_e32 v18, v61, v48
	;; [unrolled: 15-line block ×3, first 2 shown]
	v_fmac_f32_e32 v19, v64, v49
	s_wait_alu 0xfffe
	s_cbranch_vccnz .LBB38_5
.LBB38_6:                               ;   in Loop: Header=BB38_3 Depth=1
	s_mul_u64 s[20:21], s[22:23], s[2:3]
	s_and_not1_b32 vcc_lo, exec_lo, s33
	s_wait_alu 0xfffe
	s_lshl_b64 s[20:21], s[20:21], 2
	s_wait_alu 0xfffe
	s_add_nc_u64 s[20:21], s[10:11], s[20:21]
	s_cbranch_vccnz .LBB38_8
; %bb.7:                                ;   in Loop: Header=BB38_3 Depth=1
	s_wait_alu 0xfffe
	v_add_co_u32 v10, vcc_lo, s20, v4
	s_wait_alu 0xfffd
	v_add_co_ci_u32_e64 v11, null, s21, v5, vcc_lo
	v_dual_mul_f32 v34, s30, v33 :: v_dual_mul_f32 v35, s30, v32
	s_delay_alu instid0(VALU_DEP_3) | instskip(SKIP_1) | instid1(VALU_DEP_3)
	v_add_co_u32 v8, vcc_lo, v10, v6
	s_wait_alu 0xfffd
	v_add_co_ci_u32_e64 v9, null, v11, v7, vcc_lo
	v_add_co_u32 v10, vcc_lo, v10, s18
	v_dual_mul_f32 v36, s30, v31 :: v_dual_mul_f32 v37, s30, v30
	s_wait_alu 0xfffd
	v_add_co_ci_u32_e64 v11, null, s19, v11, vcc_lo
	s_clause 0x3
	global_store_b32 v[8:9], v34, off
	global_store_b32 v[8:9], v35, off offset:64
	global_store_b32 v[8:9], v36, off offset:128
	;; [unrolled: 1-line block ×3, first 2 shown]
	v_add_co_u32 v8, vcc_lo, v10, v6
	s_wait_alu 0xfffd
	v_add_co_ci_u32_e64 v9, null, v11, v7, vcc_lo
	v_add_co_u32 v38, vcc_lo, v10, s18
	s_wait_alu 0xfffd
	v_add_co_ci_u32_e64 v39, null, s19, v11, vcc_lo
	v_dual_mul_f32 v34, s30, v29 :: v_dual_mul_f32 v35, s30, v28
	v_dual_mul_f32 v36, s30, v27 :: v_dual_mul_f32 v37, s30, v26
	v_add_co_u32 v10, vcc_lo, v38, v6
	v_dual_mul_f32 v40, s30, v25 :: v_dual_mul_f32 v41, s30, v24
	s_wait_alu 0xfffd
	v_add_co_ci_u32_e64 v11, null, v39, v7, vcc_lo
	v_dual_mul_f32 v42, s30, v23 :: v_dual_mul_f32 v43, s30, v22
	s_clause 0x7
	global_store_b32 v[8:9], v34, off
	global_store_b32 v[8:9], v35, off offset:64
	global_store_b32 v[8:9], v36, off offset:128
	;; [unrolled: 1-line block ×3, first 2 shown]
	global_store_b32 v[10:11], v40, off
	global_store_b32 v[10:11], v41, off offset:64
	global_store_b32 v[10:11], v42, off offset:128
	;; [unrolled: 1-line block ×3, first 2 shown]
	v_add_co_u32 v8, vcc_lo, v38, s18
	s_wait_alu 0xfffd
	v_add_co_ci_u32_e64 v9, null, s19, v39, vcc_lo
	v_dual_mul_f32 v10, s30, v21 :: v_dual_mul_f32 v11, s30, v20
	s_delay_alu instid0(VALU_DEP_3) | instskip(SKIP_1) | instid1(VALU_DEP_3)
	v_add_co_u32 v8, vcc_lo, v8, v6
	s_wait_alu 0xfffd
	v_add_co_ci_u32_e64 v9, null, v9, v7, vcc_lo
	v_dual_mul_f32 v34, s30, v19 :: v_dual_mul_f32 v35, s30, v18
	s_clause 0x3
	global_store_b32 v[8:9], v10, off
	global_store_b32 v[8:9], v11, off offset:64
	global_store_b32 v[8:9], v34, off offset:128
	;; [unrolled: 1-line block ×3, first 2 shown]
	s_cbranch_execnz .LBB38_2
	s_branch .LBB38_9
.LBB38_8:                               ;   in Loop: Header=BB38_3 Depth=1
.LBB38_9:                               ;   in Loop: Header=BB38_3 Depth=1
	s_mul_u64 s[24:25], s[8:9], s[2:3]
	s_wait_alu 0xfffe
	s_lshl_b64 s[24:25], s[24:25], 2
	s_wait_alu 0xfffe
	v_add_co_u32 v34, vcc_lo, v16, s24
	s_wait_alu 0xfffd
	v_add_co_ci_u32_e64 v35, null, s25, v17, vcc_lo
	s_delay_alu instid0(VALU_DEP_2) | instskip(SKIP_1) | instid1(VALU_DEP_2)
	v_add_co_u32 v8, vcc_lo, v34, v6
	s_wait_alu 0xfffd
	v_add_co_ci_u32_e64 v9, null, v35, v7, vcc_lo
	v_add_co_u32 v36, vcc_lo, s20, v4
	s_wait_alu 0xfffd
	v_add_co_ci_u32_e64 v37, null, s21, v5, vcc_lo
	global_load_b32 v10, v[8:9], off
	s_wait_loadcnt 0x0
	v_mul_f32_e32 v38, s1, v10
	v_add_co_u32 v10, vcc_lo, v36, v6
	s_wait_alu 0xfffd
	v_add_co_ci_u32_e64 v11, null, v37, v7, vcc_lo
	s_delay_alu instid0(VALU_DEP_3) | instskip(SKIP_4) | instid1(VALU_DEP_1)
	v_fmac_f32_e32 v38, s30, v33
	global_store_b32 v[10:11], v38, off
	global_load_b32 v33, v[8:9], off offset:64
	s_wait_loadcnt 0x0
	v_mul_f32_e32 v33, s1, v33
	v_fmac_f32_e32 v33, s30, v32
	global_store_b32 v[10:11], v33, off offset:64
	global_load_b32 v32, v[8:9], off offset:128
	s_wait_loadcnt 0x0
	v_mul_f32_e32 v32, s1, v32
	s_delay_alu instid0(VALU_DEP_1)
	v_fmac_f32_e32 v32, s30, v31
	global_store_b32 v[10:11], v32, off offset:128
	global_load_b32 v8, v[8:9], off offset:192
	v_add_co_u32 v32, vcc_lo, v34, s16
	s_wait_alu 0xfffd
	v_add_co_ci_u32_e64 v33, null, s17, v35, vcc_lo
	s_wait_loadcnt 0x0
	v_mul_f32_e32 v31, s1, v8
	v_add_co_u32 v8, vcc_lo, v32, v6
	s_wait_alu 0xfffd
	v_add_co_ci_u32_e64 v9, null, v33, v7, vcc_lo
	s_delay_alu instid0(VALU_DEP_3)
	v_fmac_f32_e32 v31, s30, v30
	v_add_co_u32 v30, vcc_lo, v36, s18
	global_store_b32 v[10:11], v31, off offset:192
	global_load_b32 v10, v[8:9], off
	s_wait_alu 0xfffd
	v_add_co_ci_u32_e64 v31, null, s19, v37, vcc_lo
	s_wait_loadcnt 0x0
	v_mul_f32_e32 v34, s1, v10
	v_add_co_u32 v10, vcc_lo, v30, v6
	s_wait_alu 0xfffd
	v_add_co_ci_u32_e64 v11, null, v31, v7, vcc_lo
	s_delay_alu instid0(VALU_DEP_3) | instskip(SKIP_4) | instid1(VALU_DEP_1)
	v_fmac_f32_e32 v34, s30, v29
	global_store_b32 v[10:11], v34, off
	global_load_b32 v29, v[8:9], off offset:64
	s_wait_loadcnt 0x0
	v_mul_f32_e32 v29, s1, v29
	v_fmac_f32_e32 v29, s30, v28
	global_store_b32 v[10:11], v29, off offset:64
	global_load_b32 v28, v[8:9], off offset:128
	s_wait_loadcnt 0x0
	v_mul_f32_e32 v28, s1, v28
	s_delay_alu instid0(VALU_DEP_1)
	v_fmac_f32_e32 v28, s30, v27
	global_store_b32 v[10:11], v28, off offset:128
	global_load_b32 v8, v[8:9], off offset:192
	v_add_co_u32 v28, vcc_lo, v32, s16
	s_wait_alu 0xfffd
	v_add_co_ci_u32_e64 v29, null, s17, v33, vcc_lo
	s_wait_loadcnt 0x0
	v_mul_f32_e32 v27, s1, v8
	v_add_co_u32 v8, vcc_lo, v28, v6
	s_wait_alu 0xfffd
	v_add_co_ci_u32_e64 v9, null, v29, v7, vcc_lo
	s_delay_alu instid0(VALU_DEP_3)
	v_fmac_f32_e32 v27, s30, v26
	v_add_co_u32 v26, vcc_lo, v30, s18
	global_store_b32 v[10:11], v27, off offset:192
	global_load_b32 v10, v[8:9], off
	s_wait_alu 0xfffd
	v_add_co_ci_u32_e64 v27, null, s19, v31, vcc_lo
	s_wait_loadcnt 0x0
	v_mul_f32_e32 v30, s1, v10
	v_add_co_u32 v10, vcc_lo, v26, v6
	s_wait_alu 0xfffd
	v_add_co_ci_u32_e64 v11, null, v27, v7, vcc_lo
	s_delay_alu instid0(VALU_DEP_3) | instskip(SKIP_4) | instid1(VALU_DEP_1)
	v_fmac_f32_e32 v30, s30, v25
	global_store_b32 v[10:11], v30, off
	global_load_b32 v25, v[8:9], off offset:64
	s_wait_loadcnt 0x0
	v_mul_f32_e32 v25, s1, v25
	v_fmac_f32_e32 v25, s30, v24
	global_store_b32 v[10:11], v25, off offset:64
	global_load_b32 v24, v[8:9], off offset:128
	s_wait_loadcnt 0x0
	v_mul_f32_e32 v24, s1, v24
	s_delay_alu instid0(VALU_DEP_1)
	v_fmac_f32_e32 v24, s30, v23
	global_store_b32 v[10:11], v24, off offset:128
	global_load_b32 v8, v[8:9], off offset:192
	s_wait_loadcnt 0x0
	v_mul_f32_e32 v23, s1, v8
	v_add_co_u32 v8, vcc_lo, v28, s16
	s_wait_alu 0xfffd
	v_add_co_ci_u32_e64 v9, null, s17, v29, vcc_lo
	s_delay_alu instid0(VALU_DEP_3) | instskip(NEXT) | instid1(VALU_DEP_3)
	v_fmac_f32_e32 v23, s30, v22
	v_add_co_u32 v8, vcc_lo, v8, v6
	s_wait_alu 0xfffd
	s_delay_alu instid0(VALU_DEP_3)
	v_add_co_ci_u32_e64 v9, null, v9, v7, vcc_lo
	global_store_b32 v[10:11], v23, off offset:192
	global_load_b32 v10, v[8:9], off
	s_wait_loadcnt 0x0
	v_mul_f32_e32 v22, s1, v10
	v_add_co_u32 v10, vcc_lo, v26, s18
	s_wait_alu 0xfffd
	v_add_co_ci_u32_e64 v11, null, s19, v27, vcc_lo
	s_delay_alu instid0(VALU_DEP_3) | instskip(NEXT) | instid1(VALU_DEP_3)
	v_fmac_f32_e32 v22, s30, v21
	v_add_co_u32 v10, vcc_lo, v10, v6
	s_wait_alu 0xfffd
	s_delay_alu instid0(VALU_DEP_3) | instskip(SKIP_4) | instid1(VALU_DEP_1)
	v_add_co_ci_u32_e64 v11, null, v11, v7, vcc_lo
	global_store_b32 v[10:11], v22, off
	global_load_b32 v21, v[8:9], off offset:64
	s_wait_loadcnt 0x0
	v_mul_f32_e32 v21, s1, v21
	v_fmac_f32_e32 v21, s30, v20
	global_store_b32 v[10:11], v21, off offset:64
	global_load_b32 v20, v[8:9], off offset:128
	s_wait_loadcnt 0x0
	v_mul_f32_e32 v20, s1, v20
	s_delay_alu instid0(VALU_DEP_1) | instskip(SKIP_4) | instid1(VALU_DEP_1)
	v_fmac_f32_e32 v20, s30, v19
	global_store_b32 v[10:11], v20, off offset:128
	global_load_b32 v8, v[8:9], off offset:192
	s_wait_loadcnt 0x0
	v_mul_f32_e32 v8, s1, v8
	v_fmac_f32_e32 v8, s30, v18
	global_store_b32 v[10:11], v8, off offset:192
	s_branch .LBB38_2
.LBB38_10:
	s_endpgm
	.section	.rodata,"a",@progbits
	.p2align	6, 0x0
	.amdhsa_kernel _ZN12_GLOBAL__N_127rocblas_gemm_batched_kernelIfLi16ELi16ELi64ELi64ELi4ELi64ELi4ELi4ELi64ELc78ELc67EKfS1_fEEvlllT_PT11_llS4_llS2_PT12_llPT13_lli
		.amdhsa_group_segment_fixed_size 2048
		.amdhsa_private_segment_fixed_size 0
		.amdhsa_kernarg_size 140
		.amdhsa_user_sgpr_count 2
		.amdhsa_user_sgpr_dispatch_ptr 0
		.amdhsa_user_sgpr_queue_ptr 0
		.amdhsa_user_sgpr_kernarg_segment_ptr 1
		.amdhsa_user_sgpr_dispatch_id 0
		.amdhsa_user_sgpr_private_segment_size 0
		.amdhsa_wavefront_size32 1
		.amdhsa_uses_dynamic_stack 0
		.amdhsa_enable_private_segment 0
		.amdhsa_system_sgpr_workgroup_id_x 1
		.amdhsa_system_sgpr_workgroup_id_y 1
		.amdhsa_system_sgpr_workgroup_id_z 1
		.amdhsa_system_sgpr_workgroup_info 0
		.amdhsa_system_vgpr_workitem_id 1
		.amdhsa_next_free_vgpr 66
		.amdhsa_next_free_sgpr 37
		.amdhsa_reserve_vcc 1
		.amdhsa_float_round_mode_32 0
		.amdhsa_float_round_mode_16_64 0
		.amdhsa_float_denorm_mode_32 3
		.amdhsa_float_denorm_mode_16_64 3
		.amdhsa_fp16_overflow 0
		.amdhsa_workgroup_processor_mode 1
		.amdhsa_memory_ordered 1
		.amdhsa_forward_progress 1
		.amdhsa_inst_pref_size 21
		.amdhsa_round_robin_scheduling 0
		.amdhsa_exception_fp_ieee_invalid_op 0
		.amdhsa_exception_fp_denorm_src 0
		.amdhsa_exception_fp_ieee_div_zero 0
		.amdhsa_exception_fp_ieee_overflow 0
		.amdhsa_exception_fp_ieee_underflow 0
		.amdhsa_exception_fp_ieee_inexact 0
		.amdhsa_exception_int_div_zero 0
	.end_amdhsa_kernel
	.section	.text._ZN12_GLOBAL__N_127rocblas_gemm_batched_kernelIfLi16ELi16ELi64ELi64ELi4ELi64ELi4ELi4ELi64ELc78ELc67EKfS1_fEEvlllT_PT11_llS4_llS2_PT12_llPT13_lli,"axG",@progbits,_ZN12_GLOBAL__N_127rocblas_gemm_batched_kernelIfLi16ELi16ELi64ELi64ELi4ELi64ELi4ELi4ELi64ELc78ELc67EKfS1_fEEvlllT_PT11_llS4_llS2_PT12_llPT13_lli,comdat
.Lfunc_end38:
	.size	_ZN12_GLOBAL__N_127rocblas_gemm_batched_kernelIfLi16ELi16ELi64ELi64ELi4ELi64ELi4ELi4ELi64ELc78ELc67EKfS1_fEEvlllT_PT11_llS4_llS2_PT12_llPT13_lli, .Lfunc_end38-_ZN12_GLOBAL__N_127rocblas_gemm_batched_kernelIfLi16ELi16ELi64ELi64ELi4ELi64ELi4ELi4ELi64ELc78ELc67EKfS1_fEEvlllT_PT11_llS4_llS2_PT12_llPT13_lli
                                        ; -- End function
	.set _ZN12_GLOBAL__N_127rocblas_gemm_batched_kernelIfLi16ELi16ELi64ELi64ELi4ELi64ELi4ELi4ELi64ELc78ELc67EKfS1_fEEvlllT_PT11_llS4_llS2_PT12_llPT13_lli.num_vgpr, 66
	.set _ZN12_GLOBAL__N_127rocblas_gemm_batched_kernelIfLi16ELi16ELi64ELi64ELi4ELi64ELi4ELi4ELi64ELc78ELc67EKfS1_fEEvlllT_PT11_llS4_llS2_PT12_llPT13_lli.num_agpr, 0
	.set _ZN12_GLOBAL__N_127rocblas_gemm_batched_kernelIfLi16ELi16ELi64ELi64ELi4ELi64ELi4ELi4ELi64ELc78ELc67EKfS1_fEEvlllT_PT11_llS4_llS2_PT12_llPT13_lli.numbered_sgpr, 37
	.set _ZN12_GLOBAL__N_127rocblas_gemm_batched_kernelIfLi16ELi16ELi64ELi64ELi4ELi64ELi4ELi4ELi64ELc78ELc67EKfS1_fEEvlllT_PT11_llS4_llS2_PT12_llPT13_lli.num_named_barrier, 0
	.set _ZN12_GLOBAL__N_127rocblas_gemm_batched_kernelIfLi16ELi16ELi64ELi64ELi4ELi64ELi4ELi4ELi64ELc78ELc67EKfS1_fEEvlllT_PT11_llS4_llS2_PT12_llPT13_lli.private_seg_size, 0
	.set _ZN12_GLOBAL__N_127rocblas_gemm_batched_kernelIfLi16ELi16ELi64ELi64ELi4ELi64ELi4ELi4ELi64ELc78ELc67EKfS1_fEEvlllT_PT11_llS4_llS2_PT12_llPT13_lli.uses_vcc, 1
	.set _ZN12_GLOBAL__N_127rocblas_gemm_batched_kernelIfLi16ELi16ELi64ELi64ELi4ELi64ELi4ELi4ELi64ELc78ELc67EKfS1_fEEvlllT_PT11_llS4_llS2_PT12_llPT13_lli.uses_flat_scratch, 0
	.set _ZN12_GLOBAL__N_127rocblas_gemm_batched_kernelIfLi16ELi16ELi64ELi64ELi4ELi64ELi4ELi4ELi64ELc78ELc67EKfS1_fEEvlllT_PT11_llS4_llS2_PT12_llPT13_lli.has_dyn_sized_stack, 0
	.set _ZN12_GLOBAL__N_127rocblas_gemm_batched_kernelIfLi16ELi16ELi64ELi64ELi4ELi64ELi4ELi4ELi64ELc78ELc67EKfS1_fEEvlllT_PT11_llS4_llS2_PT12_llPT13_lli.has_recursion, 0
	.set _ZN12_GLOBAL__N_127rocblas_gemm_batched_kernelIfLi16ELi16ELi64ELi64ELi4ELi64ELi4ELi4ELi64ELc78ELc67EKfS1_fEEvlllT_PT11_llS4_llS2_PT12_llPT13_lli.has_indirect_call, 0
	.section	.AMDGPU.csdata,"",@progbits
; Kernel info:
; codeLenInByte = 2684
; TotalNumSgprs: 39
; NumVgprs: 66
; ScratchSize: 0
; MemoryBound: 0
; FloatMode: 240
; IeeeMode: 1
; LDSByteSize: 2048 bytes/workgroup (compile time only)
; SGPRBlocks: 0
; VGPRBlocks: 8
; NumSGPRsForWavesPerEU: 39
; NumVGPRsForWavesPerEU: 66
; Occupancy: 16
; WaveLimiterHint : 0
; COMPUTE_PGM_RSRC2:SCRATCH_EN: 0
; COMPUTE_PGM_RSRC2:USER_SGPR: 2
; COMPUTE_PGM_RSRC2:TRAP_HANDLER: 0
; COMPUTE_PGM_RSRC2:TGID_X_EN: 1
; COMPUTE_PGM_RSRC2:TGID_Y_EN: 1
; COMPUTE_PGM_RSRC2:TGID_Z_EN: 1
; COMPUTE_PGM_RSRC2:TIDIG_COMP_CNT: 1
	.section	.text._ZN12_GLOBAL__N_127rocblas_gemm_batched_kernelIfLi16ELi16ELi64ELi64ELi4ELi64ELi4ELi4ELi64ELc84ELc67EKfS1_fEEvlllT_PT11_llS4_llS2_PT12_llPT13_lli,"axG",@progbits,_ZN12_GLOBAL__N_127rocblas_gemm_batched_kernelIfLi16ELi16ELi64ELi64ELi4ELi64ELi4ELi4ELi64ELc84ELc67EKfS1_fEEvlllT_PT11_llS4_llS2_PT12_llPT13_lli,comdat
	.globl	_ZN12_GLOBAL__N_127rocblas_gemm_batched_kernelIfLi16ELi16ELi64ELi64ELi4ELi64ELi4ELi4ELi64ELc84ELc67EKfS1_fEEvlllT_PT11_llS4_llS2_PT12_llPT13_lli ; -- Begin function _ZN12_GLOBAL__N_127rocblas_gemm_batched_kernelIfLi16ELi16ELi64ELi64ELi4ELi64ELi4ELi4ELi64ELc84ELc67EKfS1_fEEvlllT_PT11_llS4_llS2_PT12_llPT13_lli
	.p2align	8
	.type	_ZN12_GLOBAL__N_127rocblas_gemm_batched_kernelIfLi16ELi16ELi64ELi64ELi4ELi64ELi4ELi4ELi64ELc84ELc67EKfS1_fEEvlllT_PT11_llS4_llS2_PT12_llPT13_lli,@function
_ZN12_GLOBAL__N_127rocblas_gemm_batched_kernelIfLi16ELi16ELi64ELi64ELi4ELi64ELi4ELi4ELi64ELc84ELc67EKfS1_fEEvlllT_PT11_llS4_llS2_PT12_llPT13_lli: ; @_ZN12_GLOBAL__N_127rocblas_gemm_batched_kernelIfLi16ELi16ELi64ELi64ELi4ELi64ELi4ELi4ELi64ELc84ELc67EKfS1_fEEvlllT_PT11_llS4_llS2_PT12_llPT13_lli
; %bb.0:
	s_load_b32 s27, s[0:1], 0x88
	s_lshr_b32 s28, ttmp7, 16
	s_wait_kmcnt 0x0
	s_cmp_ge_i32 s28, s27
	s_cbranch_scc1 .LBB39_10
; %bb.1:
	v_bfe_u32 v2, v0, 10, 10
	s_clause 0x1
	s_load_b96 s[24:26], s[0:1], 0x10
	s_load_b128 s[16:19], s[0:1], 0x78
	v_dual_mov_b32 v1, 0 :: v_dual_and_b32 v8, 0x3ff, v0
	s_clause 0x3
	s_load_b256 s[8:15], s[0:1], 0x20
	s_load_b128 s[20:23], s[0:1], 0x40
	s_load_b32 s30, s[0:1], 0x50
	s_load_b256 s[0:7], s[0:1], 0x58
	v_lshlrev_b32_e32 v6, 4, v2
	v_and_b32_e32 v9, 3, v0
	s_lshl_b32 s31, ttmp7, 6
	s_mov_b32 s34, ttmp9
	s_and_b32 s33, s31, 0x3fffc0
	v_add_nc_u32_e32 v3, v6, v8
	v_lshlrev_b32_e32 v4, 2, v9
	v_add_nc_u32_e32 v7, s33, v2
	v_add_nc_u32_e32 v15, 0x400, v6
	s_ashr_i32 s35, ttmp9, 31
	v_and_b32_e32 v10, 63, v3
	v_lshrrev_b32_e32 v0, 2, v3
	v_lshrrev_b32_e32 v18, 6, v3
	s_lshl_b64 s[34:35], s[34:35], 6
	v_lshlrev_b32_e32 v14, 2, v8
	v_lshlrev_b32_e32 v2, 2, v10
	v_lshl_or_b32 v11, v0, 4, v4
	s_wait_kmcnt 0x0
	v_mad_co_u64_u32 v[4:5], null, v7, s16, 0
	v_mad_co_u64_u32 v[0:1], null, s20, v9, v[0:1]
	v_lshl_or_b32 v12, v18, 8, v2
	v_mad_co_u64_u32 v[2:3], null, v7, s2, 0
	v_add_nc_u32_e32 v13, 0x400, v11
	v_mad_co_u64_u32 v[5:6], null, v7, s17, v[5:6]
	s_cmp_eq_f32 s30, 0
	v_add_co_u32 v0, vcc_lo, v0, s33
	v_mad_co_u64_u32 v[6:7], null, v7, s3, v[3:4]
	v_add_co_u32 v7, s36, s34, v8
	s_cselect_b32 s31, -1, 0
	v_add_co_ci_u32_e64 v8, null, s35, 0, s36
	s_lshl_b64 s[36:37], s[2:3], 4
	v_mov_b32_e32 v3, v6
	v_or_b32_e32 v11, s34, v10
	v_mad_co_u64_u32 v[9:10], null, s21, v9, v[1:2]
	s_mul_i32 s2, s10, s35
	v_lshlrev_b64_e32 v[2:3], 2, v[2:3]
	v_mul_lo_u32 v6, s11, v11
	v_mad_co_u64_u32 v[10:11], null, s10, v11, 0
	v_lshlrev_b64_e32 v[4:5], 2, v[4:5]
	v_add_co_ci_u32_e64 v1, null, 0, v9, vcc_lo
	v_add_co_u32 v16, vcc_lo, s0, v2
	s_wait_alu 0xfffd
	v_add_co_ci_u32_e64 v17, null, s1, v3, vcc_lo
	s_wait_alu 0xfffe
	v_add3_u32 v11, v11, s2, v6
	v_lshlrev_b64_e32 v[0:1], 2, v[0:1]
	v_lshlrev_b32_e32 v6, 2, v18
	v_cmp_gt_i64_e64 s0, s[24:25], 0
	s_lshl_b64 s[16:17], s[16:17], 4
	v_lshlrev_b64_e32 v[2:3], 2, v[10:11]
	s_mov_b32 s29, 0
	v_add_co_u32 v0, vcc_lo, s14, v0
	s_wait_alu 0xfffd
	v_add_co_ci_u32_e64 v1, null, s15, v1, vcc_lo
	s_delay_alu instid0(VALU_DEP_3) | instskip(SKIP_3) | instid1(VALU_DEP_3)
	v_add_co_u32 v2, vcc_lo, v2, v6
	s_wait_alu 0xfffd
	v_add_co_ci_u32_e64 v3, null, 0, v3, vcc_lo
	v_cndmask_b32_e64 v9, 0, 1, s0
	v_add_co_u32 v2, vcc_lo, s8, v2
	v_lshlrev_b64_e32 v[6:7], 2, v[7:8]
	s_wait_alu 0xfffd
	v_add_co_ci_u32_e64 v3, null, s9, v3, vcc_lo
	v_cmp_ne_u32_e64 s0, 1, v9
	s_lshl_b64 s[2:3], s[22:23], 2
	s_lshl_b64 s[10:11], s[20:21], 4
	;; [unrolled: 1-line block ×4, first 2 shown]
	s_wait_alu 0xfffe
	s_lshl_b64 s[14:15], s[16:17], 2
	s_branch .LBB39_3
.LBB39_2:                               ;   in Loop: Header=BB39_3 Depth=1
	s_add_co_i32 s28, s28, 0x10000
	s_wait_alu 0xfffe
	s_cmp_lt_i32 s28, s27
	s_cbranch_scc0 .LBB39_10
.LBB39_3:                               ; =>This Loop Header: Depth=1
                                        ;     Child Loop BB39_5 Depth 2
	v_dual_mov_b32 v33, 0 :: v_dual_mov_b32 v32, 0
	v_dual_mov_b32 v31, 0 :: v_dual_mov_b32 v30, 0
	;; [unrolled: 1-line block ×8, first 2 shown]
	s_and_b32 vcc_lo, exec_lo, s0
	s_wait_alu 0xfffe
	s_cbranch_vccnz .LBB39_6
; %bb.4:                                ;   in Loop: Header=BB39_3 Depth=1
	v_mad_co_u64_u32 v[8:9], null, s2, s28, v[0:1]
	v_mad_co_u64_u32 v[10:11], null, s8, s28, v[2:3]
	v_dual_mov_b32 v18, 0 :: v_dual_mov_b32 v19, 0
	v_dual_mov_b32 v20, 0 :: v_dual_mov_b32 v21, 0
	;; [unrolled: 1-line block ×3, first 2 shown]
	s_delay_alu instid0(VALU_DEP_4) | instskip(SKIP_3) | instid1(VALU_DEP_4)
	v_mad_co_u64_u32 v[28:29], null, s3, s28, v[9:10]
	v_mad_co_u64_u32 v[29:30], null, s9, s28, v[11:12]
	v_dual_mov_b32 v24, 0 :: v_dual_mov_b32 v25, 0
	v_dual_mov_b32 v26, 0 :: v_dual_mov_b32 v27, 0
	;; [unrolled: 1-line block ×3, first 2 shown]
	s_delay_alu instid0(VALU_DEP_4)
	v_dual_mov_b32 v11, v29 :: v_dual_mov_b32 v30, 0
	v_dual_mov_b32 v29, 0 :: v_dual_mov_b32 v32, 0
	v_mov_b32_e32 v31, 0
	v_mov_b32_e32 v33, 0
	s_mov_b64 s[16:17], 0
.LBB39_5:                               ;   Parent Loop BB39_3 Depth=1
                                        ; =>  This Inner Loop Header: Depth=2
	global_load_b32 v34, v[10:11], off
	global_load_b32 v35, v[8:9], off
	s_wait_alu 0xfffe
	s_add_nc_u64 s[16:17], s[16:17], 4
	v_add_co_u32 v8, vcc_lo, v8, s10
	s_wait_alu 0xfffe
	v_cmp_lt_i64_e64 s1, s[16:17], s[24:25]
	s_wait_alu 0xfffd
	v_add_co_ci_u32_e64 v9, null, s11, v9, vcc_lo
	v_add_co_u32 v10, vcc_lo, v10, 16
	s_wait_alu 0xfffd
	v_add_co_ci_u32_e64 v11, null, 0, v11, vcc_lo
	s_and_b32 vcc_lo, exec_lo, s1
	s_wait_loadcnt 0x1
	ds_store_b32 v12, v34
	s_wait_loadcnt 0x0
	ds_store_b32 v13, v35
	s_wait_dscnt 0x0
	s_barrier_signal -1
	s_barrier_wait -1
	global_inv scope:SCOPE_SE
	ds_load_b128 v[34:37], v15
	ds_load_2addr_b32 v[50:51], v14 offset1:16
	ds_load_2addr_b32 v[52:53], v14 offset0:32 offset1:48
	ds_load_b128 v[38:41], v15 offset:256
	ds_load_b128 v[42:45], v15 offset:512
	;; [unrolled: 1-line block ×3, first 2 shown]
	ds_load_2addr_b32 v[54:55], v14 offset0:64 offset1:80
	ds_load_2addr_b32 v[56:57], v14 offset0:96 offset1:112
	;; [unrolled: 1-line block ×6, first 2 shown]
	s_wait_loadcnt_dscnt 0x0
	s_barrier_signal -1
	s_barrier_wait -1
	global_inv scope:SCOPE_SE
	v_fmac_f32_e32 v32, v51, v34
	v_fmac_f32_e32 v33, v50, v34
	;; [unrolled: 1-line block ×15, first 2 shown]
	v_dual_fmac_f32 v19, v52, v46 :: v_dual_fmac_f32 v32, v55, v35
	v_fmac_f32_e32 v33, v54, v35
	v_fmac_f32_e32 v30, v57, v35
	v_fmac_f32_e32 v31, v56, v35
	v_fmac_f32_e32 v28, v55, v39
	v_fmac_f32_e32 v29, v54, v39
	v_fmac_f32_e32 v26, v57, v39
	v_fmac_f32_e32 v27, v56, v39
	v_fmac_f32_e32 v24, v55, v43
	v_fmac_f32_e32 v25, v54, v43
	v_fmac_f32_e32 v22, v57, v43
	v_fmac_f32_e32 v23, v56, v43
	v_fmac_f32_e32 v20, v55, v47
	v_fmac_f32_e32 v21, v54, v47
	v_fmac_f32_e32 v18, v57, v47
	v_dual_fmac_f32 v19, v56, v47 :: v_dual_fmac_f32 v32, v59, v36
	v_fmac_f32_e32 v33, v58, v36
	v_fmac_f32_e32 v30, v61, v36
	v_fmac_f32_e32 v31, v60, v36
	v_fmac_f32_e32 v28, v59, v40
	v_fmac_f32_e32 v29, v58, v40
	v_fmac_f32_e32 v26, v61, v40
	v_fmac_f32_e32 v27, v60, v40
	v_fmac_f32_e32 v24, v59, v44
	v_fmac_f32_e32 v25, v58, v44
	v_fmac_f32_e32 v22, v61, v44
	v_fmac_f32_e32 v23, v60, v44
	v_fmac_f32_e32 v20, v59, v48
	v_fmac_f32_e32 v21, v58, v48
	v_fmac_f32_e32 v18, v61, v48
	v_dual_fmac_f32 v19, v60, v48 :: v_dual_fmac_f32 v32, v63, v37
	v_fmac_f32_e32 v33, v62, v37
	v_fmac_f32_e32 v30, v65, v37
	v_fmac_f32_e32 v31, v64, v37
	v_fmac_f32_e32 v28, v63, v41
	v_fmac_f32_e32 v29, v62, v41
	v_fmac_f32_e32 v26, v65, v41
	v_fmac_f32_e32 v27, v64, v41
	v_fmac_f32_e32 v24, v63, v45
	v_fmac_f32_e32 v25, v62, v45
	v_fmac_f32_e32 v22, v65, v45
	v_fmac_f32_e32 v23, v64, v45
	v_fmac_f32_e32 v20, v63, v49
	v_fmac_f32_e32 v21, v62, v49
	v_fmac_f32_e32 v18, v65, v49
	v_fmac_f32_e32 v19, v64, v49
	s_wait_alu 0xfffe
	s_cbranch_vccnz .LBB39_5
.LBB39_6:                               ;   in Loop: Header=BB39_3 Depth=1
	s_mul_u64 s[16:17], s[18:19], s[28:29]
	s_and_not1_b32 vcc_lo, exec_lo, s31
	s_wait_alu 0xfffe
	s_lshl_b64 s[16:17], s[16:17], 2
	s_wait_alu 0xfffe
	s_add_nc_u64 s[16:17], s[6:7], s[16:17]
	s_cbranch_vccnz .LBB39_8
; %bb.7:                                ;   in Loop: Header=BB39_3 Depth=1
	s_wait_alu 0xfffe
	v_add_co_u32 v10, vcc_lo, s16, v4
	s_wait_alu 0xfffd
	v_add_co_ci_u32_e64 v11, null, s17, v5, vcc_lo
	v_dual_mul_f32 v34, s26, v33 :: v_dual_mul_f32 v35, s26, v32
	s_delay_alu instid0(VALU_DEP_3) | instskip(SKIP_1) | instid1(VALU_DEP_3)
	v_add_co_u32 v8, vcc_lo, v10, v6
	s_wait_alu 0xfffd
	v_add_co_ci_u32_e64 v9, null, v11, v7, vcc_lo
	v_add_co_u32 v10, vcc_lo, v10, s14
	v_dual_mul_f32 v36, s26, v31 :: v_dual_mul_f32 v37, s26, v30
	s_wait_alu 0xfffd
	v_add_co_ci_u32_e64 v11, null, s15, v11, vcc_lo
	s_clause 0x3
	global_store_b32 v[8:9], v34, off
	global_store_b32 v[8:9], v35, off offset:64
	global_store_b32 v[8:9], v36, off offset:128
	;; [unrolled: 1-line block ×3, first 2 shown]
	v_add_co_u32 v8, vcc_lo, v10, v6
	s_wait_alu 0xfffd
	v_add_co_ci_u32_e64 v9, null, v11, v7, vcc_lo
	v_add_co_u32 v38, vcc_lo, v10, s14
	s_wait_alu 0xfffd
	v_add_co_ci_u32_e64 v39, null, s15, v11, vcc_lo
	v_dual_mul_f32 v34, s26, v29 :: v_dual_mul_f32 v35, s26, v28
	v_dual_mul_f32 v36, s26, v27 :: v_dual_mul_f32 v37, s26, v26
	v_add_co_u32 v10, vcc_lo, v38, v6
	v_dual_mul_f32 v40, s26, v25 :: v_dual_mul_f32 v41, s26, v24
	s_wait_alu 0xfffd
	v_add_co_ci_u32_e64 v11, null, v39, v7, vcc_lo
	v_dual_mul_f32 v42, s26, v23 :: v_dual_mul_f32 v43, s26, v22
	s_clause 0x7
	global_store_b32 v[8:9], v34, off
	global_store_b32 v[8:9], v35, off offset:64
	global_store_b32 v[8:9], v36, off offset:128
	;; [unrolled: 1-line block ×3, first 2 shown]
	global_store_b32 v[10:11], v40, off
	global_store_b32 v[10:11], v41, off offset:64
	global_store_b32 v[10:11], v42, off offset:128
	;; [unrolled: 1-line block ×3, first 2 shown]
	v_add_co_u32 v8, vcc_lo, v38, s14
	s_wait_alu 0xfffd
	v_add_co_ci_u32_e64 v9, null, s15, v39, vcc_lo
	v_dual_mul_f32 v10, s26, v21 :: v_dual_mul_f32 v11, s26, v20
	s_delay_alu instid0(VALU_DEP_3) | instskip(SKIP_1) | instid1(VALU_DEP_3)
	v_add_co_u32 v8, vcc_lo, v8, v6
	s_wait_alu 0xfffd
	v_add_co_ci_u32_e64 v9, null, v9, v7, vcc_lo
	v_dual_mul_f32 v34, s26, v19 :: v_dual_mul_f32 v35, s26, v18
	s_clause 0x3
	global_store_b32 v[8:9], v10, off
	global_store_b32 v[8:9], v11, off offset:64
	global_store_b32 v[8:9], v34, off offset:128
	;; [unrolled: 1-line block ×3, first 2 shown]
	s_cbranch_execnz .LBB39_2
	s_branch .LBB39_9
.LBB39_8:                               ;   in Loop: Header=BB39_3 Depth=1
.LBB39_9:                               ;   in Loop: Header=BB39_3 Depth=1
	s_mul_u64 s[20:21], s[4:5], s[28:29]
	s_wait_alu 0xfffe
	s_lshl_b64 s[20:21], s[20:21], 2
	s_wait_alu 0xfffe
	v_add_co_u32 v34, vcc_lo, v16, s20
	s_wait_alu 0xfffd
	v_add_co_ci_u32_e64 v35, null, s21, v17, vcc_lo
	s_delay_alu instid0(VALU_DEP_2) | instskip(SKIP_1) | instid1(VALU_DEP_2)
	v_add_co_u32 v8, vcc_lo, v34, v6
	s_wait_alu 0xfffd
	v_add_co_ci_u32_e64 v9, null, v35, v7, vcc_lo
	v_add_co_u32 v36, vcc_lo, s16, v4
	s_wait_alu 0xfffd
	v_add_co_ci_u32_e64 v37, null, s17, v5, vcc_lo
	global_load_b32 v10, v[8:9], off
	s_wait_loadcnt 0x0
	v_mul_f32_e32 v38, s30, v10
	v_add_co_u32 v10, vcc_lo, v36, v6
	s_wait_alu 0xfffd
	v_add_co_ci_u32_e64 v11, null, v37, v7, vcc_lo
	s_delay_alu instid0(VALU_DEP_3) | instskip(SKIP_4) | instid1(VALU_DEP_1)
	v_fmac_f32_e32 v38, s26, v33
	global_store_b32 v[10:11], v38, off
	global_load_b32 v33, v[8:9], off offset:64
	s_wait_loadcnt 0x0
	v_mul_f32_e32 v33, s30, v33
	v_fmac_f32_e32 v33, s26, v32
	global_store_b32 v[10:11], v33, off offset:64
	global_load_b32 v32, v[8:9], off offset:128
	s_wait_loadcnt 0x0
	v_mul_f32_e32 v32, s30, v32
	s_delay_alu instid0(VALU_DEP_1)
	v_fmac_f32_e32 v32, s26, v31
	global_store_b32 v[10:11], v32, off offset:128
	global_load_b32 v8, v[8:9], off offset:192
	v_add_co_u32 v32, vcc_lo, v34, s12
	s_wait_alu 0xfffd
	v_add_co_ci_u32_e64 v33, null, s13, v35, vcc_lo
	s_wait_loadcnt 0x0
	v_mul_f32_e32 v31, s30, v8
	v_add_co_u32 v8, vcc_lo, v32, v6
	s_wait_alu 0xfffd
	v_add_co_ci_u32_e64 v9, null, v33, v7, vcc_lo
	s_delay_alu instid0(VALU_DEP_3)
	v_fmac_f32_e32 v31, s26, v30
	v_add_co_u32 v30, vcc_lo, v36, s14
	global_store_b32 v[10:11], v31, off offset:192
	global_load_b32 v10, v[8:9], off
	s_wait_alu 0xfffd
	v_add_co_ci_u32_e64 v31, null, s15, v37, vcc_lo
	s_wait_loadcnt 0x0
	v_mul_f32_e32 v34, s30, v10
	v_add_co_u32 v10, vcc_lo, v30, v6
	s_wait_alu 0xfffd
	v_add_co_ci_u32_e64 v11, null, v31, v7, vcc_lo
	s_delay_alu instid0(VALU_DEP_3) | instskip(SKIP_4) | instid1(VALU_DEP_1)
	v_fmac_f32_e32 v34, s26, v29
	global_store_b32 v[10:11], v34, off
	global_load_b32 v29, v[8:9], off offset:64
	s_wait_loadcnt 0x0
	v_mul_f32_e32 v29, s30, v29
	v_fmac_f32_e32 v29, s26, v28
	global_store_b32 v[10:11], v29, off offset:64
	global_load_b32 v28, v[8:9], off offset:128
	s_wait_loadcnt 0x0
	v_mul_f32_e32 v28, s30, v28
	s_delay_alu instid0(VALU_DEP_1)
	v_fmac_f32_e32 v28, s26, v27
	global_store_b32 v[10:11], v28, off offset:128
	global_load_b32 v8, v[8:9], off offset:192
	v_add_co_u32 v28, vcc_lo, v32, s12
	s_wait_alu 0xfffd
	v_add_co_ci_u32_e64 v29, null, s13, v33, vcc_lo
	s_wait_loadcnt 0x0
	v_mul_f32_e32 v27, s30, v8
	v_add_co_u32 v8, vcc_lo, v28, v6
	s_wait_alu 0xfffd
	v_add_co_ci_u32_e64 v9, null, v29, v7, vcc_lo
	s_delay_alu instid0(VALU_DEP_3)
	v_fmac_f32_e32 v27, s26, v26
	v_add_co_u32 v26, vcc_lo, v30, s14
	global_store_b32 v[10:11], v27, off offset:192
	global_load_b32 v10, v[8:9], off
	s_wait_alu 0xfffd
	v_add_co_ci_u32_e64 v27, null, s15, v31, vcc_lo
	s_wait_loadcnt 0x0
	v_mul_f32_e32 v30, s30, v10
	v_add_co_u32 v10, vcc_lo, v26, v6
	s_wait_alu 0xfffd
	v_add_co_ci_u32_e64 v11, null, v27, v7, vcc_lo
	s_delay_alu instid0(VALU_DEP_3) | instskip(SKIP_4) | instid1(VALU_DEP_1)
	v_fmac_f32_e32 v30, s26, v25
	global_store_b32 v[10:11], v30, off
	global_load_b32 v25, v[8:9], off offset:64
	s_wait_loadcnt 0x0
	v_mul_f32_e32 v25, s30, v25
	v_fmac_f32_e32 v25, s26, v24
	global_store_b32 v[10:11], v25, off offset:64
	global_load_b32 v24, v[8:9], off offset:128
	s_wait_loadcnt 0x0
	v_mul_f32_e32 v24, s30, v24
	s_delay_alu instid0(VALU_DEP_1)
	v_fmac_f32_e32 v24, s26, v23
	global_store_b32 v[10:11], v24, off offset:128
	global_load_b32 v8, v[8:9], off offset:192
	s_wait_loadcnt 0x0
	v_mul_f32_e32 v23, s30, v8
	v_add_co_u32 v8, vcc_lo, v28, s12
	s_wait_alu 0xfffd
	v_add_co_ci_u32_e64 v9, null, s13, v29, vcc_lo
	s_delay_alu instid0(VALU_DEP_3) | instskip(NEXT) | instid1(VALU_DEP_3)
	v_fmac_f32_e32 v23, s26, v22
	v_add_co_u32 v8, vcc_lo, v8, v6
	s_wait_alu 0xfffd
	s_delay_alu instid0(VALU_DEP_3)
	v_add_co_ci_u32_e64 v9, null, v9, v7, vcc_lo
	global_store_b32 v[10:11], v23, off offset:192
	global_load_b32 v10, v[8:9], off
	s_wait_loadcnt 0x0
	v_mul_f32_e32 v22, s30, v10
	v_add_co_u32 v10, vcc_lo, v26, s14
	s_wait_alu 0xfffd
	v_add_co_ci_u32_e64 v11, null, s15, v27, vcc_lo
	s_delay_alu instid0(VALU_DEP_3) | instskip(NEXT) | instid1(VALU_DEP_3)
	v_fmac_f32_e32 v22, s26, v21
	v_add_co_u32 v10, vcc_lo, v10, v6
	s_wait_alu 0xfffd
	s_delay_alu instid0(VALU_DEP_3) | instskip(SKIP_4) | instid1(VALU_DEP_1)
	v_add_co_ci_u32_e64 v11, null, v11, v7, vcc_lo
	global_store_b32 v[10:11], v22, off
	global_load_b32 v21, v[8:9], off offset:64
	s_wait_loadcnt 0x0
	v_mul_f32_e32 v21, s30, v21
	v_fmac_f32_e32 v21, s26, v20
	global_store_b32 v[10:11], v21, off offset:64
	global_load_b32 v20, v[8:9], off offset:128
	s_wait_loadcnt 0x0
	v_mul_f32_e32 v20, s30, v20
	s_delay_alu instid0(VALU_DEP_1) | instskip(SKIP_4) | instid1(VALU_DEP_1)
	v_fmac_f32_e32 v20, s26, v19
	global_store_b32 v[10:11], v20, off offset:128
	global_load_b32 v8, v[8:9], off offset:192
	s_wait_loadcnt 0x0
	v_mul_f32_e32 v8, s30, v8
	v_fmac_f32_e32 v8, s26, v18
	global_store_b32 v[10:11], v8, off offset:192
	s_branch .LBB39_2
.LBB39_10:
	s_endpgm
	.section	.rodata,"a",@progbits
	.p2align	6, 0x0
	.amdhsa_kernel _ZN12_GLOBAL__N_127rocblas_gemm_batched_kernelIfLi16ELi16ELi64ELi64ELi4ELi64ELi4ELi4ELi64ELc84ELc67EKfS1_fEEvlllT_PT11_llS4_llS2_PT12_llPT13_lli
		.amdhsa_group_segment_fixed_size 2048
		.amdhsa_private_segment_fixed_size 0
		.amdhsa_kernarg_size 140
		.amdhsa_user_sgpr_count 2
		.amdhsa_user_sgpr_dispatch_ptr 0
		.amdhsa_user_sgpr_queue_ptr 0
		.amdhsa_user_sgpr_kernarg_segment_ptr 1
		.amdhsa_user_sgpr_dispatch_id 0
		.amdhsa_user_sgpr_private_segment_size 0
		.amdhsa_wavefront_size32 1
		.amdhsa_uses_dynamic_stack 0
		.amdhsa_enable_private_segment 0
		.amdhsa_system_sgpr_workgroup_id_x 1
		.amdhsa_system_sgpr_workgroup_id_y 1
		.amdhsa_system_sgpr_workgroup_id_z 1
		.amdhsa_system_sgpr_workgroup_info 0
		.amdhsa_system_vgpr_workitem_id 1
		.amdhsa_next_free_vgpr 66
		.amdhsa_next_free_sgpr 38
		.amdhsa_reserve_vcc 1
		.amdhsa_float_round_mode_32 0
		.amdhsa_float_round_mode_16_64 0
		.amdhsa_float_denorm_mode_32 3
		.amdhsa_float_denorm_mode_16_64 3
		.amdhsa_fp16_overflow 0
		.amdhsa_workgroup_processor_mode 1
		.amdhsa_memory_ordered 1
		.amdhsa_forward_progress 1
		.amdhsa_inst_pref_size 21
		.amdhsa_round_robin_scheduling 0
		.amdhsa_exception_fp_ieee_invalid_op 0
		.amdhsa_exception_fp_denorm_src 0
		.amdhsa_exception_fp_ieee_div_zero 0
		.amdhsa_exception_fp_ieee_overflow 0
		.amdhsa_exception_fp_ieee_underflow 0
		.amdhsa_exception_fp_ieee_inexact 0
		.amdhsa_exception_int_div_zero 0
	.end_amdhsa_kernel
	.section	.text._ZN12_GLOBAL__N_127rocblas_gemm_batched_kernelIfLi16ELi16ELi64ELi64ELi4ELi64ELi4ELi4ELi64ELc84ELc67EKfS1_fEEvlllT_PT11_llS4_llS2_PT12_llPT13_lli,"axG",@progbits,_ZN12_GLOBAL__N_127rocblas_gemm_batched_kernelIfLi16ELi16ELi64ELi64ELi4ELi64ELi4ELi4ELi64ELc84ELc67EKfS1_fEEvlllT_PT11_llS4_llS2_PT12_llPT13_lli,comdat
.Lfunc_end39:
	.size	_ZN12_GLOBAL__N_127rocblas_gemm_batched_kernelIfLi16ELi16ELi64ELi64ELi4ELi64ELi4ELi4ELi64ELc84ELc67EKfS1_fEEvlllT_PT11_llS4_llS2_PT12_llPT13_lli, .Lfunc_end39-_ZN12_GLOBAL__N_127rocblas_gemm_batched_kernelIfLi16ELi16ELi64ELi64ELi4ELi64ELi4ELi4ELi64ELc84ELc67EKfS1_fEEvlllT_PT11_llS4_llS2_PT12_llPT13_lli
                                        ; -- End function
	.set _ZN12_GLOBAL__N_127rocblas_gemm_batched_kernelIfLi16ELi16ELi64ELi64ELi4ELi64ELi4ELi4ELi64ELc84ELc67EKfS1_fEEvlllT_PT11_llS4_llS2_PT12_llPT13_lli.num_vgpr, 66
	.set _ZN12_GLOBAL__N_127rocblas_gemm_batched_kernelIfLi16ELi16ELi64ELi64ELi4ELi64ELi4ELi4ELi64ELc84ELc67EKfS1_fEEvlllT_PT11_llS4_llS2_PT12_llPT13_lli.num_agpr, 0
	.set _ZN12_GLOBAL__N_127rocblas_gemm_batched_kernelIfLi16ELi16ELi64ELi64ELi4ELi64ELi4ELi4ELi64ELc84ELc67EKfS1_fEEvlllT_PT11_llS4_llS2_PT12_llPT13_lli.numbered_sgpr, 38
	.set _ZN12_GLOBAL__N_127rocblas_gemm_batched_kernelIfLi16ELi16ELi64ELi64ELi4ELi64ELi4ELi4ELi64ELc84ELc67EKfS1_fEEvlllT_PT11_llS4_llS2_PT12_llPT13_lli.num_named_barrier, 0
	.set _ZN12_GLOBAL__N_127rocblas_gemm_batched_kernelIfLi16ELi16ELi64ELi64ELi4ELi64ELi4ELi4ELi64ELc84ELc67EKfS1_fEEvlllT_PT11_llS4_llS2_PT12_llPT13_lli.private_seg_size, 0
	.set _ZN12_GLOBAL__N_127rocblas_gemm_batched_kernelIfLi16ELi16ELi64ELi64ELi4ELi64ELi4ELi4ELi64ELc84ELc67EKfS1_fEEvlllT_PT11_llS4_llS2_PT12_llPT13_lli.uses_vcc, 1
	.set _ZN12_GLOBAL__N_127rocblas_gemm_batched_kernelIfLi16ELi16ELi64ELi64ELi4ELi64ELi4ELi4ELi64ELc84ELc67EKfS1_fEEvlllT_PT11_llS4_llS2_PT12_llPT13_lli.uses_flat_scratch, 0
	.set _ZN12_GLOBAL__N_127rocblas_gemm_batched_kernelIfLi16ELi16ELi64ELi64ELi4ELi64ELi4ELi4ELi64ELc84ELc67EKfS1_fEEvlllT_PT11_llS4_llS2_PT12_llPT13_lli.has_dyn_sized_stack, 0
	.set _ZN12_GLOBAL__N_127rocblas_gemm_batched_kernelIfLi16ELi16ELi64ELi64ELi4ELi64ELi4ELi4ELi64ELc84ELc67EKfS1_fEEvlllT_PT11_llS4_llS2_PT12_llPT13_lli.has_recursion, 0
	.set _ZN12_GLOBAL__N_127rocblas_gemm_batched_kernelIfLi16ELi16ELi64ELi64ELi4ELi64ELi4ELi4ELi64ELc84ELc67EKfS1_fEEvlllT_PT11_llS4_llS2_PT12_llPT13_lli.has_indirect_call, 0
	.section	.AMDGPU.csdata,"",@progbits
; Kernel info:
; codeLenInByte = 2684
; TotalNumSgprs: 40
; NumVgprs: 66
; ScratchSize: 0
; MemoryBound: 0
; FloatMode: 240
; IeeeMode: 1
; LDSByteSize: 2048 bytes/workgroup (compile time only)
; SGPRBlocks: 0
; VGPRBlocks: 8
; NumSGPRsForWavesPerEU: 40
; NumVGPRsForWavesPerEU: 66
; Occupancy: 16
; WaveLimiterHint : 0
; COMPUTE_PGM_RSRC2:SCRATCH_EN: 0
; COMPUTE_PGM_RSRC2:USER_SGPR: 2
; COMPUTE_PGM_RSRC2:TRAP_HANDLER: 0
; COMPUTE_PGM_RSRC2:TGID_X_EN: 1
; COMPUTE_PGM_RSRC2:TGID_Y_EN: 1
; COMPUTE_PGM_RSRC2:TGID_Z_EN: 1
; COMPUTE_PGM_RSRC2:TIDIG_COMP_CNT: 1
	.section	.text._ZN12_GLOBAL__N_127rocblas_gemm_batched_kernelIfLi16ELi16ELi32ELi32ELi8ELi32ELi8ELi8ELi32ELc78ELc78EKfS1_fEEvlllT_PT11_llS4_llS2_PT12_llPT13_lli,"axG",@progbits,_ZN12_GLOBAL__N_127rocblas_gemm_batched_kernelIfLi16ELi16ELi32ELi32ELi8ELi32ELi8ELi8ELi32ELc78ELc78EKfS1_fEEvlllT_PT11_llS4_llS2_PT12_llPT13_lli,comdat
	.globl	_ZN12_GLOBAL__N_127rocblas_gemm_batched_kernelIfLi16ELi16ELi32ELi32ELi8ELi32ELi8ELi8ELi32ELc78ELc78EKfS1_fEEvlllT_PT11_llS4_llS2_PT12_llPT13_lli ; -- Begin function _ZN12_GLOBAL__N_127rocblas_gemm_batched_kernelIfLi16ELi16ELi32ELi32ELi8ELi32ELi8ELi8ELi32ELc78ELc78EKfS1_fEEvlllT_PT11_llS4_llS2_PT12_llPT13_lli
	.p2align	8
	.type	_ZN12_GLOBAL__N_127rocblas_gemm_batched_kernelIfLi16ELi16ELi32ELi32ELi8ELi32ELi8ELi8ELi32ELc78ELc78EKfS1_fEEvlllT_PT11_llS4_llS2_PT12_llPT13_lli,@function
_ZN12_GLOBAL__N_127rocblas_gemm_batched_kernelIfLi16ELi16ELi32ELi32ELi8ELi32ELi8ELi8ELi32ELc78ELc78EKfS1_fEEvlllT_PT11_llS4_llS2_PT12_llPT13_lli: ; @_ZN12_GLOBAL__N_127rocblas_gemm_batched_kernelIfLi16ELi16ELi32ELi32ELi8ELi32ELi8ELi8ELi32ELc78ELc78EKfS1_fEEvlllT_PT11_llS4_llS2_PT12_llPT13_lli
; %bb.0:
	s_load_b32 s31, s[0:1], 0x88
	s_lshr_b32 s2, ttmp7, 16
	s_wait_kmcnt 0x0
	s_cmp_ge_i32 s2, s31
	s_cbranch_scc1 .LBB40_10
; %bb.1:
	v_and_b32_e32 v16, 0x3ff, v0
	v_bfe_u32 v8, v0, 10, 10
	s_clause 0x5
	s_load_b256 s[4:11], s[0:1], 0x58
	s_load_b96 s[28:30], s[0:1], 0x10
	s_load_b256 s[12:19], s[0:1], 0x20
	s_load_b128 s[20:23], s[0:1], 0x78
	s_load_b128 s[24:27], s[0:1], 0x40
	s_load_b32 s1, s[0:1], 0x50
	v_lshlrev_b32_e32 v0, 2, v0
	s_lshl_b32 s0, ttmp7, 5
	v_lshl_add_u32 v1, v8, 4, v16
	s_and_b32 s0, s0, 0x1fffe0
	s_mov_b32 s34, ttmp9
	v_and_b32_e32 v21, 28, v0
	v_add_nc_u32_e32 v9, s0, v8
	v_and_b32_e32 v20, 31, v1
	v_lshrrev_b32_e32 v2, 3, v1
	v_lshrrev_b32_e32 v17, 5, v1
	s_ashr_i32 s35, ttmp9, 31
	v_lshl_add_u32 v15, v8, 5, 0x400
	v_lshlrev_b32_e32 v3, 2, v20
	v_lshl_or_b32 v4, v2, 5, v21
	v_add_nc_u32_e32 v10, s0, v2
	s_lshl_b64 s[34:35], s[34:35], 5
	s_wait_kmcnt 0x0
	v_mad_co_u64_u32 v[0:1], null, v9, s6, 0
	v_lshl_or_b32 v12, v17, 7, v3
	v_add_nc_u32_e32 v13, 0x400, v4
	v_mad_co_u64_u32 v[4:5], null, v9, s20, 0
	v_mad_co_u64_u32 v[2:3], null, s24, v10, 0
	s_cmp_eq_f32 s1, 0
	s_mov_b32 s3, 0
	s_cselect_b32 s24, -1, 0
	v_mad_co_u64_u32 v[6:7], null, v9, s7, v[1:2]
	v_mov_b32_e32 v1, v5
	v_mad_co_u64_u32 v[10:11], null, s25, v10, v[3:4]
	v_lshlrev_b32_e32 v14, 2, v16
	v_add_co_u32 v18, s0, s34, v16
	s_delay_alu instid0(VALU_DEP_4)
	v_mad_co_u64_u32 v[7:8], null, v9, s21, v[1:2]
	v_mad_co_u64_u32 v[8:9], null, s14, v17, s[34:35]
	v_mov_b32_e32 v1, v6
	v_mov_b32_e32 v3, v10
	s_wait_alu 0xf1ff
	v_add_co_ci_u32_e64 v19, null, s35, 0, s0
	v_mov_b32_e32 v5, v7
	v_lshlrev_b64_e32 v[0:1], 2, v[0:1]
	v_mov_b32_e32 v6, v9
	v_cmp_gt_i64_e64 s0, s[28:29], 0
	s_lshl_b64 s[20:21], s[20:21], 4
	v_lshlrev_b64_e32 v[4:5], 2, v[4:5]
	s_lshl_b64 s[34:35], s[6:7], 4
	v_mad_co_u64_u32 v[6:7], null, s15, v17, v[6:7]
	v_add_co_u32 v16, vcc_lo, s4, v0
	s_delay_alu instid0(VALU_DEP_1)
	v_add_co_ci_u32_e64 v17, null, s5, v1, vcc_lo
	v_lshlrev_b64_e32 v[0:1], 2, v[2:3]
	v_add_co_u32 v2, vcc_lo, v8, v20
	s_wait_alu 0xfffd
	v_add_co_ci_u32_e64 v3, null, 0, v6, vcc_lo
	v_cndmask_b32_e64 v8, 0, 1, s0
	s_delay_alu instid0(VALU_DEP_4) | instskip(NEXT) | instid1(VALU_DEP_3)
	v_add_co_u32 v0, vcc_lo, v0, v21
	v_lshlrev_b64_e32 v[2:3], 2, v[2:3]
	s_wait_alu 0xfffd
	v_add_co_ci_u32_e64 v1, null, 0, v1, vcc_lo
	s_delay_alu instid0(VALU_DEP_3) | instskip(SKIP_2) | instid1(VALU_DEP_3)
	v_add_co_u32 v0, vcc_lo, s18, v0
	v_lshlrev_b64_e32 v[6:7], 2, v[18:19]
	s_wait_alu 0xfffd
	v_add_co_ci_u32_e64 v1, null, s19, v1, vcc_lo
	v_add_co_u32 v2, vcc_lo, s12, v2
	s_wait_alu 0xfffd
	v_add_co_ci_u32_e64 v3, null, s13, v3, vcc_lo
	v_cmp_ne_u32_e64 s0, 1, v8
	s_lshl_b64 s[4:5], s[26:27], 2
	s_lshl_b64 s[6:7], s[16:17], 2
	;; [unrolled: 1-line block ×3, first 2 shown]
	s_wait_alu 0xfffe
	s_lshl_b64 s[14:15], s[34:35], 2
	s_lshl_b64 s[16:17], s[20:21], 2
	s_branch .LBB40_3
.LBB40_2:                               ;   in Loop: Header=BB40_3 Depth=1
	s_add_co_i32 s2, s2, 0x10000
	s_wait_alu 0xfffe
	s_cmp_lt_i32 s2, s31
	s_cbranch_scc0 .LBB40_10
.LBB40_3:                               ; =>This Loop Header: Depth=1
                                        ;     Child Loop BB40_5 Depth 2
	v_dual_mov_b32 v21, 0 :: v_dual_mov_b32 v20, 0
	v_dual_mov_b32 v19, 0 :: v_dual_mov_b32 v18, 0
	s_and_b32 vcc_lo, exec_lo, s0
	s_wait_alu 0xfffe
	s_cbranch_vccnz .LBB40_6
; %bb.4:                                ;   in Loop: Header=BB40_3 Depth=1
	v_mad_co_u64_u32 v[8:9], null, s4, s2, v[0:1]
	v_mad_co_u64_u32 v[10:11], null, s6, s2, v[2:3]
	v_dual_mov_b32 v18, 0 :: v_dual_mov_b32 v19, 0
	s_mov_b64 s[18:19], 0
	s_delay_alu instid0(VALU_DEP_2) | instskip(NEXT) | instid1(VALU_DEP_3)
	v_mad_co_u64_u32 v[21:22], null, s5, s2, v[9:10]
	v_mad_co_u64_u32 v[22:23], null, s7, s2, v[11:12]
	s_delay_alu instid0(VALU_DEP_2) | instskip(SKIP_1) | instid1(VALU_DEP_3)
	v_dual_mov_b32 v20, 0 :: v_dual_mov_b32 v9, v21
	v_mov_b32_e32 v21, 0
	v_mov_b32_e32 v11, v22
.LBB40_5:                               ;   Parent Loop BB40_3 Depth=1
                                        ; =>  This Inner Loop Header: Depth=2
	global_load_b32 v22, v[10:11], off
	global_load_b32 v23, v[8:9], off
	s_wait_alu 0xfffe
	s_add_nc_u64 s[18:19], s[18:19], 8
	v_add_co_u32 v8, vcc_lo, v8, 32
	s_wait_alu 0xfffe
	v_cmp_lt_i64_e64 s20, s[18:19], s[28:29]
	s_wait_alu 0xfffd
	v_add_co_ci_u32_e64 v9, null, 0, v9, vcc_lo
	v_add_co_u32 v10, vcc_lo, v10, s12
	s_wait_alu 0xfffd
	v_add_co_ci_u32_e64 v11, null, s13, v11, vcc_lo
	s_and_b32 vcc_lo, exec_lo, s20
	s_wait_loadcnt 0x1
	ds_store_b32 v12, v22
	s_wait_loadcnt 0x0
	ds_store_b32 v13, v23
	s_wait_dscnt 0x0
	s_barrier_signal -1
	s_barrier_wait -1
	global_inv scope:SCOPE_SE
	ds_load_b128 v[22:25], v15
	ds_load_2addr_b32 v[38:39], v14 offset1:16
	ds_load_b128 v[26:29], v15 offset:512
	ds_load_2addr_b32 v[40:41], v14 offset0:32 offset1:48
	ds_load_2addr_b32 v[42:43], v14 offset0:64 offset1:80
	;; [unrolled: 1-line block ×3, first 2 shown]
	ds_load_b128 v[30:33], v15 offset:16
	ds_load_2addr_b32 v[46:47], v14 offset0:128 offset1:144
	ds_load_b128 v[34:37], v15 offset:528
	s_wait_dscnt 0x7
	v_fmac_f32_e32 v20, v39, v22
	v_fmac_f32_e32 v21, v38, v22
	s_wait_dscnt 0x6
	v_fmac_f32_e32 v18, v39, v26
	v_fmac_f32_e32 v19, v38, v26
	ds_load_2addr_b32 v[38:39], v14 offset0:160 offset1:176
	s_wait_dscnt 0x6
	v_fmac_f32_e32 v20, v41, v23
	v_fmac_f32_e32 v21, v40, v23
	v_fmac_f32_e32 v18, v41, v27
	v_fmac_f32_e32 v19, v40, v27
	ds_load_2addr_b32 v[22:23], v14 offset0:192 offset1:208
	s_wait_dscnt 0x6
	v_fmac_f32_e32 v20, v43, v24
	v_fmac_f32_e32 v21, v42, v24
	;; [unrolled: 6-line block ×3, first 2 shown]
	v_fmac_f32_e32 v18, v45, v29
	v_fmac_f32_e32 v19, v44, v29
	s_wait_loadcnt_dscnt 0x0
	v_fmac_f32_e32 v20, v47, v30
	v_fmac_f32_e32 v21, v46, v30
	;; [unrolled: 1-line block ×4, first 2 shown]
	s_barrier_signal -1
	v_fmac_f32_e32 v20, v39, v31
	v_fmac_f32_e32 v21, v38, v31
	;; [unrolled: 1-line block ×4, first 2 shown]
	s_barrier_wait -1
	v_fmac_f32_e32 v20, v23, v32
	v_fmac_f32_e32 v21, v22, v32
	v_fmac_f32_e32 v18, v23, v36
	v_fmac_f32_e32 v19, v22, v36
	global_inv scope:SCOPE_SE
	v_fmac_f32_e32 v20, v27, v33
	v_fmac_f32_e32 v21, v26, v33
	;; [unrolled: 1-line block ×4, first 2 shown]
	s_wait_alu 0xfffe
	s_cbranch_vccnz .LBB40_5
.LBB40_6:                               ;   in Loop: Header=BB40_3 Depth=1
	s_mul_u64 s[18:19], s[22:23], s[2:3]
	s_and_not1_b32 vcc_lo, exec_lo, s24
	s_wait_alu 0xfffe
	s_lshl_b64 s[18:19], s[18:19], 2
	s_wait_alu 0xfffe
	s_add_nc_u64 s[18:19], s[10:11], s[18:19]
	s_cbranch_vccnz .LBB40_8
; %bb.7:                                ;   in Loop: Header=BB40_3 Depth=1
	s_wait_alu 0xfffe
	v_add_co_u32 v10, vcc_lo, s18, v4
	s_wait_alu 0xfffd
	v_add_co_ci_u32_e64 v11, null, s19, v5, vcc_lo
	v_dual_mul_f32 v22, s30, v21 :: v_dual_mul_f32 v23, s30, v20
	s_delay_alu instid0(VALU_DEP_3) | instskip(SKIP_1) | instid1(VALU_DEP_3)
	v_add_co_u32 v8, vcc_lo, v10, v6
	s_wait_alu 0xfffd
	v_add_co_ci_u32_e64 v9, null, v11, v7, vcc_lo
	v_add_co_u32 v10, vcc_lo, v10, s16
	s_wait_alu 0xfffd
	v_add_co_ci_u32_e64 v11, null, s17, v11, vcc_lo
	v_dual_mul_f32 v24, s30, v19 :: v_dual_mul_f32 v25, s30, v18
	s_delay_alu instid0(VALU_DEP_3) | instskip(SKIP_1) | instid1(VALU_DEP_3)
	v_add_co_u32 v10, vcc_lo, v10, v6
	s_wait_alu 0xfffd
	v_add_co_ci_u32_e64 v11, null, v11, v7, vcc_lo
	s_clause 0x3
	global_store_b32 v[8:9], v22, off
	global_store_b32 v[8:9], v23, off offset:64
	global_store_b32 v[10:11], v24, off
	global_store_b32 v[10:11], v25, off offset:64
	s_cbranch_execnz .LBB40_2
	s_branch .LBB40_9
.LBB40_8:                               ;   in Loop: Header=BB40_3 Depth=1
.LBB40_9:                               ;   in Loop: Header=BB40_3 Depth=1
	s_mul_u64 s[20:21], s[8:9], s[2:3]
	s_wait_alu 0xfffe
	s_lshl_b64 s[20:21], s[20:21], 2
	s_wait_alu 0xfffe
	v_add_co_u32 v22, vcc_lo, v16, s20
	s_wait_alu 0xfffd
	v_add_co_ci_u32_e64 v23, null, s21, v17, vcc_lo
	s_delay_alu instid0(VALU_DEP_2) | instskip(SKIP_1) | instid1(VALU_DEP_2)
	v_add_co_u32 v8, vcc_lo, v22, v6
	s_wait_alu 0xfffd
	v_add_co_ci_u32_e64 v9, null, v23, v7, vcc_lo
	v_add_co_u32 v24, vcc_lo, s18, v4
	s_wait_alu 0xfffd
	v_add_co_ci_u32_e64 v25, null, s19, v5, vcc_lo
	global_load_b32 v10, v[8:9], off
	s_wait_loadcnt 0x0
	v_mul_f32_e32 v26, s1, v10
	v_add_co_u32 v10, vcc_lo, v24, v6
	s_wait_alu 0xfffd
	v_add_co_ci_u32_e64 v11, null, v25, v7, vcc_lo
	s_delay_alu instid0(VALU_DEP_3)
	v_fmac_f32_e32 v26, s30, v21
	global_store_b32 v[10:11], v26, off
	global_load_b32 v8, v[8:9], off offset:64
	s_wait_loadcnt 0x0
	v_mul_f32_e32 v21, s1, v8
	v_add_co_u32 v8, vcc_lo, v22, s14
	s_wait_alu 0xfffd
	v_add_co_ci_u32_e64 v9, null, s15, v23, vcc_lo
	s_delay_alu instid0(VALU_DEP_3) | instskip(NEXT) | instid1(VALU_DEP_3)
	v_fmac_f32_e32 v21, s30, v20
	v_add_co_u32 v8, vcc_lo, v8, v6
	s_wait_alu 0xfffd
	s_delay_alu instid0(VALU_DEP_3)
	v_add_co_ci_u32_e64 v9, null, v9, v7, vcc_lo
	global_store_b32 v[10:11], v21, off offset:64
	global_load_b32 v10, v[8:9], off
	s_wait_loadcnt 0x0
	v_mul_f32_e32 v20, s1, v10
	v_add_co_u32 v10, vcc_lo, v24, s16
	s_wait_alu 0xfffd
	v_add_co_ci_u32_e64 v11, null, s17, v25, vcc_lo
	s_delay_alu instid0(VALU_DEP_3) | instskip(NEXT) | instid1(VALU_DEP_3)
	v_fmac_f32_e32 v20, s30, v19
	v_add_co_u32 v10, vcc_lo, v10, v6
	s_wait_alu 0xfffd
	s_delay_alu instid0(VALU_DEP_3) | instskip(SKIP_4) | instid1(VALU_DEP_1)
	v_add_co_ci_u32_e64 v11, null, v11, v7, vcc_lo
	global_store_b32 v[10:11], v20, off
	global_load_b32 v8, v[8:9], off offset:64
	s_wait_loadcnt 0x0
	v_mul_f32_e32 v8, s1, v8
	v_fmac_f32_e32 v8, s30, v18
	global_store_b32 v[10:11], v8, off offset:64
	s_branch .LBB40_2
.LBB40_10:
	s_endpgm
	.section	.rodata,"a",@progbits
	.p2align	6, 0x0
	.amdhsa_kernel _ZN12_GLOBAL__N_127rocblas_gemm_batched_kernelIfLi16ELi16ELi32ELi32ELi8ELi32ELi8ELi8ELi32ELc78ELc78EKfS1_fEEvlllT_PT11_llS4_llS2_PT12_llPT13_lli
		.amdhsa_group_segment_fixed_size 2048
		.amdhsa_private_segment_fixed_size 0
		.amdhsa_kernarg_size 140
		.amdhsa_user_sgpr_count 2
		.amdhsa_user_sgpr_dispatch_ptr 0
		.amdhsa_user_sgpr_queue_ptr 0
		.amdhsa_user_sgpr_kernarg_segment_ptr 1
		.amdhsa_user_sgpr_dispatch_id 0
		.amdhsa_user_sgpr_private_segment_size 0
		.amdhsa_wavefront_size32 1
		.amdhsa_uses_dynamic_stack 0
		.amdhsa_enable_private_segment 0
		.amdhsa_system_sgpr_workgroup_id_x 1
		.amdhsa_system_sgpr_workgroup_id_y 1
		.amdhsa_system_sgpr_workgroup_id_z 1
		.amdhsa_system_sgpr_workgroup_info 0
		.amdhsa_system_vgpr_workitem_id 1
		.amdhsa_next_free_vgpr 48
		.amdhsa_next_free_sgpr 36
		.amdhsa_reserve_vcc 1
		.amdhsa_float_round_mode_32 0
		.amdhsa_float_round_mode_16_64 0
		.amdhsa_float_denorm_mode_32 3
		.amdhsa_float_denorm_mode_16_64 3
		.amdhsa_fp16_overflow 0
		.amdhsa_workgroup_processor_mode 1
		.amdhsa_memory_ordered 1
		.amdhsa_forward_progress 1
		.amdhsa_inst_pref_size 13
		.amdhsa_round_robin_scheduling 0
		.amdhsa_exception_fp_ieee_invalid_op 0
		.amdhsa_exception_fp_denorm_src 0
		.amdhsa_exception_fp_ieee_div_zero 0
		.amdhsa_exception_fp_ieee_overflow 0
		.amdhsa_exception_fp_ieee_underflow 0
		.amdhsa_exception_fp_ieee_inexact 0
		.amdhsa_exception_int_div_zero 0
	.end_amdhsa_kernel
	.section	.text._ZN12_GLOBAL__N_127rocblas_gemm_batched_kernelIfLi16ELi16ELi32ELi32ELi8ELi32ELi8ELi8ELi32ELc78ELc78EKfS1_fEEvlllT_PT11_llS4_llS2_PT12_llPT13_lli,"axG",@progbits,_ZN12_GLOBAL__N_127rocblas_gemm_batched_kernelIfLi16ELi16ELi32ELi32ELi8ELi32ELi8ELi8ELi32ELc78ELc78EKfS1_fEEvlllT_PT11_llS4_llS2_PT12_llPT13_lli,comdat
.Lfunc_end40:
	.size	_ZN12_GLOBAL__N_127rocblas_gemm_batched_kernelIfLi16ELi16ELi32ELi32ELi8ELi32ELi8ELi8ELi32ELc78ELc78EKfS1_fEEvlllT_PT11_llS4_llS2_PT12_llPT13_lli, .Lfunc_end40-_ZN12_GLOBAL__N_127rocblas_gemm_batched_kernelIfLi16ELi16ELi32ELi32ELi8ELi32ELi8ELi8ELi32ELc78ELc78EKfS1_fEEvlllT_PT11_llS4_llS2_PT12_llPT13_lli
                                        ; -- End function
	.set _ZN12_GLOBAL__N_127rocblas_gemm_batched_kernelIfLi16ELi16ELi32ELi32ELi8ELi32ELi8ELi8ELi32ELc78ELc78EKfS1_fEEvlllT_PT11_llS4_llS2_PT12_llPT13_lli.num_vgpr, 48
	.set _ZN12_GLOBAL__N_127rocblas_gemm_batched_kernelIfLi16ELi16ELi32ELi32ELi8ELi32ELi8ELi8ELi32ELc78ELc78EKfS1_fEEvlllT_PT11_llS4_llS2_PT12_llPT13_lli.num_agpr, 0
	.set _ZN12_GLOBAL__N_127rocblas_gemm_batched_kernelIfLi16ELi16ELi32ELi32ELi8ELi32ELi8ELi8ELi32ELc78ELc78EKfS1_fEEvlllT_PT11_llS4_llS2_PT12_llPT13_lli.numbered_sgpr, 36
	.set _ZN12_GLOBAL__N_127rocblas_gemm_batched_kernelIfLi16ELi16ELi32ELi32ELi8ELi32ELi8ELi8ELi32ELc78ELc78EKfS1_fEEvlllT_PT11_llS4_llS2_PT12_llPT13_lli.num_named_barrier, 0
	.set _ZN12_GLOBAL__N_127rocblas_gemm_batched_kernelIfLi16ELi16ELi32ELi32ELi8ELi32ELi8ELi8ELi32ELc78ELc78EKfS1_fEEvlllT_PT11_llS4_llS2_PT12_llPT13_lli.private_seg_size, 0
	.set _ZN12_GLOBAL__N_127rocblas_gemm_batched_kernelIfLi16ELi16ELi32ELi32ELi8ELi32ELi8ELi8ELi32ELc78ELc78EKfS1_fEEvlllT_PT11_llS4_llS2_PT12_llPT13_lli.uses_vcc, 1
	.set _ZN12_GLOBAL__N_127rocblas_gemm_batched_kernelIfLi16ELi16ELi32ELi32ELi8ELi32ELi8ELi8ELi32ELc78ELc78EKfS1_fEEvlllT_PT11_llS4_llS2_PT12_llPT13_lli.uses_flat_scratch, 0
	.set _ZN12_GLOBAL__N_127rocblas_gemm_batched_kernelIfLi16ELi16ELi32ELi32ELi8ELi32ELi8ELi8ELi32ELc78ELc78EKfS1_fEEvlllT_PT11_llS4_llS2_PT12_llPT13_lli.has_dyn_sized_stack, 0
	.set _ZN12_GLOBAL__N_127rocblas_gemm_batched_kernelIfLi16ELi16ELi32ELi32ELi8ELi32ELi8ELi8ELi32ELc78ELc78EKfS1_fEEvlllT_PT11_llS4_llS2_PT12_llPT13_lli.has_recursion, 0
	.set _ZN12_GLOBAL__N_127rocblas_gemm_batched_kernelIfLi16ELi16ELi32ELi32ELi8ELi32ELi8ELi8ELi32ELc78ELc78EKfS1_fEEvlllT_PT11_llS4_llS2_PT12_llPT13_lli.has_indirect_call, 0
	.section	.AMDGPU.csdata,"",@progbits
; Kernel info:
; codeLenInByte = 1584
; TotalNumSgprs: 38
; NumVgprs: 48
; ScratchSize: 0
; MemoryBound: 0
; FloatMode: 240
; IeeeMode: 1
; LDSByteSize: 2048 bytes/workgroup (compile time only)
; SGPRBlocks: 0
; VGPRBlocks: 5
; NumSGPRsForWavesPerEU: 38
; NumVGPRsForWavesPerEU: 48
; Occupancy: 16
; WaveLimiterHint : 0
; COMPUTE_PGM_RSRC2:SCRATCH_EN: 0
; COMPUTE_PGM_RSRC2:USER_SGPR: 2
; COMPUTE_PGM_RSRC2:TRAP_HANDLER: 0
; COMPUTE_PGM_RSRC2:TGID_X_EN: 1
; COMPUTE_PGM_RSRC2:TGID_Y_EN: 1
; COMPUTE_PGM_RSRC2:TGID_Z_EN: 1
; COMPUTE_PGM_RSRC2:TIDIG_COMP_CNT: 1
	.section	.text._ZN12_GLOBAL__N_127rocblas_gemm_batched_kernelIfLi16ELi16ELi32ELi32ELi8ELi32ELi8ELi8ELi32ELc84ELc78EKfS1_fEEvlllT_PT11_llS4_llS2_PT12_llPT13_lli,"axG",@progbits,_ZN12_GLOBAL__N_127rocblas_gemm_batched_kernelIfLi16ELi16ELi32ELi32ELi8ELi32ELi8ELi8ELi32ELc84ELc78EKfS1_fEEvlllT_PT11_llS4_llS2_PT12_llPT13_lli,comdat
	.globl	_ZN12_GLOBAL__N_127rocblas_gemm_batched_kernelIfLi16ELi16ELi32ELi32ELi8ELi32ELi8ELi8ELi32ELc84ELc78EKfS1_fEEvlllT_PT11_llS4_llS2_PT12_llPT13_lli ; -- Begin function _ZN12_GLOBAL__N_127rocblas_gemm_batched_kernelIfLi16ELi16ELi32ELi32ELi8ELi32ELi8ELi8ELi32ELc84ELc78EKfS1_fEEvlllT_PT11_llS4_llS2_PT12_llPT13_lli
	.p2align	8
	.type	_ZN12_GLOBAL__N_127rocblas_gemm_batched_kernelIfLi16ELi16ELi32ELi32ELi8ELi32ELi8ELi8ELi32ELc84ELc78EKfS1_fEEvlllT_PT11_llS4_llS2_PT12_llPT13_lli,@function
_ZN12_GLOBAL__N_127rocblas_gemm_batched_kernelIfLi16ELi16ELi32ELi32ELi8ELi32ELi8ELi8ELi32ELc84ELc78EKfS1_fEEvlllT_PT11_llS4_llS2_PT12_llPT13_lli: ; @_ZN12_GLOBAL__N_127rocblas_gemm_batched_kernelIfLi16ELi16ELi32ELi32ELi8ELi32ELi8ELi8ELi32ELc84ELc78EKfS1_fEEvlllT_PT11_llS4_llS2_PT12_llPT13_lli
; %bb.0:
	s_load_b32 s27, s[0:1], 0x88
	s_lshr_b32 s28, ttmp7, 16
	s_wait_kmcnt 0x0
	s_cmp_ge_i32 s28, s27
	s_cbranch_scc1 .LBB41_10
; %bb.1:
	v_and_b32_e32 v10, 0x3ff, v0
	v_bfe_u32 v8, v0, 10, 10
	s_clause 0x5
	s_load_b256 s[4:11], s[0:1], 0x58
	s_load_b96 s[24:26], s[0:1], 0x10
	s_load_b256 s[12:19], s[0:1], 0x20
	s_load_b128 s[20:23], s[0:1], 0x40
	s_load_b32 s30, s[0:1], 0x50
	s_load_b128 s[0:3], s[0:1], 0x78
	v_lshlrev_b32_e32 v0, 2, v0
	s_lshl_b32 s29, ttmp7, 5
	v_lshl_add_u32 v1, v8, 4, v10
	s_and_b32 s29, s29, 0x1fffe0
	s_mov_b32 s34, ttmp9
	v_and_b32_e32 v18, 28, v0
	v_add_nc_u32_e32 v9, s29, v8
	v_and_b32_e32 v11, 31, v1
	v_lshrrev_b32_e32 v2, 3, v1
	v_lshrrev_b32_e32 v19, 5, v1
	s_ashr_i32 s35, ttmp9, 31
	v_lshl_add_u32 v15, v8, 5, 0x400
	v_lshlrev_b32_e32 v3, 2, v11
	v_lshl_or_b32 v4, v2, 5, v18
	v_add_nc_u32_e32 v16, s29, v2
	s_lshl_b64 s[34:35], s[34:35], 5
	s_wait_kmcnt 0x0
	v_mad_co_u64_u32 v[0:1], null, v9, s6, 0
	v_lshl_or_b32 v12, v19, 7, v3
	v_add_nc_u32_e32 v13, 0x400, v4
	v_mad_co_u64_u32 v[4:5], null, v9, s0, 0
	v_mad_co_u64_u32 v[2:3], null, s20, v16, 0
	s_cmp_eq_f32 s30, 0
	s_mov_b32 s29, 0
	s_cselect_b32 s20, -1, 0
	s_lshl_b64 s[36:37], s[0:1], 4
	v_mad_co_u64_u32 v[6:7], null, v9, s7, v[1:2]
	v_mov_b32_e32 v1, v5
	s_mul_i32 s0, s14, s35
	v_lshlrev_b32_e32 v14, 2, v10
	s_lshl_b64 s[38:39], s[6:7], 4
	s_lshl_b64 s[6:7], s[16:17], 2
	v_mad_co_u64_u32 v[7:8], null, v9, s1, v[1:2]
	v_mad_co_u64_u32 v[8:9], null, s21, v16, v[3:4]
	v_mov_b32_e32 v1, v6
	v_or_b32_e32 v6, s34, v11
	v_add_co_u32 v9, s21, s34, v10
	v_mov_b32_e32 v5, v7
	s_delay_alu instid0(VALU_DEP_4)
	v_lshlrev_b64_e32 v[0:1], 2, v[0:1]
	v_mov_b32_e32 v3, v8
	v_mul_lo_u32 v8, s15, v6
	v_mad_co_u64_u32 v[6:7], null, s14, v6, 0
	s_wait_alu 0xf1ff
	v_add_co_ci_u32_e64 v10, null, s35, 0, s21
	v_lshlrev_b64_e32 v[2:3], 2, v[2:3]
	v_add_co_u32 v16, vcc_lo, s4, v0
	s_delay_alu instid0(VALU_DEP_1) | instskip(SKIP_2) | instid1(VALU_DEP_4)
	v_add_co_ci_u32_e64 v17, null, s5, v1, vcc_lo
	s_wait_alu 0xfffe
	v_add3_u32 v7, v7, s0, v8
	v_add_co_u32 v0, vcc_lo, v2, v18
	s_wait_alu 0xfffd
	v_add_co_ci_u32_e64 v1, null, 0, v3, vcc_lo
	s_delay_alu instid0(VALU_DEP_3)
	v_lshlrev_b64_e32 v[2:3], 2, v[6:7]
	v_lshlrev_b32_e32 v6, 2, v19
	v_cmp_gt_i64_e64 s0, s[24:25], 0
	v_add_co_u32 v0, vcc_lo, s18, v0
	s_wait_alu 0xfffd
	v_add_co_ci_u32_e64 v1, null, s19, v1, vcc_lo
	v_add_co_u32 v2, vcc_lo, v2, v6
	s_wait_alu 0xfffd
	v_add_co_ci_u32_e64 v3, null, 0, v3, vcc_lo
	s_wait_alu 0xf1ff
	v_cndmask_b32_e64 v8, 0, 1, s0
	v_add_co_u32 v2, vcc_lo, s12, v2
	v_lshlrev_b64_e32 v[4:5], 2, v[4:5]
	v_lshlrev_b64_e32 v[6:7], 2, v[9:10]
	s_wait_alu 0xfffd
	v_add_co_ci_u32_e64 v3, null, s13, v3, vcc_lo
	v_cmp_ne_u32_e64 s0, 1, v8
	s_lshl_b64 s[4:5], s[22:23], 2
	s_lshl_b64 s[12:13], s[38:39], 2
	;; [unrolled: 1-line block ×3, first 2 shown]
	s_branch .LBB41_3
.LBB41_2:                               ;   in Loop: Header=BB41_3 Depth=1
	s_add_co_i32 s28, s28, 0x10000
	s_wait_alu 0xfffe
	s_cmp_lt_i32 s28, s27
	s_cbranch_scc0 .LBB41_10
.LBB41_3:                               ; =>This Loop Header: Depth=1
                                        ;     Child Loop BB41_5 Depth 2
	v_dual_mov_b32 v21, 0 :: v_dual_mov_b32 v20, 0
	v_dual_mov_b32 v19, 0 :: v_dual_mov_b32 v18, 0
	s_and_b32 vcc_lo, exec_lo, s0
	s_wait_alu 0xfffe
	s_cbranch_vccnz .LBB41_6
; %bb.4:                                ;   in Loop: Header=BB41_3 Depth=1
	v_mad_co_u64_u32 v[8:9], null, s4, s28, v[0:1]
	v_mad_co_u64_u32 v[10:11], null, s6, s28, v[2:3]
	v_dual_mov_b32 v18, 0 :: v_dual_mov_b32 v19, 0
	s_mov_b64 s[16:17], 0
	s_delay_alu instid0(VALU_DEP_2) | instskip(NEXT) | instid1(VALU_DEP_3)
	v_mad_co_u64_u32 v[21:22], null, s5, s28, v[9:10]
	v_mad_co_u64_u32 v[22:23], null, s7, s28, v[11:12]
	s_delay_alu instid0(VALU_DEP_2) | instskip(SKIP_1) | instid1(VALU_DEP_3)
	v_dual_mov_b32 v20, 0 :: v_dual_mov_b32 v9, v21
	v_mov_b32_e32 v21, 0
	v_mov_b32_e32 v11, v22
.LBB41_5:                               ;   Parent Loop BB41_3 Depth=1
                                        ; =>  This Inner Loop Header: Depth=2
	global_load_b32 v22, v[10:11], off
	global_load_b32 v23, v[8:9], off
	s_wait_alu 0xfffe
	s_add_nc_u64 s[16:17], s[16:17], 8
	v_add_co_u32 v8, vcc_lo, v8, 32
	s_wait_alu 0xfffe
	v_cmp_lt_i64_e64 s1, s[16:17], s[24:25]
	s_wait_alu 0xfffd
	v_add_co_ci_u32_e64 v9, null, 0, v9, vcc_lo
	v_add_co_u32 v10, vcc_lo, v10, 32
	s_wait_alu 0xfffd
	v_add_co_ci_u32_e64 v11, null, 0, v11, vcc_lo
	s_and_b32 vcc_lo, exec_lo, s1
	s_wait_loadcnt 0x1
	ds_store_b32 v12, v22
	s_wait_loadcnt 0x0
	ds_store_b32 v13, v23
	s_wait_dscnt 0x0
	s_barrier_signal -1
	s_barrier_wait -1
	global_inv scope:SCOPE_SE
	ds_load_b128 v[22:25], v15
	ds_load_2addr_b32 v[38:39], v14 offset1:16
	ds_load_b128 v[26:29], v15 offset:512
	ds_load_2addr_b32 v[40:41], v14 offset0:32 offset1:48
	ds_load_2addr_b32 v[42:43], v14 offset0:64 offset1:80
	;; [unrolled: 1-line block ×3, first 2 shown]
	ds_load_b128 v[30:33], v15 offset:16
	ds_load_2addr_b32 v[46:47], v14 offset0:128 offset1:144
	ds_load_b128 v[34:37], v15 offset:528
	s_wait_dscnt 0x7
	v_fmac_f32_e32 v20, v39, v22
	v_fmac_f32_e32 v21, v38, v22
	s_wait_dscnt 0x6
	v_fmac_f32_e32 v18, v39, v26
	v_fmac_f32_e32 v19, v38, v26
	ds_load_2addr_b32 v[38:39], v14 offset0:160 offset1:176
	s_wait_dscnt 0x6
	v_fmac_f32_e32 v20, v41, v23
	v_fmac_f32_e32 v21, v40, v23
	v_fmac_f32_e32 v18, v41, v27
	v_fmac_f32_e32 v19, v40, v27
	ds_load_2addr_b32 v[22:23], v14 offset0:192 offset1:208
	s_wait_dscnt 0x6
	v_fmac_f32_e32 v20, v43, v24
	v_fmac_f32_e32 v21, v42, v24
	;; [unrolled: 6-line block ×3, first 2 shown]
	v_fmac_f32_e32 v18, v45, v29
	v_fmac_f32_e32 v19, v44, v29
	s_wait_loadcnt_dscnt 0x0
	v_fmac_f32_e32 v20, v47, v30
	v_fmac_f32_e32 v21, v46, v30
	;; [unrolled: 1-line block ×4, first 2 shown]
	s_barrier_signal -1
	v_fmac_f32_e32 v20, v39, v31
	v_fmac_f32_e32 v21, v38, v31
	;; [unrolled: 1-line block ×4, first 2 shown]
	s_barrier_wait -1
	v_fmac_f32_e32 v20, v23, v32
	v_fmac_f32_e32 v21, v22, v32
	;; [unrolled: 1-line block ×4, first 2 shown]
	global_inv scope:SCOPE_SE
	v_fmac_f32_e32 v20, v27, v33
	v_fmac_f32_e32 v21, v26, v33
	;; [unrolled: 1-line block ×4, first 2 shown]
	s_wait_alu 0xfffe
	s_cbranch_vccnz .LBB41_5
.LBB41_6:                               ;   in Loop: Header=BB41_3 Depth=1
	s_mul_u64 s[16:17], s[2:3], s[28:29]
	s_and_not1_b32 vcc_lo, exec_lo, s20
	s_wait_alu 0xfffe
	s_lshl_b64 s[16:17], s[16:17], 2
	s_wait_alu 0xfffe
	s_add_nc_u64 s[16:17], s[10:11], s[16:17]
	s_cbranch_vccnz .LBB41_8
; %bb.7:                                ;   in Loop: Header=BB41_3 Depth=1
	s_wait_alu 0xfffe
	v_add_co_u32 v10, vcc_lo, s16, v4
	s_wait_alu 0xfffd
	v_add_co_ci_u32_e64 v11, null, s17, v5, vcc_lo
	v_dual_mul_f32 v22, s26, v21 :: v_dual_mul_f32 v23, s26, v20
	s_delay_alu instid0(VALU_DEP_3) | instskip(SKIP_1) | instid1(VALU_DEP_3)
	v_add_co_u32 v8, vcc_lo, v10, v6
	s_wait_alu 0xfffd
	v_add_co_ci_u32_e64 v9, null, v11, v7, vcc_lo
	v_add_co_u32 v10, vcc_lo, v10, s14
	s_wait_alu 0xfffd
	v_add_co_ci_u32_e64 v11, null, s15, v11, vcc_lo
	v_dual_mul_f32 v24, s26, v19 :: v_dual_mul_f32 v25, s26, v18
	s_delay_alu instid0(VALU_DEP_3) | instskip(SKIP_1) | instid1(VALU_DEP_3)
	v_add_co_u32 v10, vcc_lo, v10, v6
	s_wait_alu 0xfffd
	v_add_co_ci_u32_e64 v11, null, v11, v7, vcc_lo
	s_clause 0x3
	global_store_b32 v[8:9], v22, off
	global_store_b32 v[8:9], v23, off offset:64
	global_store_b32 v[10:11], v24, off
	global_store_b32 v[10:11], v25, off offset:64
	s_cbranch_execnz .LBB41_2
	s_branch .LBB41_9
.LBB41_8:                               ;   in Loop: Header=BB41_3 Depth=1
.LBB41_9:                               ;   in Loop: Header=BB41_3 Depth=1
	s_mul_u64 s[18:19], s[8:9], s[28:29]
	s_wait_alu 0xfffe
	s_lshl_b64 s[18:19], s[18:19], 2
	s_wait_alu 0xfffe
	v_add_co_u32 v22, vcc_lo, v16, s18
	s_wait_alu 0xfffd
	v_add_co_ci_u32_e64 v23, null, s19, v17, vcc_lo
	s_delay_alu instid0(VALU_DEP_2) | instskip(SKIP_1) | instid1(VALU_DEP_2)
	v_add_co_u32 v8, vcc_lo, v22, v6
	s_wait_alu 0xfffd
	v_add_co_ci_u32_e64 v9, null, v23, v7, vcc_lo
	v_add_co_u32 v24, vcc_lo, s16, v4
	s_wait_alu 0xfffd
	v_add_co_ci_u32_e64 v25, null, s17, v5, vcc_lo
	global_load_b32 v10, v[8:9], off
	s_wait_loadcnt 0x0
	v_mul_f32_e32 v26, s30, v10
	v_add_co_u32 v10, vcc_lo, v24, v6
	s_wait_alu 0xfffd
	v_add_co_ci_u32_e64 v11, null, v25, v7, vcc_lo
	s_delay_alu instid0(VALU_DEP_3)
	v_fmac_f32_e32 v26, s26, v21
	global_store_b32 v[10:11], v26, off
	global_load_b32 v8, v[8:9], off offset:64
	s_wait_loadcnt 0x0
	v_mul_f32_e32 v21, s30, v8
	v_add_co_u32 v8, vcc_lo, v22, s12
	s_wait_alu 0xfffd
	v_add_co_ci_u32_e64 v9, null, s13, v23, vcc_lo
	s_delay_alu instid0(VALU_DEP_3) | instskip(NEXT) | instid1(VALU_DEP_3)
	v_fmac_f32_e32 v21, s26, v20
	v_add_co_u32 v8, vcc_lo, v8, v6
	s_wait_alu 0xfffd
	s_delay_alu instid0(VALU_DEP_3)
	v_add_co_ci_u32_e64 v9, null, v9, v7, vcc_lo
	global_store_b32 v[10:11], v21, off offset:64
	global_load_b32 v10, v[8:9], off
	s_wait_loadcnt 0x0
	v_mul_f32_e32 v20, s30, v10
	v_add_co_u32 v10, vcc_lo, v24, s14
	s_wait_alu 0xfffd
	v_add_co_ci_u32_e64 v11, null, s15, v25, vcc_lo
	s_delay_alu instid0(VALU_DEP_3) | instskip(NEXT) | instid1(VALU_DEP_3)
	v_fmac_f32_e32 v20, s26, v19
	v_add_co_u32 v10, vcc_lo, v10, v6
	s_wait_alu 0xfffd
	s_delay_alu instid0(VALU_DEP_3) | instskip(SKIP_4) | instid1(VALU_DEP_1)
	v_add_co_ci_u32_e64 v11, null, v11, v7, vcc_lo
	global_store_b32 v[10:11], v20, off
	global_load_b32 v8, v[8:9], off offset:64
	s_wait_loadcnt 0x0
	v_mul_f32_e32 v8, s30, v8
	v_fmac_f32_e32 v8, s26, v18
	global_store_b32 v[10:11], v8, off offset:64
	s_branch .LBB41_2
.LBB41_10:
	s_endpgm
	.section	.rodata,"a",@progbits
	.p2align	6, 0x0
	.amdhsa_kernel _ZN12_GLOBAL__N_127rocblas_gemm_batched_kernelIfLi16ELi16ELi32ELi32ELi8ELi32ELi8ELi8ELi32ELc84ELc78EKfS1_fEEvlllT_PT11_llS4_llS2_PT12_llPT13_lli
		.amdhsa_group_segment_fixed_size 2048
		.amdhsa_private_segment_fixed_size 0
		.amdhsa_kernarg_size 140
		.amdhsa_user_sgpr_count 2
		.amdhsa_user_sgpr_dispatch_ptr 0
		.amdhsa_user_sgpr_queue_ptr 0
		.amdhsa_user_sgpr_kernarg_segment_ptr 1
		.amdhsa_user_sgpr_dispatch_id 0
		.amdhsa_user_sgpr_private_segment_size 0
		.amdhsa_wavefront_size32 1
		.amdhsa_uses_dynamic_stack 0
		.amdhsa_enable_private_segment 0
		.amdhsa_system_sgpr_workgroup_id_x 1
		.amdhsa_system_sgpr_workgroup_id_y 1
		.amdhsa_system_sgpr_workgroup_id_z 1
		.amdhsa_system_sgpr_workgroup_info 0
		.amdhsa_system_vgpr_workitem_id 1
		.amdhsa_next_free_vgpr 48
		.amdhsa_next_free_sgpr 40
		.amdhsa_reserve_vcc 1
		.amdhsa_float_round_mode_32 0
		.amdhsa_float_round_mode_16_64 0
		.amdhsa_float_denorm_mode_32 3
		.amdhsa_float_denorm_mode_16_64 3
		.amdhsa_fp16_overflow 0
		.amdhsa_workgroup_processor_mode 1
		.amdhsa_memory_ordered 1
		.amdhsa_forward_progress 1
		.amdhsa_inst_pref_size 13
		.amdhsa_round_robin_scheduling 0
		.amdhsa_exception_fp_ieee_invalid_op 0
		.amdhsa_exception_fp_denorm_src 0
		.amdhsa_exception_fp_ieee_div_zero 0
		.amdhsa_exception_fp_ieee_overflow 0
		.amdhsa_exception_fp_ieee_underflow 0
		.amdhsa_exception_fp_ieee_inexact 0
		.amdhsa_exception_int_div_zero 0
	.end_amdhsa_kernel
	.section	.text._ZN12_GLOBAL__N_127rocblas_gemm_batched_kernelIfLi16ELi16ELi32ELi32ELi8ELi32ELi8ELi8ELi32ELc84ELc78EKfS1_fEEvlllT_PT11_llS4_llS2_PT12_llPT13_lli,"axG",@progbits,_ZN12_GLOBAL__N_127rocblas_gemm_batched_kernelIfLi16ELi16ELi32ELi32ELi8ELi32ELi8ELi8ELi32ELc84ELc78EKfS1_fEEvlllT_PT11_llS4_llS2_PT12_llPT13_lli,comdat
.Lfunc_end41:
	.size	_ZN12_GLOBAL__N_127rocblas_gemm_batched_kernelIfLi16ELi16ELi32ELi32ELi8ELi32ELi8ELi8ELi32ELc84ELc78EKfS1_fEEvlllT_PT11_llS4_llS2_PT12_llPT13_lli, .Lfunc_end41-_ZN12_GLOBAL__N_127rocblas_gemm_batched_kernelIfLi16ELi16ELi32ELi32ELi8ELi32ELi8ELi8ELi32ELc84ELc78EKfS1_fEEvlllT_PT11_llS4_llS2_PT12_llPT13_lli
                                        ; -- End function
	.set _ZN12_GLOBAL__N_127rocblas_gemm_batched_kernelIfLi16ELi16ELi32ELi32ELi8ELi32ELi8ELi8ELi32ELc84ELc78EKfS1_fEEvlllT_PT11_llS4_llS2_PT12_llPT13_lli.num_vgpr, 48
	.set _ZN12_GLOBAL__N_127rocblas_gemm_batched_kernelIfLi16ELi16ELi32ELi32ELi8ELi32ELi8ELi8ELi32ELc84ELc78EKfS1_fEEvlllT_PT11_llS4_llS2_PT12_llPT13_lli.num_agpr, 0
	.set _ZN12_GLOBAL__N_127rocblas_gemm_batched_kernelIfLi16ELi16ELi32ELi32ELi8ELi32ELi8ELi8ELi32ELc84ELc78EKfS1_fEEvlllT_PT11_llS4_llS2_PT12_llPT13_lli.numbered_sgpr, 40
	.set _ZN12_GLOBAL__N_127rocblas_gemm_batched_kernelIfLi16ELi16ELi32ELi32ELi8ELi32ELi8ELi8ELi32ELc84ELc78EKfS1_fEEvlllT_PT11_llS4_llS2_PT12_llPT13_lli.num_named_barrier, 0
	.set _ZN12_GLOBAL__N_127rocblas_gemm_batched_kernelIfLi16ELi16ELi32ELi32ELi8ELi32ELi8ELi8ELi32ELc84ELc78EKfS1_fEEvlllT_PT11_llS4_llS2_PT12_llPT13_lli.private_seg_size, 0
	.set _ZN12_GLOBAL__N_127rocblas_gemm_batched_kernelIfLi16ELi16ELi32ELi32ELi8ELi32ELi8ELi8ELi32ELc84ELc78EKfS1_fEEvlllT_PT11_llS4_llS2_PT12_llPT13_lli.uses_vcc, 1
	.set _ZN12_GLOBAL__N_127rocblas_gemm_batched_kernelIfLi16ELi16ELi32ELi32ELi8ELi32ELi8ELi8ELi32ELc84ELc78EKfS1_fEEvlllT_PT11_llS4_llS2_PT12_llPT13_lli.uses_flat_scratch, 0
	.set _ZN12_GLOBAL__N_127rocblas_gemm_batched_kernelIfLi16ELi16ELi32ELi32ELi8ELi32ELi8ELi8ELi32ELc84ELc78EKfS1_fEEvlllT_PT11_llS4_llS2_PT12_llPT13_lli.has_dyn_sized_stack, 0
	.set _ZN12_GLOBAL__N_127rocblas_gemm_batched_kernelIfLi16ELi16ELi32ELi32ELi8ELi32ELi8ELi8ELi32ELc84ELc78EKfS1_fEEvlllT_PT11_llS4_llS2_PT12_llPT13_lli.has_recursion, 0
	.set _ZN12_GLOBAL__N_127rocblas_gemm_batched_kernelIfLi16ELi16ELi32ELi32ELi8ELi32ELi8ELi8ELi32ELc84ELc78EKfS1_fEEvlllT_PT11_llS4_llS2_PT12_llPT13_lli.has_indirect_call, 0
	.section	.AMDGPU.csdata,"",@progbits
; Kernel info:
; codeLenInByte = 1596
; TotalNumSgprs: 42
; NumVgprs: 48
; ScratchSize: 0
; MemoryBound: 0
; FloatMode: 240
; IeeeMode: 1
; LDSByteSize: 2048 bytes/workgroup (compile time only)
; SGPRBlocks: 0
; VGPRBlocks: 5
; NumSGPRsForWavesPerEU: 42
; NumVGPRsForWavesPerEU: 48
; Occupancy: 16
; WaveLimiterHint : 0
; COMPUTE_PGM_RSRC2:SCRATCH_EN: 0
; COMPUTE_PGM_RSRC2:USER_SGPR: 2
; COMPUTE_PGM_RSRC2:TRAP_HANDLER: 0
; COMPUTE_PGM_RSRC2:TGID_X_EN: 1
; COMPUTE_PGM_RSRC2:TGID_Y_EN: 1
; COMPUTE_PGM_RSRC2:TGID_Z_EN: 1
; COMPUTE_PGM_RSRC2:TIDIG_COMP_CNT: 1
	.section	.text._ZN12_GLOBAL__N_127rocblas_gemm_batched_kernelIfLi16ELi16ELi32ELi32ELi8ELi32ELi8ELi8ELi32ELc78ELc84EKfS1_fEEvlllT_PT11_llS4_llS2_PT12_llPT13_lli,"axG",@progbits,_ZN12_GLOBAL__N_127rocblas_gemm_batched_kernelIfLi16ELi16ELi32ELi32ELi8ELi32ELi8ELi8ELi32ELc78ELc84EKfS1_fEEvlllT_PT11_llS4_llS2_PT12_llPT13_lli,comdat
	.globl	_ZN12_GLOBAL__N_127rocblas_gemm_batched_kernelIfLi16ELi16ELi32ELi32ELi8ELi32ELi8ELi8ELi32ELc78ELc84EKfS1_fEEvlllT_PT11_llS4_llS2_PT12_llPT13_lli ; -- Begin function _ZN12_GLOBAL__N_127rocblas_gemm_batched_kernelIfLi16ELi16ELi32ELi32ELi8ELi32ELi8ELi8ELi32ELc78ELc84EKfS1_fEEvlllT_PT11_llS4_llS2_PT12_llPT13_lli
	.p2align	8
	.type	_ZN12_GLOBAL__N_127rocblas_gemm_batched_kernelIfLi16ELi16ELi32ELi32ELi8ELi32ELi8ELi8ELi32ELc78ELc84EKfS1_fEEvlllT_PT11_llS4_llS2_PT12_llPT13_lli,@function
_ZN12_GLOBAL__N_127rocblas_gemm_batched_kernelIfLi16ELi16ELi32ELi32ELi8ELi32ELi8ELi8ELi32ELc78ELc84EKfS1_fEEvlllT_PT11_llS4_llS2_PT12_llPT13_lli: ; @_ZN12_GLOBAL__N_127rocblas_gemm_batched_kernelIfLi16ELi16ELi32ELi32ELi8ELi32ELi8ELi8ELi32ELc78ELc84EKfS1_fEEvlllT_PT11_llS4_llS2_PT12_llPT13_lli
; %bb.0:
	s_load_b32 s31, s[0:1], 0x88
	s_lshr_b32 s2, ttmp7, 16
	s_wait_kmcnt 0x0
	s_cmp_ge_i32 s2, s31
	s_cbranch_scc1 .LBB42_10
; %bb.1:
	s_clause 0x3
	s_load_b96 s[28:30], s[0:1], 0x10
	s_load_b256 s[12:19], s[0:1], 0x20
	s_load_b128 s[20:23], s[0:1], 0x78
	s_load_b256 s[4:11], s[0:1], 0x58
	v_dual_mov_b32 v1, 0 :: v_dual_and_b32 v8, 0x3ff, v0
	v_bfe_u32 v6, v0, 10, 10
	s_clause 0x1
	s_load_b128 s[24:27], s[0:1], 0x40
	s_load_b32 s1, s[0:1], 0x50
	v_and_b32_e32 v11, 7, v0
	s_lshl_b32 s0, ttmp7, 5
	s_mov_b32 s34, ttmp9
	v_lshl_add_u32 v2, v6, 4, v8
	s_and_b32 s0, s0, 0x1fffe0
	v_lshl_add_u32 v15, v6, 5, 0x400
	v_add_nc_u32_e32 v7, s0, v6
	s_ashr_i32 s35, ttmp9, 31
	v_and_b32_e32 v20, 31, v2
	v_lshrrev_b32_e32 v18, 5, v2
	v_lshrrev_b32_e32 v0, 3, v2
	v_lshlrev_b32_e32 v2, 2, v11
	s_lshl_b64 s[34:35], s[34:35], 5
	v_lshlrev_b32_e32 v14, 2, v8
	s_wait_kmcnt 0x0
	v_mad_co_u64_u32 v[4:5], null, v7, s20, 0
	v_lshl_or_b32 v10, v0, 5, v2
	v_mad_co_u64_u32 v[2:3], null, v7, s6, 0
	v_mad_co_u64_u32 v[0:1], null, s24, v11, v[0:1]
	s_delay_alu instid0(VALU_DEP_3)
	v_add_nc_u32_e32 v13, 0x400, v10
	v_mad_co_u64_u32 v[5:6], null, v7, s21, v[5:6]
	s_cmp_eq_f32 s1, 0
	v_mad_co_u64_u32 v[6:7], null, v7, s7, v[3:4]
	v_mad_co_u64_u32 v[16:17], null, s25, v11, v[1:2]
	v_add_co_u32 v7, s36, s34, v8
	s_delay_alu instid0(VALU_DEP_1) | instskip(NEXT) | instid1(VALU_DEP_4)
	v_add_co_ci_u32_e64 v8, null, s35, 0, s36
	v_mov_b32_e32 v3, v6
	v_lshlrev_b32_e32 v9, 2, v20
	s_cselect_b32 s33, -1, 0
	s_delay_alu instid0(VALU_DEP_3)
	v_lshlrev_b64_e32 v[6:7], 2, v[7:8]
	s_lshl_b64 s[20:21], s[20:21], 4
	v_lshlrev_b64_e32 v[1:2], 2, v[2:3]
	v_lshl_or_b32 v12, v18, 7, v9
	v_mad_co_u64_u32 v[9:10], null, s14, v18, s[34:35]
	s_lshl_b64 s[34:35], s[6:7], 4
	s_mov_b32 s3, 0
	s_lshl_b64 s[6:7], s[24:25], 5
	v_mov_b32_e32 v3, v10
	v_add_co_u32 v10, vcc_lo, v0, s0
	s_delay_alu instid0(VALU_DEP_1) | instskip(NEXT) | instid1(VALU_DEP_3)
	v_add_co_ci_u32_e64 v11, null, 0, v16, vcc_lo
	v_mad_co_u64_u32 v[18:19], null, s15, v18, v[3:4]
	v_add_co_u32 v16, vcc_lo, s4, v1
	s_wait_alu 0xfffd
	v_add_co_ci_u32_e64 v17, null, s5, v2, vcc_lo
	v_add_co_u32 v2, vcc_lo, v9, v20
	s_wait_alu 0xfffd
	s_delay_alu instid0(VALU_DEP_4) | instskip(SKIP_3) | instid1(VALU_DEP_4)
	v_add_co_ci_u32_e64 v3, null, 0, v18, vcc_lo
	v_cmp_gt_i64_e64 s0, s[28:29], 0
	v_lshlrev_b64_e32 v[0:1], 2, v[10:11]
	v_lshlrev_b64_e32 v[4:5], 2, v[4:5]
	;; [unrolled: 1-line block ×3, first 2 shown]
	s_lshl_b64 s[4:5], s[26:27], 2
	s_lshl_b64 s[14:15], s[14:15], 5
	v_cndmask_b32_e64 v9, 0, 1, s0
	v_add_co_u32 v0, vcc_lo, s18, v0
	s_wait_alu 0xfffd
	v_add_co_ci_u32_e64 v1, null, s19, v1, vcc_lo
	v_add_co_u32 v2, vcc_lo, s12, v2
	s_wait_alu 0xfffd
	v_add_co_ci_u32_e64 v3, null, s13, v3, vcc_lo
	v_cmp_ne_u32_e64 s0, 1, v9
	s_lshl_b64 s[12:13], s[16:17], 2
	s_wait_alu 0xfffe
	s_lshl_b64 s[16:17], s[34:35], 2
	s_lshl_b64 s[18:19], s[20:21], 2
	s_branch .LBB42_3
.LBB42_2:                               ;   in Loop: Header=BB42_3 Depth=1
	s_add_co_i32 s2, s2, 0x10000
	s_wait_alu 0xfffe
	s_cmp_lt_i32 s2, s31
	s_cbranch_scc0 .LBB42_10
.LBB42_3:                               ; =>This Loop Header: Depth=1
                                        ;     Child Loop BB42_5 Depth 2
	v_dual_mov_b32 v21, 0 :: v_dual_mov_b32 v20, 0
	v_dual_mov_b32 v19, 0 :: v_dual_mov_b32 v18, 0
	s_and_b32 vcc_lo, exec_lo, s0
	s_wait_alu 0xfffe
	s_cbranch_vccnz .LBB42_6
; %bb.4:                                ;   in Loop: Header=BB42_3 Depth=1
	v_mad_co_u64_u32 v[8:9], null, s4, s2, v[0:1]
	v_mad_co_u64_u32 v[10:11], null, s12, s2, v[2:3]
	v_dual_mov_b32 v18, 0 :: v_dual_mov_b32 v19, 0
	s_mov_b64 s[20:21], 0
	s_delay_alu instid0(VALU_DEP_2) | instskip(NEXT) | instid1(VALU_DEP_3)
	v_mad_co_u64_u32 v[21:22], null, s5, s2, v[9:10]
	v_mad_co_u64_u32 v[22:23], null, s13, s2, v[11:12]
	s_delay_alu instid0(VALU_DEP_2) | instskip(SKIP_1) | instid1(VALU_DEP_3)
	v_dual_mov_b32 v20, 0 :: v_dual_mov_b32 v9, v21
	v_mov_b32_e32 v21, 0
	v_mov_b32_e32 v11, v22
.LBB42_5:                               ;   Parent Loop BB42_3 Depth=1
                                        ; =>  This Inner Loop Header: Depth=2
	global_load_b32 v22, v[10:11], off
	global_load_b32 v23, v[8:9], off
	s_wait_alu 0xfffe
	s_add_nc_u64 s[20:21], s[20:21], 8
	v_add_co_u32 v8, vcc_lo, v8, s6
	s_wait_alu 0xfffe
	v_cmp_lt_i64_e64 s24, s[20:21], s[28:29]
	s_wait_alu 0xfffd
	v_add_co_ci_u32_e64 v9, null, s7, v9, vcc_lo
	v_add_co_u32 v10, vcc_lo, v10, s14
	s_wait_alu 0xfffd
	v_add_co_ci_u32_e64 v11, null, s15, v11, vcc_lo
	s_and_b32 vcc_lo, exec_lo, s24
	s_wait_loadcnt 0x1
	ds_store_b32 v12, v22
	s_wait_loadcnt 0x0
	ds_store_b32 v13, v23
	s_wait_dscnt 0x0
	s_barrier_signal -1
	s_barrier_wait -1
	global_inv scope:SCOPE_SE
	ds_load_b128 v[22:25], v15
	ds_load_2addr_b32 v[38:39], v14 offset1:16
	ds_load_b128 v[26:29], v15 offset:512
	ds_load_2addr_b32 v[40:41], v14 offset0:32 offset1:48
	ds_load_2addr_b32 v[42:43], v14 offset0:64 offset1:80
	;; [unrolled: 1-line block ×3, first 2 shown]
	ds_load_b128 v[30:33], v15 offset:16
	ds_load_2addr_b32 v[46:47], v14 offset0:128 offset1:144
	ds_load_b128 v[34:37], v15 offset:528
	s_wait_dscnt 0x7
	v_fmac_f32_e32 v20, v39, v22
	v_fmac_f32_e32 v21, v38, v22
	s_wait_dscnt 0x6
	v_fmac_f32_e32 v18, v39, v26
	v_fmac_f32_e32 v19, v38, v26
	ds_load_2addr_b32 v[38:39], v14 offset0:160 offset1:176
	s_wait_dscnt 0x6
	v_fmac_f32_e32 v20, v41, v23
	v_fmac_f32_e32 v21, v40, v23
	v_fmac_f32_e32 v18, v41, v27
	v_fmac_f32_e32 v19, v40, v27
	ds_load_2addr_b32 v[22:23], v14 offset0:192 offset1:208
	s_wait_dscnt 0x6
	v_fmac_f32_e32 v20, v43, v24
	v_fmac_f32_e32 v21, v42, v24
	;; [unrolled: 6-line block ×3, first 2 shown]
	v_fmac_f32_e32 v18, v45, v29
	v_fmac_f32_e32 v19, v44, v29
	s_wait_loadcnt_dscnt 0x0
	v_fmac_f32_e32 v20, v47, v30
	v_fmac_f32_e32 v21, v46, v30
	;; [unrolled: 1-line block ×4, first 2 shown]
	s_barrier_signal -1
	v_fmac_f32_e32 v20, v39, v31
	v_fmac_f32_e32 v21, v38, v31
	;; [unrolled: 1-line block ×4, first 2 shown]
	s_barrier_wait -1
	v_fmac_f32_e32 v20, v23, v32
	v_fmac_f32_e32 v21, v22, v32
	;; [unrolled: 1-line block ×4, first 2 shown]
	global_inv scope:SCOPE_SE
	v_fmac_f32_e32 v20, v27, v33
	v_fmac_f32_e32 v21, v26, v33
	v_fmac_f32_e32 v18, v27, v37
	v_fmac_f32_e32 v19, v26, v37
	s_wait_alu 0xfffe
	s_cbranch_vccnz .LBB42_5
.LBB42_6:                               ;   in Loop: Header=BB42_3 Depth=1
	s_mul_u64 s[20:21], s[22:23], s[2:3]
	s_and_not1_b32 vcc_lo, exec_lo, s33
	s_wait_alu 0xfffe
	s_lshl_b64 s[20:21], s[20:21], 2
	s_wait_alu 0xfffe
	s_add_nc_u64 s[20:21], s[10:11], s[20:21]
	s_cbranch_vccnz .LBB42_8
; %bb.7:                                ;   in Loop: Header=BB42_3 Depth=1
	s_wait_alu 0xfffe
	v_add_co_u32 v10, vcc_lo, s20, v4
	s_wait_alu 0xfffd
	v_add_co_ci_u32_e64 v11, null, s21, v5, vcc_lo
	v_dual_mul_f32 v22, s30, v21 :: v_dual_mul_f32 v23, s30, v20
	s_delay_alu instid0(VALU_DEP_3) | instskip(SKIP_1) | instid1(VALU_DEP_3)
	v_add_co_u32 v8, vcc_lo, v10, v6
	s_wait_alu 0xfffd
	v_add_co_ci_u32_e64 v9, null, v11, v7, vcc_lo
	v_add_co_u32 v10, vcc_lo, v10, s18
	s_wait_alu 0xfffd
	v_add_co_ci_u32_e64 v11, null, s19, v11, vcc_lo
	v_dual_mul_f32 v24, s30, v19 :: v_dual_mul_f32 v25, s30, v18
	s_delay_alu instid0(VALU_DEP_3) | instskip(SKIP_1) | instid1(VALU_DEP_3)
	v_add_co_u32 v10, vcc_lo, v10, v6
	s_wait_alu 0xfffd
	v_add_co_ci_u32_e64 v11, null, v11, v7, vcc_lo
	s_clause 0x3
	global_store_b32 v[8:9], v22, off
	global_store_b32 v[8:9], v23, off offset:64
	global_store_b32 v[10:11], v24, off
	global_store_b32 v[10:11], v25, off offset:64
	s_cbranch_execnz .LBB42_2
	s_branch .LBB42_9
.LBB42_8:                               ;   in Loop: Header=BB42_3 Depth=1
.LBB42_9:                               ;   in Loop: Header=BB42_3 Depth=1
	s_mul_u64 s[24:25], s[8:9], s[2:3]
	s_wait_alu 0xfffe
	s_lshl_b64 s[24:25], s[24:25], 2
	s_wait_alu 0xfffe
	v_add_co_u32 v22, vcc_lo, v16, s24
	s_wait_alu 0xfffd
	v_add_co_ci_u32_e64 v23, null, s25, v17, vcc_lo
	s_delay_alu instid0(VALU_DEP_2) | instskip(SKIP_1) | instid1(VALU_DEP_2)
	v_add_co_u32 v8, vcc_lo, v22, v6
	s_wait_alu 0xfffd
	v_add_co_ci_u32_e64 v9, null, v23, v7, vcc_lo
	v_add_co_u32 v24, vcc_lo, s20, v4
	s_wait_alu 0xfffd
	v_add_co_ci_u32_e64 v25, null, s21, v5, vcc_lo
	global_load_b32 v10, v[8:9], off
	s_wait_loadcnt 0x0
	v_mul_f32_e32 v26, s1, v10
	v_add_co_u32 v10, vcc_lo, v24, v6
	s_wait_alu 0xfffd
	v_add_co_ci_u32_e64 v11, null, v25, v7, vcc_lo
	s_delay_alu instid0(VALU_DEP_3)
	v_fmac_f32_e32 v26, s30, v21
	global_store_b32 v[10:11], v26, off
	global_load_b32 v8, v[8:9], off offset:64
	s_wait_loadcnt 0x0
	v_mul_f32_e32 v21, s1, v8
	v_add_co_u32 v8, vcc_lo, v22, s16
	s_wait_alu 0xfffd
	v_add_co_ci_u32_e64 v9, null, s17, v23, vcc_lo
	s_delay_alu instid0(VALU_DEP_3) | instskip(NEXT) | instid1(VALU_DEP_3)
	v_fmac_f32_e32 v21, s30, v20
	v_add_co_u32 v8, vcc_lo, v8, v6
	s_wait_alu 0xfffd
	s_delay_alu instid0(VALU_DEP_3)
	v_add_co_ci_u32_e64 v9, null, v9, v7, vcc_lo
	global_store_b32 v[10:11], v21, off offset:64
	global_load_b32 v10, v[8:9], off
	s_wait_loadcnt 0x0
	v_mul_f32_e32 v20, s1, v10
	v_add_co_u32 v10, vcc_lo, v24, s18
	s_wait_alu 0xfffd
	v_add_co_ci_u32_e64 v11, null, s19, v25, vcc_lo
	s_delay_alu instid0(VALU_DEP_3) | instskip(NEXT) | instid1(VALU_DEP_3)
	v_fmac_f32_e32 v20, s30, v19
	v_add_co_u32 v10, vcc_lo, v10, v6
	s_wait_alu 0xfffd
	s_delay_alu instid0(VALU_DEP_3) | instskip(SKIP_4) | instid1(VALU_DEP_1)
	v_add_co_ci_u32_e64 v11, null, v11, v7, vcc_lo
	global_store_b32 v[10:11], v20, off
	global_load_b32 v8, v[8:9], off offset:64
	s_wait_loadcnt 0x0
	v_mul_f32_e32 v8, s1, v8
	v_fmac_f32_e32 v8, s30, v18
	global_store_b32 v[10:11], v8, off offset:64
	s_branch .LBB42_2
.LBB42_10:
	s_endpgm
	.section	.rodata,"a",@progbits
	.p2align	6, 0x0
	.amdhsa_kernel _ZN12_GLOBAL__N_127rocblas_gemm_batched_kernelIfLi16ELi16ELi32ELi32ELi8ELi32ELi8ELi8ELi32ELc78ELc84EKfS1_fEEvlllT_PT11_llS4_llS2_PT12_llPT13_lli
		.amdhsa_group_segment_fixed_size 2048
		.amdhsa_private_segment_fixed_size 0
		.amdhsa_kernarg_size 140
		.amdhsa_user_sgpr_count 2
		.amdhsa_user_sgpr_dispatch_ptr 0
		.amdhsa_user_sgpr_queue_ptr 0
		.amdhsa_user_sgpr_kernarg_segment_ptr 1
		.amdhsa_user_sgpr_dispatch_id 0
		.amdhsa_user_sgpr_private_segment_size 0
		.amdhsa_wavefront_size32 1
		.amdhsa_uses_dynamic_stack 0
		.amdhsa_enable_private_segment 0
		.amdhsa_system_sgpr_workgroup_id_x 1
		.amdhsa_system_sgpr_workgroup_id_y 1
		.amdhsa_system_sgpr_workgroup_id_z 1
		.amdhsa_system_sgpr_workgroup_info 0
		.amdhsa_system_vgpr_workitem_id 1
		.amdhsa_next_free_vgpr 48
		.amdhsa_next_free_sgpr 37
		.amdhsa_reserve_vcc 1
		.amdhsa_float_round_mode_32 0
		.amdhsa_float_round_mode_16_64 0
		.amdhsa_float_denorm_mode_32 3
		.amdhsa_float_denorm_mode_16_64 3
		.amdhsa_fp16_overflow 0
		.amdhsa_workgroup_processor_mode 1
		.amdhsa_memory_ordered 1
		.amdhsa_forward_progress 1
		.amdhsa_inst_pref_size 13
		.amdhsa_round_robin_scheduling 0
		.amdhsa_exception_fp_ieee_invalid_op 0
		.amdhsa_exception_fp_denorm_src 0
		.amdhsa_exception_fp_ieee_div_zero 0
		.amdhsa_exception_fp_ieee_overflow 0
		.amdhsa_exception_fp_ieee_underflow 0
		.amdhsa_exception_fp_ieee_inexact 0
		.amdhsa_exception_int_div_zero 0
	.end_amdhsa_kernel
	.section	.text._ZN12_GLOBAL__N_127rocblas_gemm_batched_kernelIfLi16ELi16ELi32ELi32ELi8ELi32ELi8ELi8ELi32ELc78ELc84EKfS1_fEEvlllT_PT11_llS4_llS2_PT12_llPT13_lli,"axG",@progbits,_ZN12_GLOBAL__N_127rocblas_gemm_batched_kernelIfLi16ELi16ELi32ELi32ELi8ELi32ELi8ELi8ELi32ELc78ELc84EKfS1_fEEvlllT_PT11_llS4_llS2_PT12_llPT13_lli,comdat
.Lfunc_end42:
	.size	_ZN12_GLOBAL__N_127rocblas_gemm_batched_kernelIfLi16ELi16ELi32ELi32ELi8ELi32ELi8ELi8ELi32ELc78ELc84EKfS1_fEEvlllT_PT11_llS4_llS2_PT12_llPT13_lli, .Lfunc_end42-_ZN12_GLOBAL__N_127rocblas_gemm_batched_kernelIfLi16ELi16ELi32ELi32ELi8ELi32ELi8ELi8ELi32ELc78ELc84EKfS1_fEEvlllT_PT11_llS4_llS2_PT12_llPT13_lli
                                        ; -- End function
	.set _ZN12_GLOBAL__N_127rocblas_gemm_batched_kernelIfLi16ELi16ELi32ELi32ELi8ELi32ELi8ELi8ELi32ELc78ELc84EKfS1_fEEvlllT_PT11_llS4_llS2_PT12_llPT13_lli.num_vgpr, 48
	.set _ZN12_GLOBAL__N_127rocblas_gemm_batched_kernelIfLi16ELi16ELi32ELi32ELi8ELi32ELi8ELi8ELi32ELc78ELc84EKfS1_fEEvlllT_PT11_llS4_llS2_PT12_llPT13_lli.num_agpr, 0
	.set _ZN12_GLOBAL__N_127rocblas_gemm_batched_kernelIfLi16ELi16ELi32ELi32ELi8ELi32ELi8ELi8ELi32ELc78ELc84EKfS1_fEEvlllT_PT11_llS4_llS2_PT12_llPT13_lli.numbered_sgpr, 37
	.set _ZN12_GLOBAL__N_127rocblas_gemm_batched_kernelIfLi16ELi16ELi32ELi32ELi8ELi32ELi8ELi8ELi32ELc78ELc84EKfS1_fEEvlllT_PT11_llS4_llS2_PT12_llPT13_lli.num_named_barrier, 0
	.set _ZN12_GLOBAL__N_127rocblas_gemm_batched_kernelIfLi16ELi16ELi32ELi32ELi8ELi32ELi8ELi8ELi32ELc78ELc84EKfS1_fEEvlllT_PT11_llS4_llS2_PT12_llPT13_lli.private_seg_size, 0
	.set _ZN12_GLOBAL__N_127rocblas_gemm_batched_kernelIfLi16ELi16ELi32ELi32ELi8ELi32ELi8ELi8ELi32ELc78ELc84EKfS1_fEEvlllT_PT11_llS4_llS2_PT12_llPT13_lli.uses_vcc, 1
	.set _ZN12_GLOBAL__N_127rocblas_gemm_batched_kernelIfLi16ELi16ELi32ELi32ELi8ELi32ELi8ELi8ELi32ELc78ELc84EKfS1_fEEvlllT_PT11_llS4_llS2_PT12_llPT13_lli.uses_flat_scratch, 0
	.set _ZN12_GLOBAL__N_127rocblas_gemm_batched_kernelIfLi16ELi16ELi32ELi32ELi8ELi32ELi8ELi8ELi32ELc78ELc84EKfS1_fEEvlllT_PT11_llS4_llS2_PT12_llPT13_lli.has_dyn_sized_stack, 0
	.set _ZN12_GLOBAL__N_127rocblas_gemm_batched_kernelIfLi16ELi16ELi32ELi32ELi8ELi32ELi8ELi8ELi32ELc78ELc84EKfS1_fEEvlllT_PT11_llS4_llS2_PT12_llPT13_lli.has_recursion, 0
	.set _ZN12_GLOBAL__N_127rocblas_gemm_batched_kernelIfLi16ELi16ELi32ELi32ELi8ELi32ELi8ELi8ELi32ELc78ELc84EKfS1_fEEvlllT_PT11_llS4_llS2_PT12_llPT13_lli.has_indirect_call, 0
	.section	.AMDGPU.csdata,"",@progbits
; Kernel info:
; codeLenInByte = 1580
; TotalNumSgprs: 39
; NumVgprs: 48
; ScratchSize: 0
; MemoryBound: 0
; FloatMode: 240
; IeeeMode: 1
; LDSByteSize: 2048 bytes/workgroup (compile time only)
; SGPRBlocks: 0
; VGPRBlocks: 5
; NumSGPRsForWavesPerEU: 39
; NumVGPRsForWavesPerEU: 48
; Occupancy: 16
; WaveLimiterHint : 0
; COMPUTE_PGM_RSRC2:SCRATCH_EN: 0
; COMPUTE_PGM_RSRC2:USER_SGPR: 2
; COMPUTE_PGM_RSRC2:TRAP_HANDLER: 0
; COMPUTE_PGM_RSRC2:TGID_X_EN: 1
; COMPUTE_PGM_RSRC2:TGID_Y_EN: 1
; COMPUTE_PGM_RSRC2:TGID_Z_EN: 1
; COMPUTE_PGM_RSRC2:TIDIG_COMP_CNT: 1
	.section	.text._ZN12_GLOBAL__N_127rocblas_gemm_batched_kernelIfLi16ELi16ELi32ELi32ELi8ELi32ELi8ELi8ELi32ELc84ELc84EKfS1_fEEvlllT_PT11_llS4_llS2_PT12_llPT13_lli,"axG",@progbits,_ZN12_GLOBAL__N_127rocblas_gemm_batched_kernelIfLi16ELi16ELi32ELi32ELi8ELi32ELi8ELi8ELi32ELc84ELc84EKfS1_fEEvlllT_PT11_llS4_llS2_PT12_llPT13_lli,comdat
	.globl	_ZN12_GLOBAL__N_127rocblas_gemm_batched_kernelIfLi16ELi16ELi32ELi32ELi8ELi32ELi8ELi8ELi32ELc84ELc84EKfS1_fEEvlllT_PT11_llS4_llS2_PT12_llPT13_lli ; -- Begin function _ZN12_GLOBAL__N_127rocblas_gemm_batched_kernelIfLi16ELi16ELi32ELi32ELi8ELi32ELi8ELi8ELi32ELc84ELc84EKfS1_fEEvlllT_PT11_llS4_llS2_PT12_llPT13_lli
	.p2align	8
	.type	_ZN12_GLOBAL__N_127rocblas_gemm_batched_kernelIfLi16ELi16ELi32ELi32ELi8ELi32ELi8ELi8ELi32ELc84ELc84EKfS1_fEEvlllT_PT11_llS4_llS2_PT12_llPT13_lli,@function
_ZN12_GLOBAL__N_127rocblas_gemm_batched_kernelIfLi16ELi16ELi32ELi32ELi8ELi32ELi8ELi8ELi32ELc84ELc84EKfS1_fEEvlllT_PT11_llS4_llS2_PT12_llPT13_lli: ; @_ZN12_GLOBAL__N_127rocblas_gemm_batched_kernelIfLi16ELi16ELi32ELi32ELi8ELi32ELi8ELi8ELi32ELc84ELc84EKfS1_fEEvlllT_PT11_llS4_llS2_PT12_llPT13_lli
; %bb.0:
	s_load_b32 s31, s[0:1], 0x88
	s_lshr_b32 s2, ttmp7, 16
	s_wait_kmcnt 0x0
	s_cmp_ge_i32 s2, s31
	s_cbranch_scc1 .LBB43_10
; %bb.1:
	v_dual_mov_b32 v1, 0 :: v_dual_and_b32 v8, 0x3ff, v0
	v_bfe_u32 v6, v0, 10, 10
	s_clause 0x5
	s_load_b96 s[28:30], s[0:1], 0x10
	s_load_b128 s[20:23], s[0:1], 0x78
	s_load_b256 s[12:19], s[0:1], 0x20
	s_load_b256 s[4:11], s[0:1], 0x58
	s_load_b128 s[24:27], s[0:1], 0x40
	s_load_b32 s1, s[0:1], 0x50
	v_and_b32_e32 v9, 7, v0
	s_lshl_b32 s0, ttmp7, 5
	v_lshl_add_u32 v2, v6, 4, v8
	s_and_b32 s0, s0, 0x1fffe0
	v_lshl_add_u32 v15, v6, 5, 0x400
	v_add_nc_u32_e32 v7, s0, v6
	v_lshlrev_b32_e32 v3, 2, v9
	v_and_b32_e32 v10, 31, v2
	v_lshrrev_b32_e32 v0, 3, v2
	v_lshrrev_b32_e32 v18, 5, v2
	s_mov_b32 s34, ttmp9
	s_ashr_i32 s35, ttmp9, 31
	v_lshlrev_b32_e32 v2, 2, v10
	v_lshl_or_b32 v11, v0, 5, v3
	s_lshl_b64 s[34:35], s[34:35], 5
	v_lshlrev_b32_e32 v14, 2, v8
	s_wait_kmcnt 0x0
	v_mad_co_u64_u32 v[4:5], null, v7, s20, 0
	v_lshl_or_b32 v12, v18, 7, v2
	v_mad_co_u64_u32 v[2:3], null, v7, s6, 0
	v_mad_co_u64_u32 v[0:1], null, s24, v9, v[0:1]
	v_add_nc_u32_e32 v13, 0x400, v11
	v_mad_co_u64_u32 v[5:6], null, v7, s21, v[5:6]
	s_cmp_eq_f32 s1, 0
	v_mad_co_u64_u32 v[6:7], null, v7, s7, v[3:4]
	v_add_co_u32 v0, vcc_lo, v0, s0
	s_mul_i32 s0, s14, s35
	v_add_co_u32 v7, s36, s34, v8
	s_delay_alu instid0(VALU_DEP_1) | instskip(SKIP_4) | instid1(VALU_DEP_4)
	v_add_co_ci_u32_e64 v8, null, s35, 0, s36
	v_mov_b32_e32 v3, v6
	v_or_b32_e32 v11, s34, v10
	v_mad_co_u64_u32 v[9:10], null, s25, v9, v[1:2]
	v_lshlrev_b64_e32 v[4:5], 2, v[4:5]
	v_lshlrev_b64_e32 v[2:3], 2, v[2:3]
	s_delay_alu instid0(VALU_DEP_4)
	v_mul_lo_u32 v6, s15, v11
	v_mad_co_u64_u32 v[10:11], null, s14, v11, 0
	s_cselect_b32 s33, -1, 0
	v_add_co_ci_u32_e64 v1, null, 0, v9, vcc_lo
	v_add_co_u32 v16, vcc_lo, s4, v2
	s_wait_alu 0xfffd
	v_add_co_ci_u32_e64 v17, null, s5, v3, vcc_lo
	s_wait_alu 0xfffe
	v_add3_u32 v11, v11, s0, v6
	v_lshlrev_b64_e32 v[0:1], 2, v[0:1]
	v_lshlrev_b32_e32 v6, 2, v18
	v_cmp_gt_i64_e64 s0, s[28:29], 0
	s_lshl_b64 s[20:21], s[20:21], 4
	v_lshlrev_b64_e32 v[2:3], 2, v[10:11]
	s_lshl_b64 s[36:37], s[6:7], 4
	v_add_co_u32 v0, vcc_lo, s18, v0
	s_wait_alu 0xfffd
	v_add_co_ci_u32_e64 v1, null, s19, v1, vcc_lo
	s_delay_alu instid0(VALU_DEP_3) | instskip(SKIP_3) | instid1(VALU_DEP_3)
	v_add_co_u32 v2, vcc_lo, v2, v6
	s_wait_alu 0xfffd
	v_add_co_ci_u32_e64 v3, null, 0, v3, vcc_lo
	v_cndmask_b32_e64 v9, 0, 1, s0
	v_add_co_u32 v2, vcc_lo, s12, v2
	v_lshlrev_b64_e32 v[6:7], 2, v[7:8]
	s_wait_alu 0xfffd
	v_add_co_ci_u32_e64 v3, null, s13, v3, vcc_lo
	v_cmp_ne_u32_e64 s0, 1, v9
	s_mov_b32 s3, 0
	s_lshl_b64 s[4:5], s[26:27], 2
	s_lshl_b64 s[6:7], s[24:25], 5
	;; [unrolled: 1-line block ×3, first 2 shown]
	s_wait_alu 0xfffe
	s_lshl_b64 s[14:15], s[36:37], 2
	s_lshl_b64 s[16:17], s[20:21], 2
	s_branch .LBB43_3
.LBB43_2:                               ;   in Loop: Header=BB43_3 Depth=1
	s_add_co_i32 s2, s2, 0x10000
	s_wait_alu 0xfffe
	s_cmp_lt_i32 s2, s31
	s_cbranch_scc0 .LBB43_10
.LBB43_3:                               ; =>This Loop Header: Depth=1
                                        ;     Child Loop BB43_5 Depth 2
	v_dual_mov_b32 v21, 0 :: v_dual_mov_b32 v20, 0
	v_dual_mov_b32 v19, 0 :: v_dual_mov_b32 v18, 0
	s_and_b32 vcc_lo, exec_lo, s0
	s_wait_alu 0xfffe
	s_cbranch_vccnz .LBB43_6
; %bb.4:                                ;   in Loop: Header=BB43_3 Depth=1
	v_mad_co_u64_u32 v[8:9], null, s4, s2, v[0:1]
	v_mad_co_u64_u32 v[10:11], null, s12, s2, v[2:3]
	v_dual_mov_b32 v18, 0 :: v_dual_mov_b32 v19, 0
	s_mov_b64 s[18:19], 0
	s_delay_alu instid0(VALU_DEP_2) | instskip(NEXT) | instid1(VALU_DEP_3)
	v_mad_co_u64_u32 v[21:22], null, s5, s2, v[9:10]
	v_mad_co_u64_u32 v[22:23], null, s13, s2, v[11:12]
	s_delay_alu instid0(VALU_DEP_2) | instskip(SKIP_1) | instid1(VALU_DEP_3)
	v_dual_mov_b32 v20, 0 :: v_dual_mov_b32 v9, v21
	v_mov_b32_e32 v21, 0
	v_mov_b32_e32 v11, v22
.LBB43_5:                               ;   Parent Loop BB43_3 Depth=1
                                        ; =>  This Inner Loop Header: Depth=2
	global_load_b32 v22, v[10:11], off
	global_load_b32 v23, v[8:9], off
	s_wait_alu 0xfffe
	s_add_nc_u64 s[18:19], s[18:19], 8
	v_add_co_u32 v8, vcc_lo, v8, s6
	s_wait_alu 0xfffe
	v_cmp_lt_i64_e64 s20, s[18:19], s[28:29]
	s_wait_alu 0xfffd
	v_add_co_ci_u32_e64 v9, null, s7, v9, vcc_lo
	v_add_co_u32 v10, vcc_lo, v10, 32
	s_wait_alu 0xfffd
	v_add_co_ci_u32_e64 v11, null, 0, v11, vcc_lo
	s_and_b32 vcc_lo, exec_lo, s20
	s_wait_loadcnt 0x1
	ds_store_b32 v12, v22
	s_wait_loadcnt 0x0
	ds_store_b32 v13, v23
	s_wait_dscnt 0x0
	s_barrier_signal -1
	s_barrier_wait -1
	global_inv scope:SCOPE_SE
	ds_load_b128 v[22:25], v15
	ds_load_2addr_b32 v[38:39], v14 offset1:16
	ds_load_b128 v[26:29], v15 offset:512
	ds_load_2addr_b32 v[40:41], v14 offset0:32 offset1:48
	ds_load_2addr_b32 v[42:43], v14 offset0:64 offset1:80
	;; [unrolled: 1-line block ×3, first 2 shown]
	ds_load_b128 v[30:33], v15 offset:16
	ds_load_2addr_b32 v[46:47], v14 offset0:128 offset1:144
	ds_load_b128 v[34:37], v15 offset:528
	s_wait_dscnt 0x7
	v_fmac_f32_e32 v20, v39, v22
	v_fmac_f32_e32 v21, v38, v22
	s_wait_dscnt 0x6
	v_fmac_f32_e32 v18, v39, v26
	v_fmac_f32_e32 v19, v38, v26
	ds_load_2addr_b32 v[38:39], v14 offset0:160 offset1:176
	s_wait_dscnt 0x6
	v_fmac_f32_e32 v20, v41, v23
	v_fmac_f32_e32 v21, v40, v23
	v_fmac_f32_e32 v18, v41, v27
	v_fmac_f32_e32 v19, v40, v27
	ds_load_2addr_b32 v[22:23], v14 offset0:192 offset1:208
	s_wait_dscnt 0x6
	v_fmac_f32_e32 v20, v43, v24
	v_fmac_f32_e32 v21, v42, v24
	;; [unrolled: 6-line block ×3, first 2 shown]
	v_fmac_f32_e32 v18, v45, v29
	v_fmac_f32_e32 v19, v44, v29
	s_wait_loadcnt_dscnt 0x0
	v_fmac_f32_e32 v20, v47, v30
	v_fmac_f32_e32 v21, v46, v30
	;; [unrolled: 1-line block ×4, first 2 shown]
	s_barrier_signal -1
	v_fmac_f32_e32 v20, v39, v31
	v_fmac_f32_e32 v21, v38, v31
	;; [unrolled: 1-line block ×4, first 2 shown]
	s_barrier_wait -1
	v_fmac_f32_e32 v20, v23, v32
	v_fmac_f32_e32 v21, v22, v32
	;; [unrolled: 1-line block ×4, first 2 shown]
	global_inv scope:SCOPE_SE
	v_fmac_f32_e32 v20, v27, v33
	v_fmac_f32_e32 v21, v26, v33
	;; [unrolled: 1-line block ×4, first 2 shown]
	s_wait_alu 0xfffe
	s_cbranch_vccnz .LBB43_5
.LBB43_6:                               ;   in Loop: Header=BB43_3 Depth=1
	s_mul_u64 s[18:19], s[22:23], s[2:3]
	s_and_not1_b32 vcc_lo, exec_lo, s33
	s_wait_alu 0xfffe
	s_lshl_b64 s[18:19], s[18:19], 2
	s_wait_alu 0xfffe
	s_add_nc_u64 s[18:19], s[10:11], s[18:19]
	s_cbranch_vccnz .LBB43_8
; %bb.7:                                ;   in Loop: Header=BB43_3 Depth=1
	s_wait_alu 0xfffe
	v_add_co_u32 v10, vcc_lo, s18, v4
	s_wait_alu 0xfffd
	v_add_co_ci_u32_e64 v11, null, s19, v5, vcc_lo
	v_dual_mul_f32 v22, s30, v21 :: v_dual_mul_f32 v23, s30, v20
	s_delay_alu instid0(VALU_DEP_3) | instskip(SKIP_1) | instid1(VALU_DEP_3)
	v_add_co_u32 v8, vcc_lo, v10, v6
	s_wait_alu 0xfffd
	v_add_co_ci_u32_e64 v9, null, v11, v7, vcc_lo
	v_add_co_u32 v10, vcc_lo, v10, s16
	s_wait_alu 0xfffd
	v_add_co_ci_u32_e64 v11, null, s17, v11, vcc_lo
	v_dual_mul_f32 v24, s30, v19 :: v_dual_mul_f32 v25, s30, v18
	s_delay_alu instid0(VALU_DEP_3) | instskip(SKIP_1) | instid1(VALU_DEP_3)
	v_add_co_u32 v10, vcc_lo, v10, v6
	s_wait_alu 0xfffd
	v_add_co_ci_u32_e64 v11, null, v11, v7, vcc_lo
	s_clause 0x3
	global_store_b32 v[8:9], v22, off
	global_store_b32 v[8:9], v23, off offset:64
	global_store_b32 v[10:11], v24, off
	global_store_b32 v[10:11], v25, off offset:64
	s_cbranch_execnz .LBB43_2
	s_branch .LBB43_9
.LBB43_8:                               ;   in Loop: Header=BB43_3 Depth=1
.LBB43_9:                               ;   in Loop: Header=BB43_3 Depth=1
	s_mul_u64 s[20:21], s[8:9], s[2:3]
	s_wait_alu 0xfffe
	s_lshl_b64 s[20:21], s[20:21], 2
	s_wait_alu 0xfffe
	v_add_co_u32 v22, vcc_lo, v16, s20
	s_wait_alu 0xfffd
	v_add_co_ci_u32_e64 v23, null, s21, v17, vcc_lo
	s_delay_alu instid0(VALU_DEP_2) | instskip(SKIP_1) | instid1(VALU_DEP_2)
	v_add_co_u32 v8, vcc_lo, v22, v6
	s_wait_alu 0xfffd
	v_add_co_ci_u32_e64 v9, null, v23, v7, vcc_lo
	v_add_co_u32 v24, vcc_lo, s18, v4
	s_wait_alu 0xfffd
	v_add_co_ci_u32_e64 v25, null, s19, v5, vcc_lo
	global_load_b32 v10, v[8:9], off
	s_wait_loadcnt 0x0
	v_mul_f32_e32 v26, s1, v10
	v_add_co_u32 v10, vcc_lo, v24, v6
	s_wait_alu 0xfffd
	v_add_co_ci_u32_e64 v11, null, v25, v7, vcc_lo
	s_delay_alu instid0(VALU_DEP_3)
	v_fmac_f32_e32 v26, s30, v21
	global_store_b32 v[10:11], v26, off
	global_load_b32 v8, v[8:9], off offset:64
	s_wait_loadcnt 0x0
	v_mul_f32_e32 v21, s1, v8
	v_add_co_u32 v8, vcc_lo, v22, s14
	s_wait_alu 0xfffd
	v_add_co_ci_u32_e64 v9, null, s15, v23, vcc_lo
	s_delay_alu instid0(VALU_DEP_3) | instskip(NEXT) | instid1(VALU_DEP_3)
	v_fmac_f32_e32 v21, s30, v20
	v_add_co_u32 v8, vcc_lo, v8, v6
	s_wait_alu 0xfffd
	s_delay_alu instid0(VALU_DEP_3)
	v_add_co_ci_u32_e64 v9, null, v9, v7, vcc_lo
	global_store_b32 v[10:11], v21, off offset:64
	global_load_b32 v10, v[8:9], off
	s_wait_loadcnt 0x0
	v_mul_f32_e32 v20, s1, v10
	v_add_co_u32 v10, vcc_lo, v24, s16
	s_wait_alu 0xfffd
	v_add_co_ci_u32_e64 v11, null, s17, v25, vcc_lo
	s_delay_alu instid0(VALU_DEP_3) | instskip(NEXT) | instid1(VALU_DEP_3)
	v_fmac_f32_e32 v20, s30, v19
	v_add_co_u32 v10, vcc_lo, v10, v6
	s_wait_alu 0xfffd
	s_delay_alu instid0(VALU_DEP_3) | instskip(SKIP_4) | instid1(VALU_DEP_1)
	v_add_co_ci_u32_e64 v11, null, v11, v7, vcc_lo
	global_store_b32 v[10:11], v20, off
	global_load_b32 v8, v[8:9], off offset:64
	s_wait_loadcnt 0x0
	v_mul_f32_e32 v8, s1, v8
	v_fmac_f32_e32 v8, s30, v18
	global_store_b32 v[10:11], v8, off offset:64
	s_branch .LBB43_2
.LBB43_10:
	s_endpgm
	.section	.rodata,"a",@progbits
	.p2align	6, 0x0
	.amdhsa_kernel _ZN12_GLOBAL__N_127rocblas_gemm_batched_kernelIfLi16ELi16ELi32ELi32ELi8ELi32ELi8ELi8ELi32ELc84ELc84EKfS1_fEEvlllT_PT11_llS4_llS2_PT12_llPT13_lli
		.amdhsa_group_segment_fixed_size 2048
		.amdhsa_private_segment_fixed_size 0
		.amdhsa_kernarg_size 140
		.amdhsa_user_sgpr_count 2
		.amdhsa_user_sgpr_dispatch_ptr 0
		.amdhsa_user_sgpr_queue_ptr 0
		.amdhsa_user_sgpr_kernarg_segment_ptr 1
		.amdhsa_user_sgpr_dispatch_id 0
		.amdhsa_user_sgpr_private_segment_size 0
		.amdhsa_wavefront_size32 1
		.amdhsa_uses_dynamic_stack 0
		.amdhsa_enable_private_segment 0
		.amdhsa_system_sgpr_workgroup_id_x 1
		.amdhsa_system_sgpr_workgroup_id_y 1
		.amdhsa_system_sgpr_workgroup_id_z 1
		.amdhsa_system_sgpr_workgroup_info 0
		.amdhsa_system_vgpr_workitem_id 1
		.amdhsa_next_free_vgpr 48
		.amdhsa_next_free_sgpr 38
		.amdhsa_reserve_vcc 1
		.amdhsa_float_round_mode_32 0
		.amdhsa_float_round_mode_16_64 0
		.amdhsa_float_denorm_mode_32 3
		.amdhsa_float_denorm_mode_16_64 3
		.amdhsa_fp16_overflow 0
		.amdhsa_workgroup_processor_mode 1
		.amdhsa_memory_ordered 1
		.amdhsa_forward_progress 1
		.amdhsa_inst_pref_size 13
		.amdhsa_round_robin_scheduling 0
		.amdhsa_exception_fp_ieee_invalid_op 0
		.amdhsa_exception_fp_denorm_src 0
		.amdhsa_exception_fp_ieee_div_zero 0
		.amdhsa_exception_fp_ieee_overflow 0
		.amdhsa_exception_fp_ieee_underflow 0
		.amdhsa_exception_fp_ieee_inexact 0
		.amdhsa_exception_int_div_zero 0
	.end_amdhsa_kernel
	.section	.text._ZN12_GLOBAL__N_127rocblas_gemm_batched_kernelIfLi16ELi16ELi32ELi32ELi8ELi32ELi8ELi8ELi32ELc84ELc84EKfS1_fEEvlllT_PT11_llS4_llS2_PT12_llPT13_lli,"axG",@progbits,_ZN12_GLOBAL__N_127rocblas_gemm_batched_kernelIfLi16ELi16ELi32ELi32ELi8ELi32ELi8ELi8ELi32ELc84ELc84EKfS1_fEEvlllT_PT11_llS4_llS2_PT12_llPT13_lli,comdat
.Lfunc_end43:
	.size	_ZN12_GLOBAL__N_127rocblas_gemm_batched_kernelIfLi16ELi16ELi32ELi32ELi8ELi32ELi8ELi8ELi32ELc84ELc84EKfS1_fEEvlllT_PT11_llS4_llS2_PT12_llPT13_lli, .Lfunc_end43-_ZN12_GLOBAL__N_127rocblas_gemm_batched_kernelIfLi16ELi16ELi32ELi32ELi8ELi32ELi8ELi8ELi32ELc84ELc84EKfS1_fEEvlllT_PT11_llS4_llS2_PT12_llPT13_lli
                                        ; -- End function
	.set _ZN12_GLOBAL__N_127rocblas_gemm_batched_kernelIfLi16ELi16ELi32ELi32ELi8ELi32ELi8ELi8ELi32ELc84ELc84EKfS1_fEEvlllT_PT11_llS4_llS2_PT12_llPT13_lli.num_vgpr, 48
	.set _ZN12_GLOBAL__N_127rocblas_gemm_batched_kernelIfLi16ELi16ELi32ELi32ELi8ELi32ELi8ELi8ELi32ELc84ELc84EKfS1_fEEvlllT_PT11_llS4_llS2_PT12_llPT13_lli.num_agpr, 0
	.set _ZN12_GLOBAL__N_127rocblas_gemm_batched_kernelIfLi16ELi16ELi32ELi32ELi8ELi32ELi8ELi8ELi32ELc84ELc84EKfS1_fEEvlllT_PT11_llS4_llS2_PT12_llPT13_lli.numbered_sgpr, 38
	.set _ZN12_GLOBAL__N_127rocblas_gemm_batched_kernelIfLi16ELi16ELi32ELi32ELi8ELi32ELi8ELi8ELi32ELc84ELc84EKfS1_fEEvlllT_PT11_llS4_llS2_PT12_llPT13_lli.num_named_barrier, 0
	.set _ZN12_GLOBAL__N_127rocblas_gemm_batched_kernelIfLi16ELi16ELi32ELi32ELi8ELi32ELi8ELi8ELi32ELc84ELc84EKfS1_fEEvlllT_PT11_llS4_llS2_PT12_llPT13_lli.private_seg_size, 0
	.set _ZN12_GLOBAL__N_127rocblas_gemm_batched_kernelIfLi16ELi16ELi32ELi32ELi8ELi32ELi8ELi8ELi32ELc84ELc84EKfS1_fEEvlllT_PT11_llS4_llS2_PT12_llPT13_lli.uses_vcc, 1
	.set _ZN12_GLOBAL__N_127rocblas_gemm_batched_kernelIfLi16ELi16ELi32ELi32ELi8ELi32ELi8ELi8ELi32ELc84ELc84EKfS1_fEEvlllT_PT11_llS4_llS2_PT12_llPT13_lli.uses_flat_scratch, 0
	.set _ZN12_GLOBAL__N_127rocblas_gemm_batched_kernelIfLi16ELi16ELi32ELi32ELi8ELi32ELi8ELi8ELi32ELc84ELc84EKfS1_fEEvlllT_PT11_llS4_llS2_PT12_llPT13_lli.has_dyn_sized_stack, 0
	.set _ZN12_GLOBAL__N_127rocblas_gemm_batched_kernelIfLi16ELi16ELi32ELi32ELi8ELi32ELi8ELi8ELi32ELc84ELc84EKfS1_fEEvlllT_PT11_llS4_llS2_PT12_llPT13_lli.has_recursion, 0
	.set _ZN12_GLOBAL__N_127rocblas_gemm_batched_kernelIfLi16ELi16ELi32ELi32ELi8ELi32ELi8ELi8ELi32ELc84ELc84EKfS1_fEEvlllT_PT11_llS4_llS2_PT12_llPT13_lli.has_indirect_call, 0
	.section	.AMDGPU.csdata,"",@progbits
; Kernel info:
; codeLenInByte = 1584
; TotalNumSgprs: 40
; NumVgprs: 48
; ScratchSize: 0
; MemoryBound: 0
; FloatMode: 240
; IeeeMode: 1
; LDSByteSize: 2048 bytes/workgroup (compile time only)
; SGPRBlocks: 0
; VGPRBlocks: 5
; NumSGPRsForWavesPerEU: 40
; NumVGPRsForWavesPerEU: 48
; Occupancy: 16
; WaveLimiterHint : 0
; COMPUTE_PGM_RSRC2:SCRATCH_EN: 0
; COMPUTE_PGM_RSRC2:USER_SGPR: 2
; COMPUTE_PGM_RSRC2:TRAP_HANDLER: 0
; COMPUTE_PGM_RSRC2:TGID_X_EN: 1
; COMPUTE_PGM_RSRC2:TGID_Y_EN: 1
; COMPUTE_PGM_RSRC2:TGID_Z_EN: 1
; COMPUTE_PGM_RSRC2:TIDIG_COMP_CNT: 1
	.section	.text._ZN12_GLOBAL__N_127rocblas_gemm_batched_kernelIfLi16ELi16ELi32ELi32ELi8ELi32ELi8ELi8ELi32ELc67ELc67EKfS1_fEEvlllT_PT11_llS4_llS2_PT12_llPT13_lli,"axG",@progbits,_ZN12_GLOBAL__N_127rocblas_gemm_batched_kernelIfLi16ELi16ELi32ELi32ELi8ELi32ELi8ELi8ELi32ELc67ELc67EKfS1_fEEvlllT_PT11_llS4_llS2_PT12_llPT13_lli,comdat
	.globl	_ZN12_GLOBAL__N_127rocblas_gemm_batched_kernelIfLi16ELi16ELi32ELi32ELi8ELi32ELi8ELi8ELi32ELc67ELc67EKfS1_fEEvlllT_PT11_llS4_llS2_PT12_llPT13_lli ; -- Begin function _ZN12_GLOBAL__N_127rocblas_gemm_batched_kernelIfLi16ELi16ELi32ELi32ELi8ELi32ELi8ELi8ELi32ELc67ELc67EKfS1_fEEvlllT_PT11_llS4_llS2_PT12_llPT13_lli
	.p2align	8
	.type	_ZN12_GLOBAL__N_127rocblas_gemm_batched_kernelIfLi16ELi16ELi32ELi32ELi8ELi32ELi8ELi8ELi32ELc67ELc67EKfS1_fEEvlllT_PT11_llS4_llS2_PT12_llPT13_lli,@function
_ZN12_GLOBAL__N_127rocblas_gemm_batched_kernelIfLi16ELi16ELi32ELi32ELi8ELi32ELi8ELi8ELi32ELc67ELc67EKfS1_fEEvlllT_PT11_llS4_llS2_PT12_llPT13_lli: ; @_ZN12_GLOBAL__N_127rocblas_gemm_batched_kernelIfLi16ELi16ELi32ELi32ELi8ELi32ELi8ELi8ELi32ELc67ELc67EKfS1_fEEvlllT_PT11_llS4_llS2_PT12_llPT13_lli
; %bb.0:
	s_load_b32 s31, s[0:1], 0x88
	s_lshr_b32 s2, ttmp7, 16
	s_wait_kmcnt 0x0
	s_cmp_ge_i32 s2, s31
	s_cbranch_scc1 .LBB44_10
; %bb.1:
	v_dual_mov_b32 v1, 0 :: v_dual_and_b32 v8, 0x3ff, v0
	v_bfe_u32 v6, v0, 10, 10
	s_clause 0x5
	s_load_b96 s[28:30], s[0:1], 0x10
	s_load_b128 s[20:23], s[0:1], 0x78
	s_load_b256 s[12:19], s[0:1], 0x20
	s_load_b256 s[4:11], s[0:1], 0x58
	s_load_b128 s[24:27], s[0:1], 0x40
	s_load_b32 s1, s[0:1], 0x50
	v_and_b32_e32 v9, 7, v0
	s_lshl_b32 s0, ttmp7, 5
	v_lshl_add_u32 v2, v6, 4, v8
	s_and_b32 s0, s0, 0x1fffe0
	v_lshl_add_u32 v15, v6, 5, 0x400
	v_add_nc_u32_e32 v7, s0, v6
	v_lshlrev_b32_e32 v3, 2, v9
	v_and_b32_e32 v10, 31, v2
	v_lshrrev_b32_e32 v0, 3, v2
	v_lshrrev_b32_e32 v18, 5, v2
	s_mov_b32 s34, ttmp9
	s_ashr_i32 s35, ttmp9, 31
	v_lshlrev_b32_e32 v2, 2, v10
	v_lshl_or_b32 v11, v0, 5, v3
	s_lshl_b64 s[34:35], s[34:35], 5
	v_lshlrev_b32_e32 v14, 2, v8
	s_wait_kmcnt 0x0
	v_mad_co_u64_u32 v[4:5], null, v7, s20, 0
	v_lshl_or_b32 v12, v18, 7, v2
	v_mad_co_u64_u32 v[2:3], null, v7, s6, 0
	v_mad_co_u64_u32 v[0:1], null, s24, v9, v[0:1]
	v_add_nc_u32_e32 v13, 0x400, v11
	v_mad_co_u64_u32 v[5:6], null, v7, s21, v[5:6]
	s_cmp_eq_f32 s1, 0
	v_mad_co_u64_u32 v[6:7], null, v7, s7, v[3:4]
	v_add_co_u32 v0, vcc_lo, v0, s0
	s_mul_i32 s0, s14, s35
	v_add_co_u32 v7, s36, s34, v8
	s_delay_alu instid0(VALU_DEP_1) | instskip(SKIP_4) | instid1(VALU_DEP_4)
	v_add_co_ci_u32_e64 v8, null, s35, 0, s36
	v_mov_b32_e32 v3, v6
	v_or_b32_e32 v11, s34, v10
	v_mad_co_u64_u32 v[9:10], null, s25, v9, v[1:2]
	v_lshlrev_b64_e32 v[4:5], 2, v[4:5]
	v_lshlrev_b64_e32 v[2:3], 2, v[2:3]
	s_delay_alu instid0(VALU_DEP_4)
	v_mul_lo_u32 v6, s15, v11
	v_mad_co_u64_u32 v[10:11], null, s14, v11, 0
	s_cselect_b32 s33, -1, 0
	v_add_co_ci_u32_e64 v1, null, 0, v9, vcc_lo
	v_add_co_u32 v16, vcc_lo, s4, v2
	s_wait_alu 0xfffd
	v_add_co_ci_u32_e64 v17, null, s5, v3, vcc_lo
	s_wait_alu 0xfffe
	v_add3_u32 v11, v11, s0, v6
	v_lshlrev_b64_e32 v[0:1], 2, v[0:1]
	v_lshlrev_b32_e32 v6, 2, v18
	v_cmp_gt_i64_e64 s0, s[28:29], 0
	s_lshl_b64 s[20:21], s[20:21], 4
	v_lshlrev_b64_e32 v[2:3], 2, v[10:11]
	s_lshl_b64 s[36:37], s[6:7], 4
	v_add_co_u32 v0, vcc_lo, s18, v0
	s_wait_alu 0xfffd
	v_add_co_ci_u32_e64 v1, null, s19, v1, vcc_lo
	s_delay_alu instid0(VALU_DEP_3) | instskip(SKIP_3) | instid1(VALU_DEP_3)
	v_add_co_u32 v2, vcc_lo, v2, v6
	s_wait_alu 0xfffd
	v_add_co_ci_u32_e64 v3, null, 0, v3, vcc_lo
	v_cndmask_b32_e64 v9, 0, 1, s0
	v_add_co_u32 v2, vcc_lo, s12, v2
	v_lshlrev_b64_e32 v[6:7], 2, v[7:8]
	s_wait_alu 0xfffd
	v_add_co_ci_u32_e64 v3, null, s13, v3, vcc_lo
	v_cmp_ne_u32_e64 s0, 1, v9
	s_mov_b32 s3, 0
	s_lshl_b64 s[4:5], s[26:27], 2
	s_lshl_b64 s[6:7], s[24:25], 5
	;; [unrolled: 1-line block ×3, first 2 shown]
	s_wait_alu 0xfffe
	s_lshl_b64 s[14:15], s[36:37], 2
	s_lshl_b64 s[16:17], s[20:21], 2
	s_branch .LBB44_3
.LBB44_2:                               ;   in Loop: Header=BB44_3 Depth=1
	s_add_co_i32 s2, s2, 0x10000
	s_wait_alu 0xfffe
	s_cmp_lt_i32 s2, s31
	s_cbranch_scc0 .LBB44_10
.LBB44_3:                               ; =>This Loop Header: Depth=1
                                        ;     Child Loop BB44_5 Depth 2
	v_dual_mov_b32 v21, 0 :: v_dual_mov_b32 v20, 0
	v_dual_mov_b32 v19, 0 :: v_dual_mov_b32 v18, 0
	s_and_b32 vcc_lo, exec_lo, s0
	s_wait_alu 0xfffe
	s_cbranch_vccnz .LBB44_6
; %bb.4:                                ;   in Loop: Header=BB44_3 Depth=1
	v_mad_co_u64_u32 v[8:9], null, s4, s2, v[0:1]
	v_mad_co_u64_u32 v[10:11], null, s12, s2, v[2:3]
	v_dual_mov_b32 v18, 0 :: v_dual_mov_b32 v19, 0
	s_mov_b64 s[18:19], 0
	s_delay_alu instid0(VALU_DEP_2) | instskip(NEXT) | instid1(VALU_DEP_3)
	v_mad_co_u64_u32 v[21:22], null, s5, s2, v[9:10]
	v_mad_co_u64_u32 v[22:23], null, s13, s2, v[11:12]
	s_delay_alu instid0(VALU_DEP_2) | instskip(SKIP_1) | instid1(VALU_DEP_3)
	v_dual_mov_b32 v20, 0 :: v_dual_mov_b32 v9, v21
	v_mov_b32_e32 v21, 0
	v_mov_b32_e32 v11, v22
.LBB44_5:                               ;   Parent Loop BB44_3 Depth=1
                                        ; =>  This Inner Loop Header: Depth=2
	global_load_b32 v22, v[10:11], off
	global_load_b32 v23, v[8:9], off
	s_wait_alu 0xfffe
	s_add_nc_u64 s[18:19], s[18:19], 8
	v_add_co_u32 v8, vcc_lo, v8, s6
	s_wait_alu 0xfffe
	v_cmp_lt_i64_e64 s20, s[18:19], s[28:29]
	s_wait_alu 0xfffd
	v_add_co_ci_u32_e64 v9, null, s7, v9, vcc_lo
	v_add_co_u32 v10, vcc_lo, v10, 32
	s_wait_alu 0xfffd
	v_add_co_ci_u32_e64 v11, null, 0, v11, vcc_lo
	s_and_b32 vcc_lo, exec_lo, s20
	s_wait_loadcnt 0x1
	ds_store_b32 v12, v22
	s_wait_loadcnt 0x0
	ds_store_b32 v13, v23
	s_wait_dscnt 0x0
	s_barrier_signal -1
	s_barrier_wait -1
	global_inv scope:SCOPE_SE
	ds_load_b128 v[22:25], v15
	ds_load_2addr_b32 v[38:39], v14 offset1:16
	ds_load_b128 v[26:29], v15 offset:512
	ds_load_2addr_b32 v[40:41], v14 offset0:32 offset1:48
	ds_load_2addr_b32 v[42:43], v14 offset0:64 offset1:80
	;; [unrolled: 1-line block ×3, first 2 shown]
	ds_load_b128 v[30:33], v15 offset:16
	ds_load_2addr_b32 v[46:47], v14 offset0:128 offset1:144
	ds_load_b128 v[34:37], v15 offset:528
	s_wait_dscnt 0x7
	v_fmac_f32_e32 v20, v39, v22
	v_fmac_f32_e32 v21, v38, v22
	s_wait_dscnt 0x6
	v_fmac_f32_e32 v18, v39, v26
	v_fmac_f32_e32 v19, v38, v26
	ds_load_2addr_b32 v[38:39], v14 offset0:160 offset1:176
	s_wait_dscnt 0x6
	v_fmac_f32_e32 v20, v41, v23
	v_fmac_f32_e32 v21, v40, v23
	v_fmac_f32_e32 v18, v41, v27
	v_fmac_f32_e32 v19, v40, v27
	ds_load_2addr_b32 v[22:23], v14 offset0:192 offset1:208
	s_wait_dscnt 0x6
	v_fmac_f32_e32 v20, v43, v24
	v_fmac_f32_e32 v21, v42, v24
	v_fmac_f32_e32 v18, v43, v28
	v_fmac_f32_e32 v19, v42, v28
	ds_load_2addr_b32 v[26:27], v14 offset0:224 offset1:240
	s_wait_dscnt 0x6
	v_fmac_f32_e32 v20, v45, v25
	v_fmac_f32_e32 v21, v44, v25
	v_fmac_f32_e32 v18, v45, v29
	v_fmac_f32_e32 v19, v44, v29
	s_wait_loadcnt_dscnt 0x0
	v_fmac_f32_e32 v20, v47, v30
	v_fmac_f32_e32 v21, v46, v30
	;; [unrolled: 1-line block ×4, first 2 shown]
	s_barrier_signal -1
	v_fmac_f32_e32 v20, v39, v31
	v_fmac_f32_e32 v21, v38, v31
	;; [unrolled: 1-line block ×4, first 2 shown]
	s_barrier_wait -1
	v_fmac_f32_e32 v20, v23, v32
	v_fmac_f32_e32 v21, v22, v32
	;; [unrolled: 1-line block ×4, first 2 shown]
	global_inv scope:SCOPE_SE
	v_fmac_f32_e32 v20, v27, v33
	v_fmac_f32_e32 v21, v26, v33
	;; [unrolled: 1-line block ×4, first 2 shown]
	s_wait_alu 0xfffe
	s_cbranch_vccnz .LBB44_5
.LBB44_6:                               ;   in Loop: Header=BB44_3 Depth=1
	s_mul_u64 s[18:19], s[22:23], s[2:3]
	s_and_not1_b32 vcc_lo, exec_lo, s33
	s_wait_alu 0xfffe
	s_lshl_b64 s[18:19], s[18:19], 2
	s_wait_alu 0xfffe
	s_add_nc_u64 s[18:19], s[10:11], s[18:19]
	s_cbranch_vccnz .LBB44_8
; %bb.7:                                ;   in Loop: Header=BB44_3 Depth=1
	s_wait_alu 0xfffe
	v_add_co_u32 v10, vcc_lo, s18, v4
	s_wait_alu 0xfffd
	v_add_co_ci_u32_e64 v11, null, s19, v5, vcc_lo
	v_dual_mul_f32 v22, s30, v21 :: v_dual_mul_f32 v23, s30, v20
	s_delay_alu instid0(VALU_DEP_3) | instskip(SKIP_1) | instid1(VALU_DEP_3)
	v_add_co_u32 v8, vcc_lo, v10, v6
	s_wait_alu 0xfffd
	v_add_co_ci_u32_e64 v9, null, v11, v7, vcc_lo
	v_add_co_u32 v10, vcc_lo, v10, s16
	s_wait_alu 0xfffd
	v_add_co_ci_u32_e64 v11, null, s17, v11, vcc_lo
	v_dual_mul_f32 v24, s30, v19 :: v_dual_mul_f32 v25, s30, v18
	s_delay_alu instid0(VALU_DEP_3) | instskip(SKIP_1) | instid1(VALU_DEP_3)
	v_add_co_u32 v10, vcc_lo, v10, v6
	s_wait_alu 0xfffd
	v_add_co_ci_u32_e64 v11, null, v11, v7, vcc_lo
	s_clause 0x3
	global_store_b32 v[8:9], v22, off
	global_store_b32 v[8:9], v23, off offset:64
	global_store_b32 v[10:11], v24, off
	global_store_b32 v[10:11], v25, off offset:64
	s_cbranch_execnz .LBB44_2
	s_branch .LBB44_9
.LBB44_8:                               ;   in Loop: Header=BB44_3 Depth=1
.LBB44_9:                               ;   in Loop: Header=BB44_3 Depth=1
	s_mul_u64 s[20:21], s[8:9], s[2:3]
	s_wait_alu 0xfffe
	s_lshl_b64 s[20:21], s[20:21], 2
	s_wait_alu 0xfffe
	v_add_co_u32 v22, vcc_lo, v16, s20
	s_wait_alu 0xfffd
	v_add_co_ci_u32_e64 v23, null, s21, v17, vcc_lo
	s_delay_alu instid0(VALU_DEP_2) | instskip(SKIP_1) | instid1(VALU_DEP_2)
	v_add_co_u32 v8, vcc_lo, v22, v6
	s_wait_alu 0xfffd
	v_add_co_ci_u32_e64 v9, null, v23, v7, vcc_lo
	v_add_co_u32 v24, vcc_lo, s18, v4
	s_wait_alu 0xfffd
	v_add_co_ci_u32_e64 v25, null, s19, v5, vcc_lo
	global_load_b32 v10, v[8:9], off
	s_wait_loadcnt 0x0
	v_mul_f32_e32 v26, s1, v10
	v_add_co_u32 v10, vcc_lo, v24, v6
	s_wait_alu 0xfffd
	v_add_co_ci_u32_e64 v11, null, v25, v7, vcc_lo
	s_delay_alu instid0(VALU_DEP_3)
	v_fmac_f32_e32 v26, s30, v21
	global_store_b32 v[10:11], v26, off
	global_load_b32 v8, v[8:9], off offset:64
	s_wait_loadcnt 0x0
	v_mul_f32_e32 v21, s1, v8
	v_add_co_u32 v8, vcc_lo, v22, s14
	s_wait_alu 0xfffd
	v_add_co_ci_u32_e64 v9, null, s15, v23, vcc_lo
	s_delay_alu instid0(VALU_DEP_3) | instskip(NEXT) | instid1(VALU_DEP_3)
	v_fmac_f32_e32 v21, s30, v20
	v_add_co_u32 v8, vcc_lo, v8, v6
	s_wait_alu 0xfffd
	s_delay_alu instid0(VALU_DEP_3)
	v_add_co_ci_u32_e64 v9, null, v9, v7, vcc_lo
	global_store_b32 v[10:11], v21, off offset:64
	global_load_b32 v10, v[8:9], off
	s_wait_loadcnt 0x0
	v_mul_f32_e32 v20, s1, v10
	v_add_co_u32 v10, vcc_lo, v24, s16
	s_wait_alu 0xfffd
	v_add_co_ci_u32_e64 v11, null, s17, v25, vcc_lo
	s_delay_alu instid0(VALU_DEP_3) | instskip(NEXT) | instid1(VALU_DEP_3)
	v_fmac_f32_e32 v20, s30, v19
	v_add_co_u32 v10, vcc_lo, v10, v6
	s_wait_alu 0xfffd
	s_delay_alu instid0(VALU_DEP_3) | instskip(SKIP_4) | instid1(VALU_DEP_1)
	v_add_co_ci_u32_e64 v11, null, v11, v7, vcc_lo
	global_store_b32 v[10:11], v20, off
	global_load_b32 v8, v[8:9], off offset:64
	s_wait_loadcnt 0x0
	v_mul_f32_e32 v8, s1, v8
	v_fmac_f32_e32 v8, s30, v18
	global_store_b32 v[10:11], v8, off offset:64
	s_branch .LBB44_2
.LBB44_10:
	s_endpgm
	.section	.rodata,"a",@progbits
	.p2align	6, 0x0
	.amdhsa_kernel _ZN12_GLOBAL__N_127rocblas_gemm_batched_kernelIfLi16ELi16ELi32ELi32ELi8ELi32ELi8ELi8ELi32ELc67ELc67EKfS1_fEEvlllT_PT11_llS4_llS2_PT12_llPT13_lli
		.amdhsa_group_segment_fixed_size 2048
		.amdhsa_private_segment_fixed_size 0
		.amdhsa_kernarg_size 140
		.amdhsa_user_sgpr_count 2
		.amdhsa_user_sgpr_dispatch_ptr 0
		.amdhsa_user_sgpr_queue_ptr 0
		.amdhsa_user_sgpr_kernarg_segment_ptr 1
		.amdhsa_user_sgpr_dispatch_id 0
		.amdhsa_user_sgpr_private_segment_size 0
		.amdhsa_wavefront_size32 1
		.amdhsa_uses_dynamic_stack 0
		.amdhsa_enable_private_segment 0
		.amdhsa_system_sgpr_workgroup_id_x 1
		.amdhsa_system_sgpr_workgroup_id_y 1
		.amdhsa_system_sgpr_workgroup_id_z 1
		.amdhsa_system_sgpr_workgroup_info 0
		.amdhsa_system_vgpr_workitem_id 1
		.amdhsa_next_free_vgpr 48
		.amdhsa_next_free_sgpr 38
		.amdhsa_reserve_vcc 1
		.amdhsa_float_round_mode_32 0
		.amdhsa_float_round_mode_16_64 0
		.amdhsa_float_denorm_mode_32 3
		.amdhsa_float_denorm_mode_16_64 3
		.amdhsa_fp16_overflow 0
		.amdhsa_workgroup_processor_mode 1
		.amdhsa_memory_ordered 1
		.amdhsa_forward_progress 1
		.amdhsa_inst_pref_size 13
		.amdhsa_round_robin_scheduling 0
		.amdhsa_exception_fp_ieee_invalid_op 0
		.amdhsa_exception_fp_denorm_src 0
		.amdhsa_exception_fp_ieee_div_zero 0
		.amdhsa_exception_fp_ieee_overflow 0
		.amdhsa_exception_fp_ieee_underflow 0
		.amdhsa_exception_fp_ieee_inexact 0
		.amdhsa_exception_int_div_zero 0
	.end_amdhsa_kernel
	.section	.text._ZN12_GLOBAL__N_127rocblas_gemm_batched_kernelIfLi16ELi16ELi32ELi32ELi8ELi32ELi8ELi8ELi32ELc67ELc67EKfS1_fEEvlllT_PT11_llS4_llS2_PT12_llPT13_lli,"axG",@progbits,_ZN12_GLOBAL__N_127rocblas_gemm_batched_kernelIfLi16ELi16ELi32ELi32ELi8ELi32ELi8ELi8ELi32ELc67ELc67EKfS1_fEEvlllT_PT11_llS4_llS2_PT12_llPT13_lli,comdat
.Lfunc_end44:
	.size	_ZN12_GLOBAL__N_127rocblas_gemm_batched_kernelIfLi16ELi16ELi32ELi32ELi8ELi32ELi8ELi8ELi32ELc67ELc67EKfS1_fEEvlllT_PT11_llS4_llS2_PT12_llPT13_lli, .Lfunc_end44-_ZN12_GLOBAL__N_127rocblas_gemm_batched_kernelIfLi16ELi16ELi32ELi32ELi8ELi32ELi8ELi8ELi32ELc67ELc67EKfS1_fEEvlllT_PT11_llS4_llS2_PT12_llPT13_lli
                                        ; -- End function
	.set _ZN12_GLOBAL__N_127rocblas_gemm_batched_kernelIfLi16ELi16ELi32ELi32ELi8ELi32ELi8ELi8ELi32ELc67ELc67EKfS1_fEEvlllT_PT11_llS4_llS2_PT12_llPT13_lli.num_vgpr, 48
	.set _ZN12_GLOBAL__N_127rocblas_gemm_batched_kernelIfLi16ELi16ELi32ELi32ELi8ELi32ELi8ELi8ELi32ELc67ELc67EKfS1_fEEvlllT_PT11_llS4_llS2_PT12_llPT13_lli.num_agpr, 0
	.set _ZN12_GLOBAL__N_127rocblas_gemm_batched_kernelIfLi16ELi16ELi32ELi32ELi8ELi32ELi8ELi8ELi32ELc67ELc67EKfS1_fEEvlllT_PT11_llS4_llS2_PT12_llPT13_lli.numbered_sgpr, 38
	.set _ZN12_GLOBAL__N_127rocblas_gemm_batched_kernelIfLi16ELi16ELi32ELi32ELi8ELi32ELi8ELi8ELi32ELc67ELc67EKfS1_fEEvlllT_PT11_llS4_llS2_PT12_llPT13_lli.num_named_barrier, 0
	.set _ZN12_GLOBAL__N_127rocblas_gemm_batched_kernelIfLi16ELi16ELi32ELi32ELi8ELi32ELi8ELi8ELi32ELc67ELc67EKfS1_fEEvlllT_PT11_llS4_llS2_PT12_llPT13_lli.private_seg_size, 0
	.set _ZN12_GLOBAL__N_127rocblas_gemm_batched_kernelIfLi16ELi16ELi32ELi32ELi8ELi32ELi8ELi8ELi32ELc67ELc67EKfS1_fEEvlllT_PT11_llS4_llS2_PT12_llPT13_lli.uses_vcc, 1
	.set _ZN12_GLOBAL__N_127rocblas_gemm_batched_kernelIfLi16ELi16ELi32ELi32ELi8ELi32ELi8ELi8ELi32ELc67ELc67EKfS1_fEEvlllT_PT11_llS4_llS2_PT12_llPT13_lli.uses_flat_scratch, 0
	.set _ZN12_GLOBAL__N_127rocblas_gemm_batched_kernelIfLi16ELi16ELi32ELi32ELi8ELi32ELi8ELi8ELi32ELc67ELc67EKfS1_fEEvlllT_PT11_llS4_llS2_PT12_llPT13_lli.has_dyn_sized_stack, 0
	.set _ZN12_GLOBAL__N_127rocblas_gemm_batched_kernelIfLi16ELi16ELi32ELi32ELi8ELi32ELi8ELi8ELi32ELc67ELc67EKfS1_fEEvlllT_PT11_llS4_llS2_PT12_llPT13_lli.has_recursion, 0
	.set _ZN12_GLOBAL__N_127rocblas_gemm_batched_kernelIfLi16ELi16ELi32ELi32ELi8ELi32ELi8ELi8ELi32ELc67ELc67EKfS1_fEEvlllT_PT11_llS4_llS2_PT12_llPT13_lli.has_indirect_call, 0
	.section	.AMDGPU.csdata,"",@progbits
; Kernel info:
; codeLenInByte = 1584
; TotalNumSgprs: 40
; NumVgprs: 48
; ScratchSize: 0
; MemoryBound: 0
; FloatMode: 240
; IeeeMode: 1
; LDSByteSize: 2048 bytes/workgroup (compile time only)
; SGPRBlocks: 0
; VGPRBlocks: 5
; NumSGPRsForWavesPerEU: 40
; NumVGPRsForWavesPerEU: 48
; Occupancy: 16
; WaveLimiterHint : 0
; COMPUTE_PGM_RSRC2:SCRATCH_EN: 0
; COMPUTE_PGM_RSRC2:USER_SGPR: 2
; COMPUTE_PGM_RSRC2:TRAP_HANDLER: 0
; COMPUTE_PGM_RSRC2:TGID_X_EN: 1
; COMPUTE_PGM_RSRC2:TGID_Y_EN: 1
; COMPUTE_PGM_RSRC2:TGID_Z_EN: 1
; COMPUTE_PGM_RSRC2:TIDIG_COMP_CNT: 1
	.section	.text._ZN12_GLOBAL__N_127rocblas_gemm_batched_kernelIfLi16ELi16ELi32ELi32ELi8ELi32ELi8ELi8ELi32ELc67ELc78EKfS1_fEEvlllT_PT11_llS4_llS2_PT12_llPT13_lli,"axG",@progbits,_ZN12_GLOBAL__N_127rocblas_gemm_batched_kernelIfLi16ELi16ELi32ELi32ELi8ELi32ELi8ELi8ELi32ELc67ELc78EKfS1_fEEvlllT_PT11_llS4_llS2_PT12_llPT13_lli,comdat
	.globl	_ZN12_GLOBAL__N_127rocblas_gemm_batched_kernelIfLi16ELi16ELi32ELi32ELi8ELi32ELi8ELi8ELi32ELc67ELc78EKfS1_fEEvlllT_PT11_llS4_llS2_PT12_llPT13_lli ; -- Begin function _ZN12_GLOBAL__N_127rocblas_gemm_batched_kernelIfLi16ELi16ELi32ELi32ELi8ELi32ELi8ELi8ELi32ELc67ELc78EKfS1_fEEvlllT_PT11_llS4_llS2_PT12_llPT13_lli
	.p2align	8
	.type	_ZN12_GLOBAL__N_127rocblas_gemm_batched_kernelIfLi16ELi16ELi32ELi32ELi8ELi32ELi8ELi8ELi32ELc67ELc78EKfS1_fEEvlllT_PT11_llS4_llS2_PT12_llPT13_lli,@function
_ZN12_GLOBAL__N_127rocblas_gemm_batched_kernelIfLi16ELi16ELi32ELi32ELi8ELi32ELi8ELi8ELi32ELc67ELc78EKfS1_fEEvlllT_PT11_llS4_llS2_PT12_llPT13_lli: ; @_ZN12_GLOBAL__N_127rocblas_gemm_batched_kernelIfLi16ELi16ELi32ELi32ELi8ELi32ELi8ELi8ELi32ELc67ELc78EKfS1_fEEvlllT_PT11_llS4_llS2_PT12_llPT13_lli
; %bb.0:
	s_load_b32 s27, s[0:1], 0x88
	s_lshr_b32 s28, ttmp7, 16
	s_wait_kmcnt 0x0
	s_cmp_ge_i32 s28, s27
	s_cbranch_scc1 .LBB45_10
; %bb.1:
	v_and_b32_e32 v10, 0x3ff, v0
	v_bfe_u32 v8, v0, 10, 10
	s_clause 0x5
	s_load_b256 s[4:11], s[0:1], 0x58
	s_load_b96 s[24:26], s[0:1], 0x10
	s_load_b256 s[12:19], s[0:1], 0x20
	s_load_b128 s[20:23], s[0:1], 0x40
	s_load_b32 s30, s[0:1], 0x50
	s_load_b128 s[0:3], s[0:1], 0x78
	v_lshlrev_b32_e32 v0, 2, v0
	s_lshl_b32 s29, ttmp7, 5
	v_lshl_add_u32 v1, v8, 4, v10
	s_and_b32 s29, s29, 0x1fffe0
	s_mov_b32 s34, ttmp9
	v_and_b32_e32 v18, 28, v0
	v_add_nc_u32_e32 v9, s29, v8
	v_and_b32_e32 v11, 31, v1
	v_lshrrev_b32_e32 v2, 3, v1
	v_lshrrev_b32_e32 v19, 5, v1
	s_ashr_i32 s35, ttmp9, 31
	v_lshl_add_u32 v15, v8, 5, 0x400
	v_lshlrev_b32_e32 v3, 2, v11
	v_lshl_or_b32 v4, v2, 5, v18
	v_add_nc_u32_e32 v16, s29, v2
	s_lshl_b64 s[34:35], s[34:35], 5
	s_wait_kmcnt 0x0
	v_mad_co_u64_u32 v[0:1], null, v9, s6, 0
	v_lshl_or_b32 v12, v19, 7, v3
	v_add_nc_u32_e32 v13, 0x400, v4
	v_mad_co_u64_u32 v[4:5], null, v9, s0, 0
	v_mad_co_u64_u32 v[2:3], null, s20, v16, 0
	s_cmp_eq_f32 s30, 0
	s_mov_b32 s29, 0
	s_cselect_b32 s20, -1, 0
	s_lshl_b64 s[36:37], s[0:1], 4
	v_mad_co_u64_u32 v[6:7], null, v9, s7, v[1:2]
	v_mov_b32_e32 v1, v5
	s_mul_i32 s0, s14, s35
	v_lshlrev_b32_e32 v14, 2, v10
	s_lshl_b64 s[38:39], s[6:7], 4
	s_lshl_b64 s[6:7], s[16:17], 2
	v_mad_co_u64_u32 v[7:8], null, v9, s1, v[1:2]
	v_mad_co_u64_u32 v[8:9], null, s21, v16, v[3:4]
	v_mov_b32_e32 v1, v6
	v_or_b32_e32 v6, s34, v11
	v_add_co_u32 v9, s21, s34, v10
	v_mov_b32_e32 v5, v7
	s_delay_alu instid0(VALU_DEP_4)
	v_lshlrev_b64_e32 v[0:1], 2, v[0:1]
	v_mov_b32_e32 v3, v8
	v_mul_lo_u32 v8, s15, v6
	v_mad_co_u64_u32 v[6:7], null, s14, v6, 0
	s_wait_alu 0xf1ff
	v_add_co_ci_u32_e64 v10, null, s35, 0, s21
	v_lshlrev_b64_e32 v[2:3], 2, v[2:3]
	v_add_co_u32 v16, vcc_lo, s4, v0
	s_delay_alu instid0(VALU_DEP_1) | instskip(SKIP_2) | instid1(VALU_DEP_4)
	v_add_co_ci_u32_e64 v17, null, s5, v1, vcc_lo
	s_wait_alu 0xfffe
	v_add3_u32 v7, v7, s0, v8
	v_add_co_u32 v0, vcc_lo, v2, v18
	s_wait_alu 0xfffd
	v_add_co_ci_u32_e64 v1, null, 0, v3, vcc_lo
	s_delay_alu instid0(VALU_DEP_3)
	v_lshlrev_b64_e32 v[2:3], 2, v[6:7]
	v_lshlrev_b32_e32 v6, 2, v19
	v_cmp_gt_i64_e64 s0, s[24:25], 0
	v_add_co_u32 v0, vcc_lo, s18, v0
	s_wait_alu 0xfffd
	v_add_co_ci_u32_e64 v1, null, s19, v1, vcc_lo
	v_add_co_u32 v2, vcc_lo, v2, v6
	s_wait_alu 0xfffd
	v_add_co_ci_u32_e64 v3, null, 0, v3, vcc_lo
	s_wait_alu 0xf1ff
	v_cndmask_b32_e64 v8, 0, 1, s0
	v_add_co_u32 v2, vcc_lo, s12, v2
	v_lshlrev_b64_e32 v[4:5], 2, v[4:5]
	v_lshlrev_b64_e32 v[6:7], 2, v[9:10]
	s_wait_alu 0xfffd
	v_add_co_ci_u32_e64 v3, null, s13, v3, vcc_lo
	v_cmp_ne_u32_e64 s0, 1, v8
	s_lshl_b64 s[4:5], s[22:23], 2
	s_lshl_b64 s[12:13], s[38:39], 2
	;; [unrolled: 1-line block ×3, first 2 shown]
	s_branch .LBB45_3
.LBB45_2:                               ;   in Loop: Header=BB45_3 Depth=1
	s_add_co_i32 s28, s28, 0x10000
	s_wait_alu 0xfffe
	s_cmp_lt_i32 s28, s27
	s_cbranch_scc0 .LBB45_10
.LBB45_3:                               ; =>This Loop Header: Depth=1
                                        ;     Child Loop BB45_5 Depth 2
	v_dual_mov_b32 v21, 0 :: v_dual_mov_b32 v20, 0
	v_dual_mov_b32 v19, 0 :: v_dual_mov_b32 v18, 0
	s_and_b32 vcc_lo, exec_lo, s0
	s_wait_alu 0xfffe
	s_cbranch_vccnz .LBB45_6
; %bb.4:                                ;   in Loop: Header=BB45_3 Depth=1
	v_mad_co_u64_u32 v[8:9], null, s4, s28, v[0:1]
	v_mad_co_u64_u32 v[10:11], null, s6, s28, v[2:3]
	v_dual_mov_b32 v18, 0 :: v_dual_mov_b32 v19, 0
	s_mov_b64 s[16:17], 0
	s_delay_alu instid0(VALU_DEP_2) | instskip(NEXT) | instid1(VALU_DEP_3)
	v_mad_co_u64_u32 v[21:22], null, s5, s28, v[9:10]
	v_mad_co_u64_u32 v[22:23], null, s7, s28, v[11:12]
	s_delay_alu instid0(VALU_DEP_2) | instskip(SKIP_1) | instid1(VALU_DEP_3)
	v_dual_mov_b32 v20, 0 :: v_dual_mov_b32 v9, v21
	v_mov_b32_e32 v21, 0
	v_mov_b32_e32 v11, v22
.LBB45_5:                               ;   Parent Loop BB45_3 Depth=1
                                        ; =>  This Inner Loop Header: Depth=2
	global_load_b32 v22, v[10:11], off
	global_load_b32 v23, v[8:9], off
	s_wait_alu 0xfffe
	s_add_nc_u64 s[16:17], s[16:17], 8
	v_add_co_u32 v8, vcc_lo, v8, 32
	s_wait_alu 0xfffe
	v_cmp_lt_i64_e64 s1, s[16:17], s[24:25]
	s_wait_alu 0xfffd
	v_add_co_ci_u32_e64 v9, null, 0, v9, vcc_lo
	v_add_co_u32 v10, vcc_lo, v10, 32
	s_wait_alu 0xfffd
	v_add_co_ci_u32_e64 v11, null, 0, v11, vcc_lo
	s_and_b32 vcc_lo, exec_lo, s1
	s_wait_loadcnt 0x1
	ds_store_b32 v12, v22
	s_wait_loadcnt 0x0
	ds_store_b32 v13, v23
	s_wait_dscnt 0x0
	s_barrier_signal -1
	s_barrier_wait -1
	global_inv scope:SCOPE_SE
	ds_load_b128 v[22:25], v15
	ds_load_2addr_b32 v[38:39], v14 offset1:16
	ds_load_b128 v[26:29], v15 offset:512
	ds_load_2addr_b32 v[40:41], v14 offset0:32 offset1:48
	ds_load_2addr_b32 v[42:43], v14 offset0:64 offset1:80
	;; [unrolled: 1-line block ×3, first 2 shown]
	ds_load_b128 v[30:33], v15 offset:16
	ds_load_2addr_b32 v[46:47], v14 offset0:128 offset1:144
	ds_load_b128 v[34:37], v15 offset:528
	s_wait_dscnt 0x7
	v_fmac_f32_e32 v20, v39, v22
	v_fmac_f32_e32 v21, v38, v22
	s_wait_dscnt 0x6
	v_fmac_f32_e32 v18, v39, v26
	v_fmac_f32_e32 v19, v38, v26
	ds_load_2addr_b32 v[38:39], v14 offset0:160 offset1:176
	s_wait_dscnt 0x6
	v_fmac_f32_e32 v20, v41, v23
	v_fmac_f32_e32 v21, v40, v23
	v_fmac_f32_e32 v18, v41, v27
	v_fmac_f32_e32 v19, v40, v27
	ds_load_2addr_b32 v[22:23], v14 offset0:192 offset1:208
	s_wait_dscnt 0x6
	v_fmac_f32_e32 v20, v43, v24
	v_fmac_f32_e32 v21, v42, v24
	;; [unrolled: 6-line block ×3, first 2 shown]
	v_fmac_f32_e32 v18, v45, v29
	v_fmac_f32_e32 v19, v44, v29
	s_wait_loadcnt_dscnt 0x0
	v_fmac_f32_e32 v20, v47, v30
	v_fmac_f32_e32 v21, v46, v30
	;; [unrolled: 1-line block ×4, first 2 shown]
	s_barrier_signal -1
	v_fmac_f32_e32 v20, v39, v31
	v_fmac_f32_e32 v21, v38, v31
	;; [unrolled: 1-line block ×4, first 2 shown]
	s_barrier_wait -1
	v_fmac_f32_e32 v20, v23, v32
	v_fmac_f32_e32 v21, v22, v32
	;; [unrolled: 1-line block ×4, first 2 shown]
	global_inv scope:SCOPE_SE
	v_fmac_f32_e32 v20, v27, v33
	v_fmac_f32_e32 v21, v26, v33
	v_fmac_f32_e32 v18, v27, v37
	v_fmac_f32_e32 v19, v26, v37
	s_wait_alu 0xfffe
	s_cbranch_vccnz .LBB45_5
.LBB45_6:                               ;   in Loop: Header=BB45_3 Depth=1
	s_mul_u64 s[16:17], s[2:3], s[28:29]
	s_and_not1_b32 vcc_lo, exec_lo, s20
	s_wait_alu 0xfffe
	s_lshl_b64 s[16:17], s[16:17], 2
	s_wait_alu 0xfffe
	s_add_nc_u64 s[16:17], s[10:11], s[16:17]
	s_cbranch_vccnz .LBB45_8
; %bb.7:                                ;   in Loop: Header=BB45_3 Depth=1
	s_wait_alu 0xfffe
	v_add_co_u32 v10, vcc_lo, s16, v4
	s_wait_alu 0xfffd
	v_add_co_ci_u32_e64 v11, null, s17, v5, vcc_lo
	v_dual_mul_f32 v22, s26, v21 :: v_dual_mul_f32 v23, s26, v20
	s_delay_alu instid0(VALU_DEP_3) | instskip(SKIP_1) | instid1(VALU_DEP_3)
	v_add_co_u32 v8, vcc_lo, v10, v6
	s_wait_alu 0xfffd
	v_add_co_ci_u32_e64 v9, null, v11, v7, vcc_lo
	v_add_co_u32 v10, vcc_lo, v10, s14
	s_wait_alu 0xfffd
	v_add_co_ci_u32_e64 v11, null, s15, v11, vcc_lo
	v_dual_mul_f32 v24, s26, v19 :: v_dual_mul_f32 v25, s26, v18
	s_delay_alu instid0(VALU_DEP_3) | instskip(SKIP_1) | instid1(VALU_DEP_3)
	v_add_co_u32 v10, vcc_lo, v10, v6
	s_wait_alu 0xfffd
	v_add_co_ci_u32_e64 v11, null, v11, v7, vcc_lo
	s_clause 0x3
	global_store_b32 v[8:9], v22, off
	global_store_b32 v[8:9], v23, off offset:64
	global_store_b32 v[10:11], v24, off
	global_store_b32 v[10:11], v25, off offset:64
	s_cbranch_execnz .LBB45_2
	s_branch .LBB45_9
.LBB45_8:                               ;   in Loop: Header=BB45_3 Depth=1
.LBB45_9:                               ;   in Loop: Header=BB45_3 Depth=1
	s_mul_u64 s[18:19], s[8:9], s[28:29]
	s_wait_alu 0xfffe
	s_lshl_b64 s[18:19], s[18:19], 2
	s_wait_alu 0xfffe
	v_add_co_u32 v22, vcc_lo, v16, s18
	s_wait_alu 0xfffd
	v_add_co_ci_u32_e64 v23, null, s19, v17, vcc_lo
	s_delay_alu instid0(VALU_DEP_2) | instskip(SKIP_1) | instid1(VALU_DEP_2)
	v_add_co_u32 v8, vcc_lo, v22, v6
	s_wait_alu 0xfffd
	v_add_co_ci_u32_e64 v9, null, v23, v7, vcc_lo
	v_add_co_u32 v24, vcc_lo, s16, v4
	s_wait_alu 0xfffd
	v_add_co_ci_u32_e64 v25, null, s17, v5, vcc_lo
	global_load_b32 v10, v[8:9], off
	s_wait_loadcnt 0x0
	v_mul_f32_e32 v26, s30, v10
	v_add_co_u32 v10, vcc_lo, v24, v6
	s_wait_alu 0xfffd
	v_add_co_ci_u32_e64 v11, null, v25, v7, vcc_lo
	s_delay_alu instid0(VALU_DEP_3)
	v_fmac_f32_e32 v26, s26, v21
	global_store_b32 v[10:11], v26, off
	global_load_b32 v8, v[8:9], off offset:64
	s_wait_loadcnt 0x0
	v_mul_f32_e32 v21, s30, v8
	v_add_co_u32 v8, vcc_lo, v22, s12
	s_wait_alu 0xfffd
	v_add_co_ci_u32_e64 v9, null, s13, v23, vcc_lo
	s_delay_alu instid0(VALU_DEP_3) | instskip(NEXT) | instid1(VALU_DEP_3)
	v_fmac_f32_e32 v21, s26, v20
	v_add_co_u32 v8, vcc_lo, v8, v6
	s_wait_alu 0xfffd
	s_delay_alu instid0(VALU_DEP_3)
	v_add_co_ci_u32_e64 v9, null, v9, v7, vcc_lo
	global_store_b32 v[10:11], v21, off offset:64
	global_load_b32 v10, v[8:9], off
	s_wait_loadcnt 0x0
	v_mul_f32_e32 v20, s30, v10
	v_add_co_u32 v10, vcc_lo, v24, s14
	s_wait_alu 0xfffd
	v_add_co_ci_u32_e64 v11, null, s15, v25, vcc_lo
	s_delay_alu instid0(VALU_DEP_3) | instskip(NEXT) | instid1(VALU_DEP_3)
	v_fmac_f32_e32 v20, s26, v19
	v_add_co_u32 v10, vcc_lo, v10, v6
	s_wait_alu 0xfffd
	s_delay_alu instid0(VALU_DEP_3) | instskip(SKIP_4) | instid1(VALU_DEP_1)
	v_add_co_ci_u32_e64 v11, null, v11, v7, vcc_lo
	global_store_b32 v[10:11], v20, off
	global_load_b32 v8, v[8:9], off offset:64
	s_wait_loadcnt 0x0
	v_mul_f32_e32 v8, s30, v8
	v_fmac_f32_e32 v8, s26, v18
	global_store_b32 v[10:11], v8, off offset:64
	s_branch .LBB45_2
.LBB45_10:
	s_endpgm
	.section	.rodata,"a",@progbits
	.p2align	6, 0x0
	.amdhsa_kernel _ZN12_GLOBAL__N_127rocblas_gemm_batched_kernelIfLi16ELi16ELi32ELi32ELi8ELi32ELi8ELi8ELi32ELc67ELc78EKfS1_fEEvlllT_PT11_llS4_llS2_PT12_llPT13_lli
		.amdhsa_group_segment_fixed_size 2048
		.amdhsa_private_segment_fixed_size 0
		.amdhsa_kernarg_size 140
		.amdhsa_user_sgpr_count 2
		.amdhsa_user_sgpr_dispatch_ptr 0
		.amdhsa_user_sgpr_queue_ptr 0
		.amdhsa_user_sgpr_kernarg_segment_ptr 1
		.amdhsa_user_sgpr_dispatch_id 0
		.amdhsa_user_sgpr_private_segment_size 0
		.amdhsa_wavefront_size32 1
		.amdhsa_uses_dynamic_stack 0
		.amdhsa_enable_private_segment 0
		.amdhsa_system_sgpr_workgroup_id_x 1
		.amdhsa_system_sgpr_workgroup_id_y 1
		.amdhsa_system_sgpr_workgroup_id_z 1
		.amdhsa_system_sgpr_workgroup_info 0
		.amdhsa_system_vgpr_workitem_id 1
		.amdhsa_next_free_vgpr 48
		.amdhsa_next_free_sgpr 40
		.amdhsa_reserve_vcc 1
		.amdhsa_float_round_mode_32 0
		.amdhsa_float_round_mode_16_64 0
		.amdhsa_float_denorm_mode_32 3
		.amdhsa_float_denorm_mode_16_64 3
		.amdhsa_fp16_overflow 0
		.amdhsa_workgroup_processor_mode 1
		.amdhsa_memory_ordered 1
		.amdhsa_forward_progress 1
		.amdhsa_inst_pref_size 13
		.amdhsa_round_robin_scheduling 0
		.amdhsa_exception_fp_ieee_invalid_op 0
		.amdhsa_exception_fp_denorm_src 0
		.amdhsa_exception_fp_ieee_div_zero 0
		.amdhsa_exception_fp_ieee_overflow 0
		.amdhsa_exception_fp_ieee_underflow 0
		.amdhsa_exception_fp_ieee_inexact 0
		.amdhsa_exception_int_div_zero 0
	.end_amdhsa_kernel
	.section	.text._ZN12_GLOBAL__N_127rocblas_gemm_batched_kernelIfLi16ELi16ELi32ELi32ELi8ELi32ELi8ELi8ELi32ELc67ELc78EKfS1_fEEvlllT_PT11_llS4_llS2_PT12_llPT13_lli,"axG",@progbits,_ZN12_GLOBAL__N_127rocblas_gemm_batched_kernelIfLi16ELi16ELi32ELi32ELi8ELi32ELi8ELi8ELi32ELc67ELc78EKfS1_fEEvlllT_PT11_llS4_llS2_PT12_llPT13_lli,comdat
.Lfunc_end45:
	.size	_ZN12_GLOBAL__N_127rocblas_gemm_batched_kernelIfLi16ELi16ELi32ELi32ELi8ELi32ELi8ELi8ELi32ELc67ELc78EKfS1_fEEvlllT_PT11_llS4_llS2_PT12_llPT13_lli, .Lfunc_end45-_ZN12_GLOBAL__N_127rocblas_gemm_batched_kernelIfLi16ELi16ELi32ELi32ELi8ELi32ELi8ELi8ELi32ELc67ELc78EKfS1_fEEvlllT_PT11_llS4_llS2_PT12_llPT13_lli
                                        ; -- End function
	.set _ZN12_GLOBAL__N_127rocblas_gemm_batched_kernelIfLi16ELi16ELi32ELi32ELi8ELi32ELi8ELi8ELi32ELc67ELc78EKfS1_fEEvlllT_PT11_llS4_llS2_PT12_llPT13_lli.num_vgpr, 48
	.set _ZN12_GLOBAL__N_127rocblas_gemm_batched_kernelIfLi16ELi16ELi32ELi32ELi8ELi32ELi8ELi8ELi32ELc67ELc78EKfS1_fEEvlllT_PT11_llS4_llS2_PT12_llPT13_lli.num_agpr, 0
	.set _ZN12_GLOBAL__N_127rocblas_gemm_batched_kernelIfLi16ELi16ELi32ELi32ELi8ELi32ELi8ELi8ELi32ELc67ELc78EKfS1_fEEvlllT_PT11_llS4_llS2_PT12_llPT13_lli.numbered_sgpr, 40
	.set _ZN12_GLOBAL__N_127rocblas_gemm_batched_kernelIfLi16ELi16ELi32ELi32ELi8ELi32ELi8ELi8ELi32ELc67ELc78EKfS1_fEEvlllT_PT11_llS4_llS2_PT12_llPT13_lli.num_named_barrier, 0
	.set _ZN12_GLOBAL__N_127rocblas_gemm_batched_kernelIfLi16ELi16ELi32ELi32ELi8ELi32ELi8ELi8ELi32ELc67ELc78EKfS1_fEEvlllT_PT11_llS4_llS2_PT12_llPT13_lli.private_seg_size, 0
	.set _ZN12_GLOBAL__N_127rocblas_gemm_batched_kernelIfLi16ELi16ELi32ELi32ELi8ELi32ELi8ELi8ELi32ELc67ELc78EKfS1_fEEvlllT_PT11_llS4_llS2_PT12_llPT13_lli.uses_vcc, 1
	.set _ZN12_GLOBAL__N_127rocblas_gemm_batched_kernelIfLi16ELi16ELi32ELi32ELi8ELi32ELi8ELi8ELi32ELc67ELc78EKfS1_fEEvlllT_PT11_llS4_llS2_PT12_llPT13_lli.uses_flat_scratch, 0
	.set _ZN12_GLOBAL__N_127rocblas_gemm_batched_kernelIfLi16ELi16ELi32ELi32ELi8ELi32ELi8ELi8ELi32ELc67ELc78EKfS1_fEEvlllT_PT11_llS4_llS2_PT12_llPT13_lli.has_dyn_sized_stack, 0
	.set _ZN12_GLOBAL__N_127rocblas_gemm_batched_kernelIfLi16ELi16ELi32ELi32ELi8ELi32ELi8ELi8ELi32ELc67ELc78EKfS1_fEEvlllT_PT11_llS4_llS2_PT12_llPT13_lli.has_recursion, 0
	.set _ZN12_GLOBAL__N_127rocblas_gemm_batched_kernelIfLi16ELi16ELi32ELi32ELi8ELi32ELi8ELi8ELi32ELc67ELc78EKfS1_fEEvlllT_PT11_llS4_llS2_PT12_llPT13_lli.has_indirect_call, 0
	.section	.AMDGPU.csdata,"",@progbits
; Kernel info:
; codeLenInByte = 1596
; TotalNumSgprs: 42
; NumVgprs: 48
; ScratchSize: 0
; MemoryBound: 0
; FloatMode: 240
; IeeeMode: 1
; LDSByteSize: 2048 bytes/workgroup (compile time only)
; SGPRBlocks: 0
; VGPRBlocks: 5
; NumSGPRsForWavesPerEU: 42
; NumVGPRsForWavesPerEU: 48
; Occupancy: 16
; WaveLimiterHint : 0
; COMPUTE_PGM_RSRC2:SCRATCH_EN: 0
; COMPUTE_PGM_RSRC2:USER_SGPR: 2
; COMPUTE_PGM_RSRC2:TRAP_HANDLER: 0
; COMPUTE_PGM_RSRC2:TGID_X_EN: 1
; COMPUTE_PGM_RSRC2:TGID_Y_EN: 1
; COMPUTE_PGM_RSRC2:TGID_Z_EN: 1
; COMPUTE_PGM_RSRC2:TIDIG_COMP_CNT: 1
	.section	.text._ZN12_GLOBAL__N_127rocblas_gemm_batched_kernelIfLi16ELi16ELi32ELi32ELi8ELi32ELi8ELi8ELi32ELc67ELc84EKfS1_fEEvlllT_PT11_llS4_llS2_PT12_llPT13_lli,"axG",@progbits,_ZN12_GLOBAL__N_127rocblas_gemm_batched_kernelIfLi16ELi16ELi32ELi32ELi8ELi32ELi8ELi8ELi32ELc67ELc84EKfS1_fEEvlllT_PT11_llS4_llS2_PT12_llPT13_lli,comdat
	.globl	_ZN12_GLOBAL__N_127rocblas_gemm_batched_kernelIfLi16ELi16ELi32ELi32ELi8ELi32ELi8ELi8ELi32ELc67ELc84EKfS1_fEEvlllT_PT11_llS4_llS2_PT12_llPT13_lli ; -- Begin function _ZN12_GLOBAL__N_127rocblas_gemm_batched_kernelIfLi16ELi16ELi32ELi32ELi8ELi32ELi8ELi8ELi32ELc67ELc84EKfS1_fEEvlllT_PT11_llS4_llS2_PT12_llPT13_lli
	.p2align	8
	.type	_ZN12_GLOBAL__N_127rocblas_gemm_batched_kernelIfLi16ELi16ELi32ELi32ELi8ELi32ELi8ELi8ELi32ELc67ELc84EKfS1_fEEvlllT_PT11_llS4_llS2_PT12_llPT13_lli,@function
_ZN12_GLOBAL__N_127rocblas_gemm_batched_kernelIfLi16ELi16ELi32ELi32ELi8ELi32ELi8ELi8ELi32ELc67ELc84EKfS1_fEEvlllT_PT11_llS4_llS2_PT12_llPT13_lli: ; @_ZN12_GLOBAL__N_127rocblas_gemm_batched_kernelIfLi16ELi16ELi32ELi32ELi8ELi32ELi8ELi8ELi32ELc67ELc84EKfS1_fEEvlllT_PT11_llS4_llS2_PT12_llPT13_lli
; %bb.0:
	s_load_b32 s31, s[0:1], 0x88
	s_lshr_b32 s2, ttmp7, 16
	s_wait_kmcnt 0x0
	s_cmp_ge_i32 s2, s31
	s_cbranch_scc1 .LBB46_10
; %bb.1:
	v_dual_mov_b32 v1, 0 :: v_dual_and_b32 v8, 0x3ff, v0
	v_bfe_u32 v6, v0, 10, 10
	s_clause 0x5
	s_load_b96 s[28:30], s[0:1], 0x10
	s_load_b128 s[20:23], s[0:1], 0x78
	s_load_b256 s[12:19], s[0:1], 0x20
	s_load_b256 s[4:11], s[0:1], 0x58
	s_load_b128 s[24:27], s[0:1], 0x40
	s_load_b32 s1, s[0:1], 0x50
	v_and_b32_e32 v9, 7, v0
	s_lshl_b32 s0, ttmp7, 5
	v_lshl_add_u32 v2, v6, 4, v8
	s_and_b32 s0, s0, 0x1fffe0
	v_lshl_add_u32 v15, v6, 5, 0x400
	v_add_nc_u32_e32 v7, s0, v6
	v_lshlrev_b32_e32 v3, 2, v9
	v_and_b32_e32 v10, 31, v2
	v_lshrrev_b32_e32 v0, 3, v2
	v_lshrrev_b32_e32 v18, 5, v2
	s_mov_b32 s34, ttmp9
	s_ashr_i32 s35, ttmp9, 31
	v_lshlrev_b32_e32 v2, 2, v10
	v_lshl_or_b32 v11, v0, 5, v3
	s_lshl_b64 s[34:35], s[34:35], 5
	v_lshlrev_b32_e32 v14, 2, v8
	s_wait_kmcnt 0x0
	v_mad_co_u64_u32 v[4:5], null, v7, s20, 0
	v_lshl_or_b32 v12, v18, 7, v2
	v_mad_co_u64_u32 v[2:3], null, v7, s6, 0
	v_mad_co_u64_u32 v[0:1], null, s24, v9, v[0:1]
	v_add_nc_u32_e32 v13, 0x400, v11
	v_mad_co_u64_u32 v[5:6], null, v7, s21, v[5:6]
	s_cmp_eq_f32 s1, 0
	v_mad_co_u64_u32 v[6:7], null, v7, s7, v[3:4]
	v_add_co_u32 v0, vcc_lo, v0, s0
	s_mul_i32 s0, s14, s35
	v_add_co_u32 v7, s36, s34, v8
	s_delay_alu instid0(VALU_DEP_1) | instskip(SKIP_4) | instid1(VALU_DEP_4)
	v_add_co_ci_u32_e64 v8, null, s35, 0, s36
	v_mov_b32_e32 v3, v6
	v_or_b32_e32 v11, s34, v10
	v_mad_co_u64_u32 v[9:10], null, s25, v9, v[1:2]
	v_lshlrev_b64_e32 v[4:5], 2, v[4:5]
	v_lshlrev_b64_e32 v[2:3], 2, v[2:3]
	s_delay_alu instid0(VALU_DEP_4)
	v_mul_lo_u32 v6, s15, v11
	v_mad_co_u64_u32 v[10:11], null, s14, v11, 0
	s_cselect_b32 s33, -1, 0
	v_add_co_ci_u32_e64 v1, null, 0, v9, vcc_lo
	v_add_co_u32 v16, vcc_lo, s4, v2
	s_wait_alu 0xfffd
	v_add_co_ci_u32_e64 v17, null, s5, v3, vcc_lo
	s_wait_alu 0xfffe
	v_add3_u32 v11, v11, s0, v6
	v_lshlrev_b64_e32 v[0:1], 2, v[0:1]
	v_lshlrev_b32_e32 v6, 2, v18
	v_cmp_gt_i64_e64 s0, s[28:29], 0
	s_lshl_b64 s[20:21], s[20:21], 4
	v_lshlrev_b64_e32 v[2:3], 2, v[10:11]
	s_lshl_b64 s[36:37], s[6:7], 4
	v_add_co_u32 v0, vcc_lo, s18, v0
	s_wait_alu 0xfffd
	v_add_co_ci_u32_e64 v1, null, s19, v1, vcc_lo
	s_delay_alu instid0(VALU_DEP_3) | instskip(SKIP_3) | instid1(VALU_DEP_3)
	v_add_co_u32 v2, vcc_lo, v2, v6
	s_wait_alu 0xfffd
	v_add_co_ci_u32_e64 v3, null, 0, v3, vcc_lo
	v_cndmask_b32_e64 v9, 0, 1, s0
	v_add_co_u32 v2, vcc_lo, s12, v2
	v_lshlrev_b64_e32 v[6:7], 2, v[7:8]
	s_wait_alu 0xfffd
	v_add_co_ci_u32_e64 v3, null, s13, v3, vcc_lo
	v_cmp_ne_u32_e64 s0, 1, v9
	s_mov_b32 s3, 0
	s_lshl_b64 s[4:5], s[26:27], 2
	s_lshl_b64 s[6:7], s[24:25], 5
	;; [unrolled: 1-line block ×3, first 2 shown]
	s_wait_alu 0xfffe
	s_lshl_b64 s[14:15], s[36:37], 2
	s_lshl_b64 s[16:17], s[20:21], 2
	s_branch .LBB46_3
.LBB46_2:                               ;   in Loop: Header=BB46_3 Depth=1
	s_add_co_i32 s2, s2, 0x10000
	s_wait_alu 0xfffe
	s_cmp_lt_i32 s2, s31
	s_cbranch_scc0 .LBB46_10
.LBB46_3:                               ; =>This Loop Header: Depth=1
                                        ;     Child Loop BB46_5 Depth 2
	v_dual_mov_b32 v21, 0 :: v_dual_mov_b32 v20, 0
	v_dual_mov_b32 v19, 0 :: v_dual_mov_b32 v18, 0
	s_and_b32 vcc_lo, exec_lo, s0
	s_wait_alu 0xfffe
	s_cbranch_vccnz .LBB46_6
; %bb.4:                                ;   in Loop: Header=BB46_3 Depth=1
	v_mad_co_u64_u32 v[8:9], null, s4, s2, v[0:1]
	v_mad_co_u64_u32 v[10:11], null, s12, s2, v[2:3]
	v_dual_mov_b32 v18, 0 :: v_dual_mov_b32 v19, 0
	s_mov_b64 s[18:19], 0
	s_delay_alu instid0(VALU_DEP_2) | instskip(NEXT) | instid1(VALU_DEP_3)
	v_mad_co_u64_u32 v[21:22], null, s5, s2, v[9:10]
	v_mad_co_u64_u32 v[22:23], null, s13, s2, v[11:12]
	s_delay_alu instid0(VALU_DEP_2) | instskip(SKIP_1) | instid1(VALU_DEP_3)
	v_dual_mov_b32 v20, 0 :: v_dual_mov_b32 v9, v21
	v_mov_b32_e32 v21, 0
	v_mov_b32_e32 v11, v22
.LBB46_5:                               ;   Parent Loop BB46_3 Depth=1
                                        ; =>  This Inner Loop Header: Depth=2
	global_load_b32 v22, v[10:11], off
	global_load_b32 v23, v[8:9], off
	s_wait_alu 0xfffe
	s_add_nc_u64 s[18:19], s[18:19], 8
	v_add_co_u32 v8, vcc_lo, v8, s6
	s_wait_alu 0xfffe
	v_cmp_lt_i64_e64 s20, s[18:19], s[28:29]
	s_wait_alu 0xfffd
	v_add_co_ci_u32_e64 v9, null, s7, v9, vcc_lo
	v_add_co_u32 v10, vcc_lo, v10, 32
	s_wait_alu 0xfffd
	v_add_co_ci_u32_e64 v11, null, 0, v11, vcc_lo
	s_and_b32 vcc_lo, exec_lo, s20
	s_wait_loadcnt 0x1
	ds_store_b32 v12, v22
	s_wait_loadcnt 0x0
	ds_store_b32 v13, v23
	s_wait_dscnt 0x0
	s_barrier_signal -1
	s_barrier_wait -1
	global_inv scope:SCOPE_SE
	ds_load_b128 v[22:25], v15
	ds_load_2addr_b32 v[38:39], v14 offset1:16
	ds_load_b128 v[26:29], v15 offset:512
	ds_load_2addr_b32 v[40:41], v14 offset0:32 offset1:48
	ds_load_2addr_b32 v[42:43], v14 offset0:64 offset1:80
	;; [unrolled: 1-line block ×3, first 2 shown]
	ds_load_b128 v[30:33], v15 offset:16
	ds_load_2addr_b32 v[46:47], v14 offset0:128 offset1:144
	ds_load_b128 v[34:37], v15 offset:528
	s_wait_dscnt 0x7
	v_fmac_f32_e32 v20, v39, v22
	v_fmac_f32_e32 v21, v38, v22
	s_wait_dscnt 0x6
	v_fmac_f32_e32 v18, v39, v26
	v_fmac_f32_e32 v19, v38, v26
	ds_load_2addr_b32 v[38:39], v14 offset0:160 offset1:176
	s_wait_dscnt 0x6
	v_fmac_f32_e32 v20, v41, v23
	v_fmac_f32_e32 v21, v40, v23
	v_fmac_f32_e32 v18, v41, v27
	v_fmac_f32_e32 v19, v40, v27
	ds_load_2addr_b32 v[22:23], v14 offset0:192 offset1:208
	s_wait_dscnt 0x6
	v_fmac_f32_e32 v20, v43, v24
	v_fmac_f32_e32 v21, v42, v24
	;; [unrolled: 6-line block ×3, first 2 shown]
	v_fmac_f32_e32 v18, v45, v29
	v_fmac_f32_e32 v19, v44, v29
	s_wait_loadcnt_dscnt 0x0
	v_fmac_f32_e32 v20, v47, v30
	v_fmac_f32_e32 v21, v46, v30
	;; [unrolled: 1-line block ×4, first 2 shown]
	s_barrier_signal -1
	v_fmac_f32_e32 v20, v39, v31
	v_fmac_f32_e32 v21, v38, v31
	;; [unrolled: 1-line block ×4, first 2 shown]
	s_barrier_wait -1
	v_fmac_f32_e32 v20, v23, v32
	v_fmac_f32_e32 v21, v22, v32
	;; [unrolled: 1-line block ×4, first 2 shown]
	global_inv scope:SCOPE_SE
	v_fmac_f32_e32 v20, v27, v33
	v_fmac_f32_e32 v21, v26, v33
	;; [unrolled: 1-line block ×4, first 2 shown]
	s_wait_alu 0xfffe
	s_cbranch_vccnz .LBB46_5
.LBB46_6:                               ;   in Loop: Header=BB46_3 Depth=1
	s_mul_u64 s[18:19], s[22:23], s[2:3]
	s_and_not1_b32 vcc_lo, exec_lo, s33
	s_wait_alu 0xfffe
	s_lshl_b64 s[18:19], s[18:19], 2
	s_wait_alu 0xfffe
	s_add_nc_u64 s[18:19], s[10:11], s[18:19]
	s_cbranch_vccnz .LBB46_8
; %bb.7:                                ;   in Loop: Header=BB46_3 Depth=1
	s_wait_alu 0xfffe
	v_add_co_u32 v10, vcc_lo, s18, v4
	s_wait_alu 0xfffd
	v_add_co_ci_u32_e64 v11, null, s19, v5, vcc_lo
	v_dual_mul_f32 v22, s30, v21 :: v_dual_mul_f32 v23, s30, v20
	s_delay_alu instid0(VALU_DEP_3) | instskip(SKIP_1) | instid1(VALU_DEP_3)
	v_add_co_u32 v8, vcc_lo, v10, v6
	s_wait_alu 0xfffd
	v_add_co_ci_u32_e64 v9, null, v11, v7, vcc_lo
	v_add_co_u32 v10, vcc_lo, v10, s16
	s_wait_alu 0xfffd
	v_add_co_ci_u32_e64 v11, null, s17, v11, vcc_lo
	v_dual_mul_f32 v24, s30, v19 :: v_dual_mul_f32 v25, s30, v18
	s_delay_alu instid0(VALU_DEP_3) | instskip(SKIP_1) | instid1(VALU_DEP_3)
	v_add_co_u32 v10, vcc_lo, v10, v6
	s_wait_alu 0xfffd
	v_add_co_ci_u32_e64 v11, null, v11, v7, vcc_lo
	s_clause 0x3
	global_store_b32 v[8:9], v22, off
	global_store_b32 v[8:9], v23, off offset:64
	global_store_b32 v[10:11], v24, off
	global_store_b32 v[10:11], v25, off offset:64
	s_cbranch_execnz .LBB46_2
	s_branch .LBB46_9
.LBB46_8:                               ;   in Loop: Header=BB46_3 Depth=1
.LBB46_9:                               ;   in Loop: Header=BB46_3 Depth=1
	s_mul_u64 s[20:21], s[8:9], s[2:3]
	s_wait_alu 0xfffe
	s_lshl_b64 s[20:21], s[20:21], 2
	s_wait_alu 0xfffe
	v_add_co_u32 v22, vcc_lo, v16, s20
	s_wait_alu 0xfffd
	v_add_co_ci_u32_e64 v23, null, s21, v17, vcc_lo
	s_delay_alu instid0(VALU_DEP_2) | instskip(SKIP_1) | instid1(VALU_DEP_2)
	v_add_co_u32 v8, vcc_lo, v22, v6
	s_wait_alu 0xfffd
	v_add_co_ci_u32_e64 v9, null, v23, v7, vcc_lo
	v_add_co_u32 v24, vcc_lo, s18, v4
	s_wait_alu 0xfffd
	v_add_co_ci_u32_e64 v25, null, s19, v5, vcc_lo
	global_load_b32 v10, v[8:9], off
	s_wait_loadcnt 0x0
	v_mul_f32_e32 v26, s1, v10
	v_add_co_u32 v10, vcc_lo, v24, v6
	s_wait_alu 0xfffd
	v_add_co_ci_u32_e64 v11, null, v25, v7, vcc_lo
	s_delay_alu instid0(VALU_DEP_3)
	v_fmac_f32_e32 v26, s30, v21
	global_store_b32 v[10:11], v26, off
	global_load_b32 v8, v[8:9], off offset:64
	s_wait_loadcnt 0x0
	v_mul_f32_e32 v21, s1, v8
	v_add_co_u32 v8, vcc_lo, v22, s14
	s_wait_alu 0xfffd
	v_add_co_ci_u32_e64 v9, null, s15, v23, vcc_lo
	s_delay_alu instid0(VALU_DEP_3) | instskip(NEXT) | instid1(VALU_DEP_3)
	v_fmac_f32_e32 v21, s30, v20
	v_add_co_u32 v8, vcc_lo, v8, v6
	s_wait_alu 0xfffd
	s_delay_alu instid0(VALU_DEP_3)
	v_add_co_ci_u32_e64 v9, null, v9, v7, vcc_lo
	global_store_b32 v[10:11], v21, off offset:64
	global_load_b32 v10, v[8:9], off
	s_wait_loadcnt 0x0
	v_mul_f32_e32 v20, s1, v10
	v_add_co_u32 v10, vcc_lo, v24, s16
	s_wait_alu 0xfffd
	v_add_co_ci_u32_e64 v11, null, s17, v25, vcc_lo
	s_delay_alu instid0(VALU_DEP_3) | instskip(NEXT) | instid1(VALU_DEP_3)
	v_fmac_f32_e32 v20, s30, v19
	v_add_co_u32 v10, vcc_lo, v10, v6
	s_wait_alu 0xfffd
	s_delay_alu instid0(VALU_DEP_3) | instskip(SKIP_4) | instid1(VALU_DEP_1)
	v_add_co_ci_u32_e64 v11, null, v11, v7, vcc_lo
	global_store_b32 v[10:11], v20, off
	global_load_b32 v8, v[8:9], off offset:64
	s_wait_loadcnt 0x0
	v_mul_f32_e32 v8, s1, v8
	v_fmac_f32_e32 v8, s30, v18
	global_store_b32 v[10:11], v8, off offset:64
	s_branch .LBB46_2
.LBB46_10:
	s_endpgm
	.section	.rodata,"a",@progbits
	.p2align	6, 0x0
	.amdhsa_kernel _ZN12_GLOBAL__N_127rocblas_gemm_batched_kernelIfLi16ELi16ELi32ELi32ELi8ELi32ELi8ELi8ELi32ELc67ELc84EKfS1_fEEvlllT_PT11_llS4_llS2_PT12_llPT13_lli
		.amdhsa_group_segment_fixed_size 2048
		.amdhsa_private_segment_fixed_size 0
		.amdhsa_kernarg_size 140
		.amdhsa_user_sgpr_count 2
		.amdhsa_user_sgpr_dispatch_ptr 0
		.amdhsa_user_sgpr_queue_ptr 0
		.amdhsa_user_sgpr_kernarg_segment_ptr 1
		.amdhsa_user_sgpr_dispatch_id 0
		.amdhsa_user_sgpr_private_segment_size 0
		.amdhsa_wavefront_size32 1
		.amdhsa_uses_dynamic_stack 0
		.amdhsa_enable_private_segment 0
		.amdhsa_system_sgpr_workgroup_id_x 1
		.amdhsa_system_sgpr_workgroup_id_y 1
		.amdhsa_system_sgpr_workgroup_id_z 1
		.amdhsa_system_sgpr_workgroup_info 0
		.amdhsa_system_vgpr_workitem_id 1
		.amdhsa_next_free_vgpr 48
		.amdhsa_next_free_sgpr 38
		.amdhsa_reserve_vcc 1
		.amdhsa_float_round_mode_32 0
		.amdhsa_float_round_mode_16_64 0
		.amdhsa_float_denorm_mode_32 3
		.amdhsa_float_denorm_mode_16_64 3
		.amdhsa_fp16_overflow 0
		.amdhsa_workgroup_processor_mode 1
		.amdhsa_memory_ordered 1
		.amdhsa_forward_progress 1
		.amdhsa_inst_pref_size 13
		.amdhsa_round_robin_scheduling 0
		.amdhsa_exception_fp_ieee_invalid_op 0
		.amdhsa_exception_fp_denorm_src 0
		.amdhsa_exception_fp_ieee_div_zero 0
		.amdhsa_exception_fp_ieee_overflow 0
		.amdhsa_exception_fp_ieee_underflow 0
		.amdhsa_exception_fp_ieee_inexact 0
		.amdhsa_exception_int_div_zero 0
	.end_amdhsa_kernel
	.section	.text._ZN12_GLOBAL__N_127rocblas_gemm_batched_kernelIfLi16ELi16ELi32ELi32ELi8ELi32ELi8ELi8ELi32ELc67ELc84EKfS1_fEEvlllT_PT11_llS4_llS2_PT12_llPT13_lli,"axG",@progbits,_ZN12_GLOBAL__N_127rocblas_gemm_batched_kernelIfLi16ELi16ELi32ELi32ELi8ELi32ELi8ELi8ELi32ELc67ELc84EKfS1_fEEvlllT_PT11_llS4_llS2_PT12_llPT13_lli,comdat
.Lfunc_end46:
	.size	_ZN12_GLOBAL__N_127rocblas_gemm_batched_kernelIfLi16ELi16ELi32ELi32ELi8ELi32ELi8ELi8ELi32ELc67ELc84EKfS1_fEEvlllT_PT11_llS4_llS2_PT12_llPT13_lli, .Lfunc_end46-_ZN12_GLOBAL__N_127rocblas_gemm_batched_kernelIfLi16ELi16ELi32ELi32ELi8ELi32ELi8ELi8ELi32ELc67ELc84EKfS1_fEEvlllT_PT11_llS4_llS2_PT12_llPT13_lli
                                        ; -- End function
	.set _ZN12_GLOBAL__N_127rocblas_gemm_batched_kernelIfLi16ELi16ELi32ELi32ELi8ELi32ELi8ELi8ELi32ELc67ELc84EKfS1_fEEvlllT_PT11_llS4_llS2_PT12_llPT13_lli.num_vgpr, 48
	.set _ZN12_GLOBAL__N_127rocblas_gemm_batched_kernelIfLi16ELi16ELi32ELi32ELi8ELi32ELi8ELi8ELi32ELc67ELc84EKfS1_fEEvlllT_PT11_llS4_llS2_PT12_llPT13_lli.num_agpr, 0
	.set _ZN12_GLOBAL__N_127rocblas_gemm_batched_kernelIfLi16ELi16ELi32ELi32ELi8ELi32ELi8ELi8ELi32ELc67ELc84EKfS1_fEEvlllT_PT11_llS4_llS2_PT12_llPT13_lli.numbered_sgpr, 38
	.set _ZN12_GLOBAL__N_127rocblas_gemm_batched_kernelIfLi16ELi16ELi32ELi32ELi8ELi32ELi8ELi8ELi32ELc67ELc84EKfS1_fEEvlllT_PT11_llS4_llS2_PT12_llPT13_lli.num_named_barrier, 0
	.set _ZN12_GLOBAL__N_127rocblas_gemm_batched_kernelIfLi16ELi16ELi32ELi32ELi8ELi32ELi8ELi8ELi32ELc67ELc84EKfS1_fEEvlllT_PT11_llS4_llS2_PT12_llPT13_lli.private_seg_size, 0
	.set _ZN12_GLOBAL__N_127rocblas_gemm_batched_kernelIfLi16ELi16ELi32ELi32ELi8ELi32ELi8ELi8ELi32ELc67ELc84EKfS1_fEEvlllT_PT11_llS4_llS2_PT12_llPT13_lli.uses_vcc, 1
	.set _ZN12_GLOBAL__N_127rocblas_gemm_batched_kernelIfLi16ELi16ELi32ELi32ELi8ELi32ELi8ELi8ELi32ELc67ELc84EKfS1_fEEvlllT_PT11_llS4_llS2_PT12_llPT13_lli.uses_flat_scratch, 0
	.set _ZN12_GLOBAL__N_127rocblas_gemm_batched_kernelIfLi16ELi16ELi32ELi32ELi8ELi32ELi8ELi8ELi32ELc67ELc84EKfS1_fEEvlllT_PT11_llS4_llS2_PT12_llPT13_lli.has_dyn_sized_stack, 0
	.set _ZN12_GLOBAL__N_127rocblas_gemm_batched_kernelIfLi16ELi16ELi32ELi32ELi8ELi32ELi8ELi8ELi32ELc67ELc84EKfS1_fEEvlllT_PT11_llS4_llS2_PT12_llPT13_lli.has_recursion, 0
	.set _ZN12_GLOBAL__N_127rocblas_gemm_batched_kernelIfLi16ELi16ELi32ELi32ELi8ELi32ELi8ELi8ELi32ELc67ELc84EKfS1_fEEvlllT_PT11_llS4_llS2_PT12_llPT13_lli.has_indirect_call, 0
	.section	.AMDGPU.csdata,"",@progbits
; Kernel info:
; codeLenInByte = 1584
; TotalNumSgprs: 40
; NumVgprs: 48
; ScratchSize: 0
; MemoryBound: 0
; FloatMode: 240
; IeeeMode: 1
; LDSByteSize: 2048 bytes/workgroup (compile time only)
; SGPRBlocks: 0
; VGPRBlocks: 5
; NumSGPRsForWavesPerEU: 40
; NumVGPRsForWavesPerEU: 48
; Occupancy: 16
; WaveLimiterHint : 0
; COMPUTE_PGM_RSRC2:SCRATCH_EN: 0
; COMPUTE_PGM_RSRC2:USER_SGPR: 2
; COMPUTE_PGM_RSRC2:TRAP_HANDLER: 0
; COMPUTE_PGM_RSRC2:TGID_X_EN: 1
; COMPUTE_PGM_RSRC2:TGID_Y_EN: 1
; COMPUTE_PGM_RSRC2:TGID_Z_EN: 1
; COMPUTE_PGM_RSRC2:TIDIG_COMP_CNT: 1
	.section	.text._ZN12_GLOBAL__N_127rocblas_gemm_batched_kernelIfLi16ELi16ELi32ELi32ELi8ELi32ELi8ELi8ELi32ELc78ELc67EKfS1_fEEvlllT_PT11_llS4_llS2_PT12_llPT13_lli,"axG",@progbits,_ZN12_GLOBAL__N_127rocblas_gemm_batched_kernelIfLi16ELi16ELi32ELi32ELi8ELi32ELi8ELi8ELi32ELc78ELc67EKfS1_fEEvlllT_PT11_llS4_llS2_PT12_llPT13_lli,comdat
	.globl	_ZN12_GLOBAL__N_127rocblas_gemm_batched_kernelIfLi16ELi16ELi32ELi32ELi8ELi32ELi8ELi8ELi32ELc78ELc67EKfS1_fEEvlllT_PT11_llS4_llS2_PT12_llPT13_lli ; -- Begin function _ZN12_GLOBAL__N_127rocblas_gemm_batched_kernelIfLi16ELi16ELi32ELi32ELi8ELi32ELi8ELi8ELi32ELc78ELc67EKfS1_fEEvlllT_PT11_llS4_llS2_PT12_llPT13_lli
	.p2align	8
	.type	_ZN12_GLOBAL__N_127rocblas_gemm_batched_kernelIfLi16ELi16ELi32ELi32ELi8ELi32ELi8ELi8ELi32ELc78ELc67EKfS1_fEEvlllT_PT11_llS4_llS2_PT12_llPT13_lli,@function
_ZN12_GLOBAL__N_127rocblas_gemm_batched_kernelIfLi16ELi16ELi32ELi32ELi8ELi32ELi8ELi8ELi32ELc78ELc67EKfS1_fEEvlllT_PT11_llS4_llS2_PT12_llPT13_lli: ; @_ZN12_GLOBAL__N_127rocblas_gemm_batched_kernelIfLi16ELi16ELi32ELi32ELi8ELi32ELi8ELi8ELi32ELc78ELc67EKfS1_fEEvlllT_PT11_llS4_llS2_PT12_llPT13_lli
; %bb.0:
	s_load_b32 s31, s[0:1], 0x88
	s_lshr_b32 s2, ttmp7, 16
	s_wait_kmcnt 0x0
	s_cmp_ge_i32 s2, s31
	s_cbranch_scc1 .LBB47_10
; %bb.1:
	s_clause 0x3
	s_load_b96 s[28:30], s[0:1], 0x10
	s_load_b256 s[12:19], s[0:1], 0x20
	s_load_b128 s[20:23], s[0:1], 0x78
	s_load_b256 s[4:11], s[0:1], 0x58
	v_dual_mov_b32 v1, 0 :: v_dual_and_b32 v8, 0x3ff, v0
	v_bfe_u32 v6, v0, 10, 10
	s_clause 0x1
	s_load_b128 s[24:27], s[0:1], 0x40
	s_load_b32 s1, s[0:1], 0x50
	v_and_b32_e32 v11, 7, v0
	s_lshl_b32 s0, ttmp7, 5
	s_mov_b32 s34, ttmp9
	v_lshl_add_u32 v2, v6, 4, v8
	s_and_b32 s0, s0, 0x1fffe0
	v_lshl_add_u32 v15, v6, 5, 0x400
	v_add_nc_u32_e32 v7, s0, v6
	s_ashr_i32 s35, ttmp9, 31
	v_and_b32_e32 v20, 31, v2
	v_lshrrev_b32_e32 v18, 5, v2
	v_lshrrev_b32_e32 v0, 3, v2
	v_lshlrev_b32_e32 v2, 2, v11
	s_lshl_b64 s[34:35], s[34:35], 5
	v_lshlrev_b32_e32 v14, 2, v8
	s_wait_kmcnt 0x0
	v_mad_co_u64_u32 v[4:5], null, v7, s20, 0
	v_lshl_or_b32 v10, v0, 5, v2
	v_mad_co_u64_u32 v[2:3], null, v7, s6, 0
	v_mad_co_u64_u32 v[0:1], null, s24, v11, v[0:1]
	s_delay_alu instid0(VALU_DEP_3)
	v_add_nc_u32_e32 v13, 0x400, v10
	v_mad_co_u64_u32 v[5:6], null, v7, s21, v[5:6]
	s_cmp_eq_f32 s1, 0
	v_mad_co_u64_u32 v[6:7], null, v7, s7, v[3:4]
	v_mad_co_u64_u32 v[16:17], null, s25, v11, v[1:2]
	v_add_co_u32 v7, s36, s34, v8
	s_delay_alu instid0(VALU_DEP_1) | instskip(NEXT) | instid1(VALU_DEP_4)
	v_add_co_ci_u32_e64 v8, null, s35, 0, s36
	v_mov_b32_e32 v3, v6
	v_lshlrev_b32_e32 v9, 2, v20
	s_cselect_b32 s33, -1, 0
	s_delay_alu instid0(VALU_DEP_3)
	v_lshlrev_b64_e32 v[6:7], 2, v[7:8]
	s_lshl_b64 s[20:21], s[20:21], 4
	v_lshlrev_b64_e32 v[1:2], 2, v[2:3]
	v_lshl_or_b32 v12, v18, 7, v9
	v_mad_co_u64_u32 v[9:10], null, s14, v18, s[34:35]
	s_lshl_b64 s[34:35], s[6:7], 4
	s_mov_b32 s3, 0
	s_lshl_b64 s[6:7], s[24:25], 5
	v_mov_b32_e32 v3, v10
	v_add_co_u32 v10, vcc_lo, v0, s0
	s_delay_alu instid0(VALU_DEP_1) | instskip(NEXT) | instid1(VALU_DEP_3)
	v_add_co_ci_u32_e64 v11, null, 0, v16, vcc_lo
	v_mad_co_u64_u32 v[18:19], null, s15, v18, v[3:4]
	v_add_co_u32 v16, vcc_lo, s4, v1
	s_wait_alu 0xfffd
	v_add_co_ci_u32_e64 v17, null, s5, v2, vcc_lo
	v_add_co_u32 v2, vcc_lo, v9, v20
	s_wait_alu 0xfffd
	s_delay_alu instid0(VALU_DEP_4) | instskip(SKIP_3) | instid1(VALU_DEP_4)
	v_add_co_ci_u32_e64 v3, null, 0, v18, vcc_lo
	v_cmp_gt_i64_e64 s0, s[28:29], 0
	v_lshlrev_b64_e32 v[0:1], 2, v[10:11]
	v_lshlrev_b64_e32 v[4:5], 2, v[4:5]
	;; [unrolled: 1-line block ×3, first 2 shown]
	s_lshl_b64 s[4:5], s[26:27], 2
	s_lshl_b64 s[14:15], s[14:15], 5
	v_cndmask_b32_e64 v9, 0, 1, s0
	v_add_co_u32 v0, vcc_lo, s18, v0
	s_wait_alu 0xfffd
	v_add_co_ci_u32_e64 v1, null, s19, v1, vcc_lo
	v_add_co_u32 v2, vcc_lo, s12, v2
	s_wait_alu 0xfffd
	v_add_co_ci_u32_e64 v3, null, s13, v3, vcc_lo
	v_cmp_ne_u32_e64 s0, 1, v9
	s_lshl_b64 s[12:13], s[16:17], 2
	s_wait_alu 0xfffe
	s_lshl_b64 s[16:17], s[34:35], 2
	s_lshl_b64 s[18:19], s[20:21], 2
	s_branch .LBB47_3
.LBB47_2:                               ;   in Loop: Header=BB47_3 Depth=1
	s_add_co_i32 s2, s2, 0x10000
	s_wait_alu 0xfffe
	s_cmp_lt_i32 s2, s31
	s_cbranch_scc0 .LBB47_10
.LBB47_3:                               ; =>This Loop Header: Depth=1
                                        ;     Child Loop BB47_5 Depth 2
	v_dual_mov_b32 v21, 0 :: v_dual_mov_b32 v20, 0
	v_dual_mov_b32 v19, 0 :: v_dual_mov_b32 v18, 0
	s_and_b32 vcc_lo, exec_lo, s0
	s_wait_alu 0xfffe
	s_cbranch_vccnz .LBB47_6
; %bb.4:                                ;   in Loop: Header=BB47_3 Depth=1
	v_mad_co_u64_u32 v[8:9], null, s4, s2, v[0:1]
	v_mad_co_u64_u32 v[10:11], null, s12, s2, v[2:3]
	v_dual_mov_b32 v18, 0 :: v_dual_mov_b32 v19, 0
	s_mov_b64 s[20:21], 0
	s_delay_alu instid0(VALU_DEP_2) | instskip(NEXT) | instid1(VALU_DEP_3)
	v_mad_co_u64_u32 v[21:22], null, s5, s2, v[9:10]
	v_mad_co_u64_u32 v[22:23], null, s13, s2, v[11:12]
	s_delay_alu instid0(VALU_DEP_2) | instskip(SKIP_1) | instid1(VALU_DEP_3)
	v_dual_mov_b32 v20, 0 :: v_dual_mov_b32 v9, v21
	v_mov_b32_e32 v21, 0
	v_mov_b32_e32 v11, v22
.LBB47_5:                               ;   Parent Loop BB47_3 Depth=1
                                        ; =>  This Inner Loop Header: Depth=2
	global_load_b32 v22, v[10:11], off
	global_load_b32 v23, v[8:9], off
	s_wait_alu 0xfffe
	s_add_nc_u64 s[20:21], s[20:21], 8
	v_add_co_u32 v8, vcc_lo, v8, s6
	s_wait_alu 0xfffe
	v_cmp_lt_i64_e64 s24, s[20:21], s[28:29]
	s_wait_alu 0xfffd
	v_add_co_ci_u32_e64 v9, null, s7, v9, vcc_lo
	v_add_co_u32 v10, vcc_lo, v10, s14
	s_wait_alu 0xfffd
	v_add_co_ci_u32_e64 v11, null, s15, v11, vcc_lo
	s_and_b32 vcc_lo, exec_lo, s24
	s_wait_loadcnt 0x1
	ds_store_b32 v12, v22
	s_wait_loadcnt 0x0
	ds_store_b32 v13, v23
	s_wait_dscnt 0x0
	s_barrier_signal -1
	s_barrier_wait -1
	global_inv scope:SCOPE_SE
	ds_load_b128 v[22:25], v15
	ds_load_2addr_b32 v[38:39], v14 offset1:16
	ds_load_b128 v[26:29], v15 offset:512
	ds_load_2addr_b32 v[40:41], v14 offset0:32 offset1:48
	ds_load_2addr_b32 v[42:43], v14 offset0:64 offset1:80
	;; [unrolled: 1-line block ×3, first 2 shown]
	ds_load_b128 v[30:33], v15 offset:16
	ds_load_2addr_b32 v[46:47], v14 offset0:128 offset1:144
	ds_load_b128 v[34:37], v15 offset:528
	s_wait_dscnt 0x7
	v_fmac_f32_e32 v20, v39, v22
	v_fmac_f32_e32 v21, v38, v22
	s_wait_dscnt 0x6
	v_fmac_f32_e32 v18, v39, v26
	v_fmac_f32_e32 v19, v38, v26
	ds_load_2addr_b32 v[38:39], v14 offset0:160 offset1:176
	s_wait_dscnt 0x6
	v_fmac_f32_e32 v20, v41, v23
	v_fmac_f32_e32 v21, v40, v23
	v_fmac_f32_e32 v18, v41, v27
	v_fmac_f32_e32 v19, v40, v27
	ds_load_2addr_b32 v[22:23], v14 offset0:192 offset1:208
	s_wait_dscnt 0x6
	v_fmac_f32_e32 v20, v43, v24
	v_fmac_f32_e32 v21, v42, v24
	;; [unrolled: 6-line block ×3, first 2 shown]
	v_fmac_f32_e32 v18, v45, v29
	v_fmac_f32_e32 v19, v44, v29
	s_wait_loadcnt_dscnt 0x0
	v_fmac_f32_e32 v20, v47, v30
	v_fmac_f32_e32 v21, v46, v30
	;; [unrolled: 1-line block ×4, first 2 shown]
	s_barrier_signal -1
	v_fmac_f32_e32 v20, v39, v31
	v_fmac_f32_e32 v21, v38, v31
	;; [unrolled: 1-line block ×4, first 2 shown]
	s_barrier_wait -1
	v_fmac_f32_e32 v20, v23, v32
	v_fmac_f32_e32 v21, v22, v32
	;; [unrolled: 1-line block ×4, first 2 shown]
	global_inv scope:SCOPE_SE
	v_fmac_f32_e32 v20, v27, v33
	v_fmac_f32_e32 v21, v26, v33
	;; [unrolled: 1-line block ×4, first 2 shown]
	s_wait_alu 0xfffe
	s_cbranch_vccnz .LBB47_5
.LBB47_6:                               ;   in Loop: Header=BB47_3 Depth=1
	s_mul_u64 s[20:21], s[22:23], s[2:3]
	s_and_not1_b32 vcc_lo, exec_lo, s33
	s_wait_alu 0xfffe
	s_lshl_b64 s[20:21], s[20:21], 2
	s_wait_alu 0xfffe
	s_add_nc_u64 s[20:21], s[10:11], s[20:21]
	s_cbranch_vccnz .LBB47_8
; %bb.7:                                ;   in Loop: Header=BB47_3 Depth=1
	s_wait_alu 0xfffe
	v_add_co_u32 v10, vcc_lo, s20, v4
	s_wait_alu 0xfffd
	v_add_co_ci_u32_e64 v11, null, s21, v5, vcc_lo
	v_dual_mul_f32 v22, s30, v21 :: v_dual_mul_f32 v23, s30, v20
	s_delay_alu instid0(VALU_DEP_3) | instskip(SKIP_1) | instid1(VALU_DEP_3)
	v_add_co_u32 v8, vcc_lo, v10, v6
	s_wait_alu 0xfffd
	v_add_co_ci_u32_e64 v9, null, v11, v7, vcc_lo
	v_add_co_u32 v10, vcc_lo, v10, s18
	s_wait_alu 0xfffd
	v_add_co_ci_u32_e64 v11, null, s19, v11, vcc_lo
	v_dual_mul_f32 v24, s30, v19 :: v_dual_mul_f32 v25, s30, v18
	s_delay_alu instid0(VALU_DEP_3) | instskip(SKIP_1) | instid1(VALU_DEP_3)
	v_add_co_u32 v10, vcc_lo, v10, v6
	s_wait_alu 0xfffd
	v_add_co_ci_u32_e64 v11, null, v11, v7, vcc_lo
	s_clause 0x3
	global_store_b32 v[8:9], v22, off
	global_store_b32 v[8:9], v23, off offset:64
	global_store_b32 v[10:11], v24, off
	global_store_b32 v[10:11], v25, off offset:64
	s_cbranch_execnz .LBB47_2
	s_branch .LBB47_9
.LBB47_8:                               ;   in Loop: Header=BB47_3 Depth=1
.LBB47_9:                               ;   in Loop: Header=BB47_3 Depth=1
	s_mul_u64 s[24:25], s[8:9], s[2:3]
	s_wait_alu 0xfffe
	s_lshl_b64 s[24:25], s[24:25], 2
	s_wait_alu 0xfffe
	v_add_co_u32 v22, vcc_lo, v16, s24
	s_wait_alu 0xfffd
	v_add_co_ci_u32_e64 v23, null, s25, v17, vcc_lo
	s_delay_alu instid0(VALU_DEP_2) | instskip(SKIP_1) | instid1(VALU_DEP_2)
	v_add_co_u32 v8, vcc_lo, v22, v6
	s_wait_alu 0xfffd
	v_add_co_ci_u32_e64 v9, null, v23, v7, vcc_lo
	v_add_co_u32 v24, vcc_lo, s20, v4
	s_wait_alu 0xfffd
	v_add_co_ci_u32_e64 v25, null, s21, v5, vcc_lo
	global_load_b32 v10, v[8:9], off
	s_wait_loadcnt 0x0
	v_mul_f32_e32 v26, s1, v10
	v_add_co_u32 v10, vcc_lo, v24, v6
	s_wait_alu 0xfffd
	v_add_co_ci_u32_e64 v11, null, v25, v7, vcc_lo
	s_delay_alu instid0(VALU_DEP_3)
	v_fmac_f32_e32 v26, s30, v21
	global_store_b32 v[10:11], v26, off
	global_load_b32 v8, v[8:9], off offset:64
	s_wait_loadcnt 0x0
	v_mul_f32_e32 v21, s1, v8
	v_add_co_u32 v8, vcc_lo, v22, s16
	s_wait_alu 0xfffd
	v_add_co_ci_u32_e64 v9, null, s17, v23, vcc_lo
	s_delay_alu instid0(VALU_DEP_3) | instskip(NEXT) | instid1(VALU_DEP_3)
	v_fmac_f32_e32 v21, s30, v20
	v_add_co_u32 v8, vcc_lo, v8, v6
	s_wait_alu 0xfffd
	s_delay_alu instid0(VALU_DEP_3)
	v_add_co_ci_u32_e64 v9, null, v9, v7, vcc_lo
	global_store_b32 v[10:11], v21, off offset:64
	global_load_b32 v10, v[8:9], off
	s_wait_loadcnt 0x0
	v_mul_f32_e32 v20, s1, v10
	v_add_co_u32 v10, vcc_lo, v24, s18
	s_wait_alu 0xfffd
	v_add_co_ci_u32_e64 v11, null, s19, v25, vcc_lo
	s_delay_alu instid0(VALU_DEP_3) | instskip(NEXT) | instid1(VALU_DEP_3)
	v_fmac_f32_e32 v20, s30, v19
	v_add_co_u32 v10, vcc_lo, v10, v6
	s_wait_alu 0xfffd
	s_delay_alu instid0(VALU_DEP_3) | instskip(SKIP_4) | instid1(VALU_DEP_1)
	v_add_co_ci_u32_e64 v11, null, v11, v7, vcc_lo
	global_store_b32 v[10:11], v20, off
	global_load_b32 v8, v[8:9], off offset:64
	s_wait_loadcnt 0x0
	v_mul_f32_e32 v8, s1, v8
	v_fmac_f32_e32 v8, s30, v18
	global_store_b32 v[10:11], v8, off offset:64
	s_branch .LBB47_2
.LBB47_10:
	s_endpgm
	.section	.rodata,"a",@progbits
	.p2align	6, 0x0
	.amdhsa_kernel _ZN12_GLOBAL__N_127rocblas_gemm_batched_kernelIfLi16ELi16ELi32ELi32ELi8ELi32ELi8ELi8ELi32ELc78ELc67EKfS1_fEEvlllT_PT11_llS4_llS2_PT12_llPT13_lli
		.amdhsa_group_segment_fixed_size 2048
		.amdhsa_private_segment_fixed_size 0
		.amdhsa_kernarg_size 140
		.amdhsa_user_sgpr_count 2
		.amdhsa_user_sgpr_dispatch_ptr 0
		.amdhsa_user_sgpr_queue_ptr 0
		.amdhsa_user_sgpr_kernarg_segment_ptr 1
		.amdhsa_user_sgpr_dispatch_id 0
		.amdhsa_user_sgpr_private_segment_size 0
		.amdhsa_wavefront_size32 1
		.amdhsa_uses_dynamic_stack 0
		.amdhsa_enable_private_segment 0
		.amdhsa_system_sgpr_workgroup_id_x 1
		.amdhsa_system_sgpr_workgroup_id_y 1
		.amdhsa_system_sgpr_workgroup_id_z 1
		.amdhsa_system_sgpr_workgroup_info 0
		.amdhsa_system_vgpr_workitem_id 1
		.amdhsa_next_free_vgpr 48
		.amdhsa_next_free_sgpr 37
		.amdhsa_reserve_vcc 1
		.amdhsa_float_round_mode_32 0
		.amdhsa_float_round_mode_16_64 0
		.amdhsa_float_denorm_mode_32 3
		.amdhsa_float_denorm_mode_16_64 3
		.amdhsa_fp16_overflow 0
		.amdhsa_workgroup_processor_mode 1
		.amdhsa_memory_ordered 1
		.amdhsa_forward_progress 1
		.amdhsa_inst_pref_size 13
		.amdhsa_round_robin_scheduling 0
		.amdhsa_exception_fp_ieee_invalid_op 0
		.amdhsa_exception_fp_denorm_src 0
		.amdhsa_exception_fp_ieee_div_zero 0
		.amdhsa_exception_fp_ieee_overflow 0
		.amdhsa_exception_fp_ieee_underflow 0
		.amdhsa_exception_fp_ieee_inexact 0
		.amdhsa_exception_int_div_zero 0
	.end_amdhsa_kernel
	.section	.text._ZN12_GLOBAL__N_127rocblas_gemm_batched_kernelIfLi16ELi16ELi32ELi32ELi8ELi32ELi8ELi8ELi32ELc78ELc67EKfS1_fEEvlllT_PT11_llS4_llS2_PT12_llPT13_lli,"axG",@progbits,_ZN12_GLOBAL__N_127rocblas_gemm_batched_kernelIfLi16ELi16ELi32ELi32ELi8ELi32ELi8ELi8ELi32ELc78ELc67EKfS1_fEEvlllT_PT11_llS4_llS2_PT12_llPT13_lli,comdat
.Lfunc_end47:
	.size	_ZN12_GLOBAL__N_127rocblas_gemm_batched_kernelIfLi16ELi16ELi32ELi32ELi8ELi32ELi8ELi8ELi32ELc78ELc67EKfS1_fEEvlllT_PT11_llS4_llS2_PT12_llPT13_lli, .Lfunc_end47-_ZN12_GLOBAL__N_127rocblas_gemm_batched_kernelIfLi16ELi16ELi32ELi32ELi8ELi32ELi8ELi8ELi32ELc78ELc67EKfS1_fEEvlllT_PT11_llS4_llS2_PT12_llPT13_lli
                                        ; -- End function
	.set _ZN12_GLOBAL__N_127rocblas_gemm_batched_kernelIfLi16ELi16ELi32ELi32ELi8ELi32ELi8ELi8ELi32ELc78ELc67EKfS1_fEEvlllT_PT11_llS4_llS2_PT12_llPT13_lli.num_vgpr, 48
	.set _ZN12_GLOBAL__N_127rocblas_gemm_batched_kernelIfLi16ELi16ELi32ELi32ELi8ELi32ELi8ELi8ELi32ELc78ELc67EKfS1_fEEvlllT_PT11_llS4_llS2_PT12_llPT13_lli.num_agpr, 0
	.set _ZN12_GLOBAL__N_127rocblas_gemm_batched_kernelIfLi16ELi16ELi32ELi32ELi8ELi32ELi8ELi8ELi32ELc78ELc67EKfS1_fEEvlllT_PT11_llS4_llS2_PT12_llPT13_lli.numbered_sgpr, 37
	.set _ZN12_GLOBAL__N_127rocblas_gemm_batched_kernelIfLi16ELi16ELi32ELi32ELi8ELi32ELi8ELi8ELi32ELc78ELc67EKfS1_fEEvlllT_PT11_llS4_llS2_PT12_llPT13_lli.num_named_barrier, 0
	.set _ZN12_GLOBAL__N_127rocblas_gemm_batched_kernelIfLi16ELi16ELi32ELi32ELi8ELi32ELi8ELi8ELi32ELc78ELc67EKfS1_fEEvlllT_PT11_llS4_llS2_PT12_llPT13_lli.private_seg_size, 0
	.set _ZN12_GLOBAL__N_127rocblas_gemm_batched_kernelIfLi16ELi16ELi32ELi32ELi8ELi32ELi8ELi8ELi32ELc78ELc67EKfS1_fEEvlllT_PT11_llS4_llS2_PT12_llPT13_lli.uses_vcc, 1
	.set _ZN12_GLOBAL__N_127rocblas_gemm_batched_kernelIfLi16ELi16ELi32ELi32ELi8ELi32ELi8ELi8ELi32ELc78ELc67EKfS1_fEEvlllT_PT11_llS4_llS2_PT12_llPT13_lli.uses_flat_scratch, 0
	.set _ZN12_GLOBAL__N_127rocblas_gemm_batched_kernelIfLi16ELi16ELi32ELi32ELi8ELi32ELi8ELi8ELi32ELc78ELc67EKfS1_fEEvlllT_PT11_llS4_llS2_PT12_llPT13_lli.has_dyn_sized_stack, 0
	.set _ZN12_GLOBAL__N_127rocblas_gemm_batched_kernelIfLi16ELi16ELi32ELi32ELi8ELi32ELi8ELi8ELi32ELc78ELc67EKfS1_fEEvlllT_PT11_llS4_llS2_PT12_llPT13_lli.has_recursion, 0
	.set _ZN12_GLOBAL__N_127rocblas_gemm_batched_kernelIfLi16ELi16ELi32ELi32ELi8ELi32ELi8ELi8ELi32ELc78ELc67EKfS1_fEEvlllT_PT11_llS4_llS2_PT12_llPT13_lli.has_indirect_call, 0
	.section	.AMDGPU.csdata,"",@progbits
; Kernel info:
; codeLenInByte = 1580
; TotalNumSgprs: 39
; NumVgprs: 48
; ScratchSize: 0
; MemoryBound: 0
; FloatMode: 240
; IeeeMode: 1
; LDSByteSize: 2048 bytes/workgroup (compile time only)
; SGPRBlocks: 0
; VGPRBlocks: 5
; NumSGPRsForWavesPerEU: 39
; NumVGPRsForWavesPerEU: 48
; Occupancy: 16
; WaveLimiterHint : 0
; COMPUTE_PGM_RSRC2:SCRATCH_EN: 0
; COMPUTE_PGM_RSRC2:USER_SGPR: 2
; COMPUTE_PGM_RSRC2:TRAP_HANDLER: 0
; COMPUTE_PGM_RSRC2:TGID_X_EN: 1
; COMPUTE_PGM_RSRC2:TGID_Y_EN: 1
; COMPUTE_PGM_RSRC2:TGID_Z_EN: 1
; COMPUTE_PGM_RSRC2:TIDIG_COMP_CNT: 1
	.section	.text._ZN12_GLOBAL__N_127rocblas_gemm_batched_kernelIfLi16ELi16ELi32ELi32ELi8ELi32ELi8ELi8ELi32ELc84ELc67EKfS1_fEEvlllT_PT11_llS4_llS2_PT12_llPT13_lli,"axG",@progbits,_ZN12_GLOBAL__N_127rocblas_gemm_batched_kernelIfLi16ELi16ELi32ELi32ELi8ELi32ELi8ELi8ELi32ELc84ELc67EKfS1_fEEvlllT_PT11_llS4_llS2_PT12_llPT13_lli,comdat
	.globl	_ZN12_GLOBAL__N_127rocblas_gemm_batched_kernelIfLi16ELi16ELi32ELi32ELi8ELi32ELi8ELi8ELi32ELc84ELc67EKfS1_fEEvlllT_PT11_llS4_llS2_PT12_llPT13_lli ; -- Begin function _ZN12_GLOBAL__N_127rocblas_gemm_batched_kernelIfLi16ELi16ELi32ELi32ELi8ELi32ELi8ELi8ELi32ELc84ELc67EKfS1_fEEvlllT_PT11_llS4_llS2_PT12_llPT13_lli
	.p2align	8
	.type	_ZN12_GLOBAL__N_127rocblas_gemm_batched_kernelIfLi16ELi16ELi32ELi32ELi8ELi32ELi8ELi8ELi32ELc84ELc67EKfS1_fEEvlllT_PT11_llS4_llS2_PT12_llPT13_lli,@function
_ZN12_GLOBAL__N_127rocblas_gemm_batched_kernelIfLi16ELi16ELi32ELi32ELi8ELi32ELi8ELi8ELi32ELc84ELc67EKfS1_fEEvlllT_PT11_llS4_llS2_PT12_llPT13_lli: ; @_ZN12_GLOBAL__N_127rocblas_gemm_batched_kernelIfLi16ELi16ELi32ELi32ELi8ELi32ELi8ELi8ELi32ELc84ELc67EKfS1_fEEvlllT_PT11_llS4_llS2_PT12_llPT13_lli
; %bb.0:
	s_load_b32 s31, s[0:1], 0x88
	s_lshr_b32 s2, ttmp7, 16
	s_wait_kmcnt 0x0
	s_cmp_ge_i32 s2, s31
	s_cbranch_scc1 .LBB48_10
; %bb.1:
	v_dual_mov_b32 v1, 0 :: v_dual_and_b32 v8, 0x3ff, v0
	v_bfe_u32 v6, v0, 10, 10
	s_clause 0x5
	s_load_b96 s[28:30], s[0:1], 0x10
	s_load_b128 s[20:23], s[0:1], 0x78
	s_load_b256 s[12:19], s[0:1], 0x20
	s_load_b256 s[4:11], s[0:1], 0x58
	s_load_b128 s[24:27], s[0:1], 0x40
	s_load_b32 s1, s[0:1], 0x50
	v_and_b32_e32 v9, 7, v0
	s_lshl_b32 s0, ttmp7, 5
	v_lshl_add_u32 v2, v6, 4, v8
	s_and_b32 s0, s0, 0x1fffe0
	v_lshl_add_u32 v15, v6, 5, 0x400
	v_add_nc_u32_e32 v7, s0, v6
	v_lshlrev_b32_e32 v3, 2, v9
	v_and_b32_e32 v10, 31, v2
	v_lshrrev_b32_e32 v0, 3, v2
	v_lshrrev_b32_e32 v18, 5, v2
	s_mov_b32 s34, ttmp9
	s_ashr_i32 s35, ttmp9, 31
	v_lshlrev_b32_e32 v2, 2, v10
	v_lshl_or_b32 v11, v0, 5, v3
	s_lshl_b64 s[34:35], s[34:35], 5
	v_lshlrev_b32_e32 v14, 2, v8
	s_wait_kmcnt 0x0
	v_mad_co_u64_u32 v[4:5], null, v7, s20, 0
	v_lshl_or_b32 v12, v18, 7, v2
	v_mad_co_u64_u32 v[2:3], null, v7, s6, 0
	v_mad_co_u64_u32 v[0:1], null, s24, v9, v[0:1]
	v_add_nc_u32_e32 v13, 0x400, v11
	v_mad_co_u64_u32 v[5:6], null, v7, s21, v[5:6]
	s_cmp_eq_f32 s1, 0
	v_mad_co_u64_u32 v[6:7], null, v7, s7, v[3:4]
	v_add_co_u32 v0, vcc_lo, v0, s0
	s_mul_i32 s0, s14, s35
	v_add_co_u32 v7, s36, s34, v8
	s_delay_alu instid0(VALU_DEP_1) | instskip(SKIP_4) | instid1(VALU_DEP_4)
	v_add_co_ci_u32_e64 v8, null, s35, 0, s36
	v_mov_b32_e32 v3, v6
	v_or_b32_e32 v11, s34, v10
	v_mad_co_u64_u32 v[9:10], null, s25, v9, v[1:2]
	v_lshlrev_b64_e32 v[4:5], 2, v[4:5]
	v_lshlrev_b64_e32 v[2:3], 2, v[2:3]
	s_delay_alu instid0(VALU_DEP_4)
	v_mul_lo_u32 v6, s15, v11
	v_mad_co_u64_u32 v[10:11], null, s14, v11, 0
	s_cselect_b32 s33, -1, 0
	v_add_co_ci_u32_e64 v1, null, 0, v9, vcc_lo
	v_add_co_u32 v16, vcc_lo, s4, v2
	s_wait_alu 0xfffd
	v_add_co_ci_u32_e64 v17, null, s5, v3, vcc_lo
	s_wait_alu 0xfffe
	v_add3_u32 v11, v11, s0, v6
	v_lshlrev_b64_e32 v[0:1], 2, v[0:1]
	v_lshlrev_b32_e32 v6, 2, v18
	v_cmp_gt_i64_e64 s0, s[28:29], 0
	s_lshl_b64 s[20:21], s[20:21], 4
	v_lshlrev_b64_e32 v[2:3], 2, v[10:11]
	s_lshl_b64 s[36:37], s[6:7], 4
	v_add_co_u32 v0, vcc_lo, s18, v0
	s_wait_alu 0xfffd
	v_add_co_ci_u32_e64 v1, null, s19, v1, vcc_lo
	s_delay_alu instid0(VALU_DEP_3) | instskip(SKIP_3) | instid1(VALU_DEP_3)
	v_add_co_u32 v2, vcc_lo, v2, v6
	s_wait_alu 0xfffd
	v_add_co_ci_u32_e64 v3, null, 0, v3, vcc_lo
	v_cndmask_b32_e64 v9, 0, 1, s0
	v_add_co_u32 v2, vcc_lo, s12, v2
	v_lshlrev_b64_e32 v[6:7], 2, v[7:8]
	s_wait_alu 0xfffd
	v_add_co_ci_u32_e64 v3, null, s13, v3, vcc_lo
	v_cmp_ne_u32_e64 s0, 1, v9
	s_mov_b32 s3, 0
	s_lshl_b64 s[4:5], s[26:27], 2
	s_lshl_b64 s[6:7], s[24:25], 5
	;; [unrolled: 1-line block ×3, first 2 shown]
	s_wait_alu 0xfffe
	s_lshl_b64 s[14:15], s[36:37], 2
	s_lshl_b64 s[16:17], s[20:21], 2
	s_branch .LBB48_3
.LBB48_2:                               ;   in Loop: Header=BB48_3 Depth=1
	s_add_co_i32 s2, s2, 0x10000
	s_wait_alu 0xfffe
	s_cmp_lt_i32 s2, s31
	s_cbranch_scc0 .LBB48_10
.LBB48_3:                               ; =>This Loop Header: Depth=1
                                        ;     Child Loop BB48_5 Depth 2
	v_dual_mov_b32 v21, 0 :: v_dual_mov_b32 v20, 0
	v_dual_mov_b32 v19, 0 :: v_dual_mov_b32 v18, 0
	s_and_b32 vcc_lo, exec_lo, s0
	s_wait_alu 0xfffe
	s_cbranch_vccnz .LBB48_6
; %bb.4:                                ;   in Loop: Header=BB48_3 Depth=1
	v_mad_co_u64_u32 v[8:9], null, s4, s2, v[0:1]
	v_mad_co_u64_u32 v[10:11], null, s12, s2, v[2:3]
	v_dual_mov_b32 v18, 0 :: v_dual_mov_b32 v19, 0
	s_mov_b64 s[18:19], 0
	s_delay_alu instid0(VALU_DEP_2) | instskip(NEXT) | instid1(VALU_DEP_3)
	v_mad_co_u64_u32 v[21:22], null, s5, s2, v[9:10]
	v_mad_co_u64_u32 v[22:23], null, s13, s2, v[11:12]
	s_delay_alu instid0(VALU_DEP_2) | instskip(SKIP_1) | instid1(VALU_DEP_3)
	v_dual_mov_b32 v20, 0 :: v_dual_mov_b32 v9, v21
	v_mov_b32_e32 v21, 0
	v_mov_b32_e32 v11, v22
.LBB48_5:                               ;   Parent Loop BB48_3 Depth=1
                                        ; =>  This Inner Loop Header: Depth=2
	global_load_b32 v22, v[10:11], off
	global_load_b32 v23, v[8:9], off
	s_wait_alu 0xfffe
	s_add_nc_u64 s[18:19], s[18:19], 8
	v_add_co_u32 v8, vcc_lo, v8, s6
	s_wait_alu 0xfffe
	v_cmp_lt_i64_e64 s20, s[18:19], s[28:29]
	s_wait_alu 0xfffd
	v_add_co_ci_u32_e64 v9, null, s7, v9, vcc_lo
	v_add_co_u32 v10, vcc_lo, v10, 32
	s_wait_alu 0xfffd
	v_add_co_ci_u32_e64 v11, null, 0, v11, vcc_lo
	s_and_b32 vcc_lo, exec_lo, s20
	s_wait_loadcnt 0x1
	ds_store_b32 v12, v22
	s_wait_loadcnt 0x0
	ds_store_b32 v13, v23
	s_wait_dscnt 0x0
	s_barrier_signal -1
	s_barrier_wait -1
	global_inv scope:SCOPE_SE
	ds_load_b128 v[22:25], v15
	ds_load_2addr_b32 v[38:39], v14 offset1:16
	ds_load_b128 v[26:29], v15 offset:512
	ds_load_2addr_b32 v[40:41], v14 offset0:32 offset1:48
	ds_load_2addr_b32 v[42:43], v14 offset0:64 offset1:80
	;; [unrolled: 1-line block ×3, first 2 shown]
	ds_load_b128 v[30:33], v15 offset:16
	ds_load_2addr_b32 v[46:47], v14 offset0:128 offset1:144
	ds_load_b128 v[34:37], v15 offset:528
	s_wait_dscnt 0x7
	v_fmac_f32_e32 v20, v39, v22
	v_fmac_f32_e32 v21, v38, v22
	s_wait_dscnt 0x6
	v_fmac_f32_e32 v18, v39, v26
	v_fmac_f32_e32 v19, v38, v26
	ds_load_2addr_b32 v[38:39], v14 offset0:160 offset1:176
	s_wait_dscnt 0x6
	v_fmac_f32_e32 v20, v41, v23
	v_fmac_f32_e32 v21, v40, v23
	v_fmac_f32_e32 v18, v41, v27
	v_fmac_f32_e32 v19, v40, v27
	ds_load_2addr_b32 v[22:23], v14 offset0:192 offset1:208
	s_wait_dscnt 0x6
	v_fmac_f32_e32 v20, v43, v24
	v_fmac_f32_e32 v21, v42, v24
	;; [unrolled: 6-line block ×3, first 2 shown]
	v_fmac_f32_e32 v18, v45, v29
	v_fmac_f32_e32 v19, v44, v29
	s_wait_loadcnt_dscnt 0x0
	v_fmac_f32_e32 v20, v47, v30
	v_fmac_f32_e32 v21, v46, v30
	;; [unrolled: 1-line block ×4, first 2 shown]
	s_barrier_signal -1
	v_fmac_f32_e32 v20, v39, v31
	v_fmac_f32_e32 v21, v38, v31
	;; [unrolled: 1-line block ×4, first 2 shown]
	s_barrier_wait -1
	v_fmac_f32_e32 v20, v23, v32
	v_fmac_f32_e32 v21, v22, v32
	;; [unrolled: 1-line block ×4, first 2 shown]
	global_inv scope:SCOPE_SE
	v_fmac_f32_e32 v20, v27, v33
	v_fmac_f32_e32 v21, v26, v33
	;; [unrolled: 1-line block ×4, first 2 shown]
	s_wait_alu 0xfffe
	s_cbranch_vccnz .LBB48_5
.LBB48_6:                               ;   in Loop: Header=BB48_3 Depth=1
	s_mul_u64 s[18:19], s[22:23], s[2:3]
	s_and_not1_b32 vcc_lo, exec_lo, s33
	s_wait_alu 0xfffe
	s_lshl_b64 s[18:19], s[18:19], 2
	s_wait_alu 0xfffe
	s_add_nc_u64 s[18:19], s[10:11], s[18:19]
	s_cbranch_vccnz .LBB48_8
; %bb.7:                                ;   in Loop: Header=BB48_3 Depth=1
	s_wait_alu 0xfffe
	v_add_co_u32 v10, vcc_lo, s18, v4
	s_wait_alu 0xfffd
	v_add_co_ci_u32_e64 v11, null, s19, v5, vcc_lo
	v_dual_mul_f32 v22, s30, v21 :: v_dual_mul_f32 v23, s30, v20
	s_delay_alu instid0(VALU_DEP_3) | instskip(SKIP_1) | instid1(VALU_DEP_3)
	v_add_co_u32 v8, vcc_lo, v10, v6
	s_wait_alu 0xfffd
	v_add_co_ci_u32_e64 v9, null, v11, v7, vcc_lo
	v_add_co_u32 v10, vcc_lo, v10, s16
	s_wait_alu 0xfffd
	v_add_co_ci_u32_e64 v11, null, s17, v11, vcc_lo
	v_dual_mul_f32 v24, s30, v19 :: v_dual_mul_f32 v25, s30, v18
	s_delay_alu instid0(VALU_DEP_3) | instskip(SKIP_1) | instid1(VALU_DEP_3)
	v_add_co_u32 v10, vcc_lo, v10, v6
	s_wait_alu 0xfffd
	v_add_co_ci_u32_e64 v11, null, v11, v7, vcc_lo
	s_clause 0x3
	global_store_b32 v[8:9], v22, off
	global_store_b32 v[8:9], v23, off offset:64
	global_store_b32 v[10:11], v24, off
	global_store_b32 v[10:11], v25, off offset:64
	s_cbranch_execnz .LBB48_2
	s_branch .LBB48_9
.LBB48_8:                               ;   in Loop: Header=BB48_3 Depth=1
.LBB48_9:                               ;   in Loop: Header=BB48_3 Depth=1
	s_mul_u64 s[20:21], s[8:9], s[2:3]
	s_wait_alu 0xfffe
	s_lshl_b64 s[20:21], s[20:21], 2
	s_wait_alu 0xfffe
	v_add_co_u32 v22, vcc_lo, v16, s20
	s_wait_alu 0xfffd
	v_add_co_ci_u32_e64 v23, null, s21, v17, vcc_lo
	s_delay_alu instid0(VALU_DEP_2) | instskip(SKIP_1) | instid1(VALU_DEP_2)
	v_add_co_u32 v8, vcc_lo, v22, v6
	s_wait_alu 0xfffd
	v_add_co_ci_u32_e64 v9, null, v23, v7, vcc_lo
	v_add_co_u32 v24, vcc_lo, s18, v4
	s_wait_alu 0xfffd
	v_add_co_ci_u32_e64 v25, null, s19, v5, vcc_lo
	global_load_b32 v10, v[8:9], off
	s_wait_loadcnt 0x0
	v_mul_f32_e32 v26, s1, v10
	v_add_co_u32 v10, vcc_lo, v24, v6
	s_wait_alu 0xfffd
	v_add_co_ci_u32_e64 v11, null, v25, v7, vcc_lo
	s_delay_alu instid0(VALU_DEP_3)
	v_fmac_f32_e32 v26, s30, v21
	global_store_b32 v[10:11], v26, off
	global_load_b32 v8, v[8:9], off offset:64
	s_wait_loadcnt 0x0
	v_mul_f32_e32 v21, s1, v8
	v_add_co_u32 v8, vcc_lo, v22, s14
	s_wait_alu 0xfffd
	v_add_co_ci_u32_e64 v9, null, s15, v23, vcc_lo
	s_delay_alu instid0(VALU_DEP_3) | instskip(NEXT) | instid1(VALU_DEP_3)
	v_fmac_f32_e32 v21, s30, v20
	v_add_co_u32 v8, vcc_lo, v8, v6
	s_wait_alu 0xfffd
	s_delay_alu instid0(VALU_DEP_3)
	v_add_co_ci_u32_e64 v9, null, v9, v7, vcc_lo
	global_store_b32 v[10:11], v21, off offset:64
	global_load_b32 v10, v[8:9], off
	s_wait_loadcnt 0x0
	v_mul_f32_e32 v20, s1, v10
	v_add_co_u32 v10, vcc_lo, v24, s16
	s_wait_alu 0xfffd
	v_add_co_ci_u32_e64 v11, null, s17, v25, vcc_lo
	s_delay_alu instid0(VALU_DEP_3) | instskip(NEXT) | instid1(VALU_DEP_3)
	v_fmac_f32_e32 v20, s30, v19
	v_add_co_u32 v10, vcc_lo, v10, v6
	s_wait_alu 0xfffd
	s_delay_alu instid0(VALU_DEP_3) | instskip(SKIP_4) | instid1(VALU_DEP_1)
	v_add_co_ci_u32_e64 v11, null, v11, v7, vcc_lo
	global_store_b32 v[10:11], v20, off
	global_load_b32 v8, v[8:9], off offset:64
	s_wait_loadcnt 0x0
	v_mul_f32_e32 v8, s1, v8
	v_fmac_f32_e32 v8, s30, v18
	global_store_b32 v[10:11], v8, off offset:64
	s_branch .LBB48_2
.LBB48_10:
	s_endpgm
	.section	.rodata,"a",@progbits
	.p2align	6, 0x0
	.amdhsa_kernel _ZN12_GLOBAL__N_127rocblas_gemm_batched_kernelIfLi16ELi16ELi32ELi32ELi8ELi32ELi8ELi8ELi32ELc84ELc67EKfS1_fEEvlllT_PT11_llS4_llS2_PT12_llPT13_lli
		.amdhsa_group_segment_fixed_size 2048
		.amdhsa_private_segment_fixed_size 0
		.amdhsa_kernarg_size 140
		.amdhsa_user_sgpr_count 2
		.amdhsa_user_sgpr_dispatch_ptr 0
		.amdhsa_user_sgpr_queue_ptr 0
		.amdhsa_user_sgpr_kernarg_segment_ptr 1
		.amdhsa_user_sgpr_dispatch_id 0
		.amdhsa_user_sgpr_private_segment_size 0
		.amdhsa_wavefront_size32 1
		.amdhsa_uses_dynamic_stack 0
		.amdhsa_enable_private_segment 0
		.amdhsa_system_sgpr_workgroup_id_x 1
		.amdhsa_system_sgpr_workgroup_id_y 1
		.amdhsa_system_sgpr_workgroup_id_z 1
		.amdhsa_system_sgpr_workgroup_info 0
		.amdhsa_system_vgpr_workitem_id 1
		.amdhsa_next_free_vgpr 48
		.amdhsa_next_free_sgpr 38
		.amdhsa_reserve_vcc 1
		.amdhsa_float_round_mode_32 0
		.amdhsa_float_round_mode_16_64 0
		.amdhsa_float_denorm_mode_32 3
		.amdhsa_float_denorm_mode_16_64 3
		.amdhsa_fp16_overflow 0
		.amdhsa_workgroup_processor_mode 1
		.amdhsa_memory_ordered 1
		.amdhsa_forward_progress 1
		.amdhsa_inst_pref_size 13
		.amdhsa_round_robin_scheduling 0
		.amdhsa_exception_fp_ieee_invalid_op 0
		.amdhsa_exception_fp_denorm_src 0
		.amdhsa_exception_fp_ieee_div_zero 0
		.amdhsa_exception_fp_ieee_overflow 0
		.amdhsa_exception_fp_ieee_underflow 0
		.amdhsa_exception_fp_ieee_inexact 0
		.amdhsa_exception_int_div_zero 0
	.end_amdhsa_kernel
	.section	.text._ZN12_GLOBAL__N_127rocblas_gemm_batched_kernelIfLi16ELi16ELi32ELi32ELi8ELi32ELi8ELi8ELi32ELc84ELc67EKfS1_fEEvlllT_PT11_llS4_llS2_PT12_llPT13_lli,"axG",@progbits,_ZN12_GLOBAL__N_127rocblas_gemm_batched_kernelIfLi16ELi16ELi32ELi32ELi8ELi32ELi8ELi8ELi32ELc84ELc67EKfS1_fEEvlllT_PT11_llS4_llS2_PT12_llPT13_lli,comdat
.Lfunc_end48:
	.size	_ZN12_GLOBAL__N_127rocblas_gemm_batched_kernelIfLi16ELi16ELi32ELi32ELi8ELi32ELi8ELi8ELi32ELc84ELc67EKfS1_fEEvlllT_PT11_llS4_llS2_PT12_llPT13_lli, .Lfunc_end48-_ZN12_GLOBAL__N_127rocblas_gemm_batched_kernelIfLi16ELi16ELi32ELi32ELi8ELi32ELi8ELi8ELi32ELc84ELc67EKfS1_fEEvlllT_PT11_llS4_llS2_PT12_llPT13_lli
                                        ; -- End function
	.set _ZN12_GLOBAL__N_127rocblas_gemm_batched_kernelIfLi16ELi16ELi32ELi32ELi8ELi32ELi8ELi8ELi32ELc84ELc67EKfS1_fEEvlllT_PT11_llS4_llS2_PT12_llPT13_lli.num_vgpr, 48
	.set _ZN12_GLOBAL__N_127rocblas_gemm_batched_kernelIfLi16ELi16ELi32ELi32ELi8ELi32ELi8ELi8ELi32ELc84ELc67EKfS1_fEEvlllT_PT11_llS4_llS2_PT12_llPT13_lli.num_agpr, 0
	.set _ZN12_GLOBAL__N_127rocblas_gemm_batched_kernelIfLi16ELi16ELi32ELi32ELi8ELi32ELi8ELi8ELi32ELc84ELc67EKfS1_fEEvlllT_PT11_llS4_llS2_PT12_llPT13_lli.numbered_sgpr, 38
	.set _ZN12_GLOBAL__N_127rocblas_gemm_batched_kernelIfLi16ELi16ELi32ELi32ELi8ELi32ELi8ELi8ELi32ELc84ELc67EKfS1_fEEvlllT_PT11_llS4_llS2_PT12_llPT13_lli.num_named_barrier, 0
	.set _ZN12_GLOBAL__N_127rocblas_gemm_batched_kernelIfLi16ELi16ELi32ELi32ELi8ELi32ELi8ELi8ELi32ELc84ELc67EKfS1_fEEvlllT_PT11_llS4_llS2_PT12_llPT13_lli.private_seg_size, 0
	.set _ZN12_GLOBAL__N_127rocblas_gemm_batched_kernelIfLi16ELi16ELi32ELi32ELi8ELi32ELi8ELi8ELi32ELc84ELc67EKfS1_fEEvlllT_PT11_llS4_llS2_PT12_llPT13_lli.uses_vcc, 1
	.set _ZN12_GLOBAL__N_127rocblas_gemm_batched_kernelIfLi16ELi16ELi32ELi32ELi8ELi32ELi8ELi8ELi32ELc84ELc67EKfS1_fEEvlllT_PT11_llS4_llS2_PT12_llPT13_lli.uses_flat_scratch, 0
	.set _ZN12_GLOBAL__N_127rocblas_gemm_batched_kernelIfLi16ELi16ELi32ELi32ELi8ELi32ELi8ELi8ELi32ELc84ELc67EKfS1_fEEvlllT_PT11_llS4_llS2_PT12_llPT13_lli.has_dyn_sized_stack, 0
	.set _ZN12_GLOBAL__N_127rocblas_gemm_batched_kernelIfLi16ELi16ELi32ELi32ELi8ELi32ELi8ELi8ELi32ELc84ELc67EKfS1_fEEvlllT_PT11_llS4_llS2_PT12_llPT13_lli.has_recursion, 0
	.set _ZN12_GLOBAL__N_127rocblas_gemm_batched_kernelIfLi16ELi16ELi32ELi32ELi8ELi32ELi8ELi8ELi32ELc84ELc67EKfS1_fEEvlllT_PT11_llS4_llS2_PT12_llPT13_lli.has_indirect_call, 0
	.section	.AMDGPU.csdata,"",@progbits
; Kernel info:
; codeLenInByte = 1584
; TotalNumSgprs: 40
; NumVgprs: 48
; ScratchSize: 0
; MemoryBound: 0
; FloatMode: 240
; IeeeMode: 1
; LDSByteSize: 2048 bytes/workgroup (compile time only)
; SGPRBlocks: 0
; VGPRBlocks: 5
; NumSGPRsForWavesPerEU: 40
; NumVGPRsForWavesPerEU: 48
; Occupancy: 16
; WaveLimiterHint : 0
; COMPUTE_PGM_RSRC2:SCRATCH_EN: 0
; COMPUTE_PGM_RSRC2:USER_SGPR: 2
; COMPUTE_PGM_RSRC2:TRAP_HANDLER: 0
; COMPUTE_PGM_RSRC2:TGID_X_EN: 1
; COMPUTE_PGM_RSRC2:TGID_Y_EN: 1
; COMPUTE_PGM_RSRC2:TGID_Z_EN: 1
; COMPUTE_PGM_RSRC2:TIDIG_COMP_CNT: 1
	.section	.text._ZN12_GLOBAL__N_135rocblas_gemm_batched_general_kernelIfLi16ELi16ELi32ELi32ELi8ELi32ELi8ELi8ELi32ELc78ELc78EKfS1_fEEvlllT_PT11_llS4_llS2_PT12_llPT13_lli,"axG",@progbits,_ZN12_GLOBAL__N_135rocblas_gemm_batched_general_kernelIfLi16ELi16ELi32ELi32ELi8ELi32ELi8ELi8ELi32ELc78ELc78EKfS1_fEEvlllT_PT11_llS4_llS2_PT12_llPT13_lli,comdat
	.globl	_ZN12_GLOBAL__N_135rocblas_gemm_batched_general_kernelIfLi16ELi16ELi32ELi32ELi8ELi32ELi8ELi8ELi32ELc78ELc78EKfS1_fEEvlllT_PT11_llS4_llS2_PT12_llPT13_lli ; -- Begin function _ZN12_GLOBAL__N_135rocblas_gemm_batched_general_kernelIfLi16ELi16ELi32ELi32ELi8ELi32ELi8ELi8ELi32ELc78ELc78EKfS1_fEEvlllT_PT11_llS4_llS2_PT12_llPT13_lli
	.p2align	8
	.type	_ZN12_GLOBAL__N_135rocblas_gemm_batched_general_kernelIfLi16ELi16ELi32ELi32ELi8ELi32ELi8ELi8ELi32ELc78ELc78EKfS1_fEEvlllT_PT11_llS4_llS2_PT12_llPT13_lli,@function
_ZN12_GLOBAL__N_135rocblas_gemm_batched_general_kernelIfLi16ELi16ELi32ELi32ELi8ELi32ELi8ELi8ELi32ELc78ELc78EKfS1_fEEvlllT_PT11_llS4_llS2_PT12_llPT13_lli: ; @_ZN12_GLOBAL__N_135rocblas_gemm_batched_general_kernelIfLi16ELi16ELi32ELi32ELi8ELi32ELi8ELi8ELi32ELc78ELc78EKfS1_fEEvlllT_PT11_llS4_llS2_PT12_llPT13_lli
; %bb.0:
	s_load_b32 s33, s[0:1], 0x88
	s_lshr_b32 s34, ttmp7, 16
	s_wait_kmcnt 0x0
	s_cmp_ge_i32 s34, s33
	s_cbranch_scc1 .LBB49_34
; %bb.1:
	v_bfe_u32 v2, v0, 10, 10
	v_and_b32_e32 v3, 0x3ff, v0
	s_clause 0x2
	s_load_b128 s[28:31], s[0:1], 0x0
	s_load_b96 s[36:38], s[0:1], 0x10
	s_load_b256 s[16:23], s[0:1], 0x20
	s_mov_b32 s40, ttmp9
	s_ashr_i32 s41, ttmp9, 31
	s_clause 0x3
	s_load_b128 s[4:7], s[0:1], 0x40
	s_load_b32 s39, s[0:1], 0x50
	s_load_b128 s[24:27], s[0:1], 0x78
	s_load_b256 s[8:15], s[0:1], 0x58
	v_lshl_add_u32 v1, v2, 4, v3
	s_lshl_b64 s[2:3], s[40:41], 5
	s_and_b32 s0, ttmp7, 0xffff
	v_and_b32_e32 v13, 7, v0
	s_lshl_b32 s42, s0, 5
	v_and_b32_e32 v4, 31, v1
	v_lshrrev_b32_e32 v6, 3, v1
	v_lshrrev_b32_e32 v12, 5, v1
	v_mov_b32_e32 v1, s3
	v_lshl_add_u32 v17, v2, 5, 0x400
	v_or_b32_e32 v0, s2, v4
	v_lshlrev_b32_e32 v23, 2, v4
	v_add_co_u32 v4, s0, v6, s42
	s_delay_alu instid0(VALU_DEP_1)
	v_add_co_ci_u32_e64 v5, null, 0, 0, s0
	s_wait_kmcnt 0x0
	v_cmp_gt_i64_e64 s0, s[28:29], v[0:1]
	v_add_co_u32 v0, s2, s2, v3
	s_wait_alu 0xf1ff
	v_add_co_ci_u32_e64 v1, null, s3, 0, s2
	v_cmp_gt_i64_e64 s1, s[30:31], v[4:5]
	s_delay_alu instid0(VALU_DEP_3) | instskip(SKIP_1) | instid1(VALU_DEP_4)
	v_add_co_u32 v9, vcc_lo, v0, 16
	v_add_co_u32 v5, s42, s42, v2
	v_add_co_ci_u32_e64 v10, null, 0, v1, vcc_lo
	v_mad_co_u64_u32 v[18:19], null, s4, v4, 0
	s_delay_alu instid0(VALU_DEP_3) | instskip(NEXT) | instid1(VALU_DEP_3)
	v_mad_co_u64_u32 v[7:8], null, v5, s10, 0
	v_cmp_gt_i64_e64 s4, s[28:29], v[9:10]
	v_mad_co_u64_u32 v[9:10], null, s18, v12, 0
	v_lshlrev_b32_e32 v16, 2, v3
	v_mad_co_u64_u32 v[2:3], null, v5, s24, 0
	v_dual_mov_b32 v11, v19 :: v_dual_lshlrev_b32 v24, 2, v13
	s_cmp_eq_f32 s39, 0
	v_cmp_gt_i64_e64 s3, s[28:29], v[0:1]
	v_lshl_or_b32 v14, v12, 7, v23
	s_delay_alu instid0(VALU_DEP_3) | instskip(SKIP_2) | instid1(VALU_DEP_3)
	v_lshl_or_b32 v6, v6, 5, v24
	v_mad_co_u64_u32 v[19:20], null, v5, s25, v[3:4]
	v_mad_co_u64_u32 v[20:21], null, v5, s11, v[8:9]
	v_add_nc_u32_e32 v15, 0x400, v6
	s_wait_alu 0xf1ff
	v_add_co_ci_u32_e64 v6, null, 0, 0, s42
	v_mad_co_u64_u32 v[21:22], null, s5, v4, v[11:12]
	v_add_co_u32 v4, vcc_lo, v5, 16
	s_delay_alu instid0(VALU_DEP_3)
	v_cmp_gt_i64_e64 s2, s[30:31], v[5:6]
	v_mov_b32_e32 v3, v10
	s_wait_alu 0xfffd
	v_add_co_ci_u32_e64 v5, null, 0, v6, vcc_lo
	v_mov_b32_e32 v8, v20
	s_cselect_b32 s42, -1, 0
	v_mad_co_u64_u32 v[10:11], null, s19, v12, v[3:4]
	s_delay_alu instid0(VALU_DEP_3) | instskip(NEXT) | instid1(VALU_DEP_3)
	v_cmp_gt_i64_e64 s5, s[30:31], v[4:5]
	v_lshlrev_b64_e32 v[4:5], 2, v[7:8]
	v_mov_b32_e32 v3, v19
	v_mov_b32_e32 v19, v21
	s_lshl_b64 s[28:29], s[10:11], 4
	s_mov_b32 s35, 0
	s_lshl_b64 s[24:25], s[24:25], 4
	s_lshl_b64 s[6:7], s[6:7], 2
	v_lshlrev_b64_e32 v[6:7], 2, v[18:19]
	v_add_co_u32 v18, vcc_lo, s8, v4
	s_wait_alu 0xfffd
	v_add_co_ci_u32_e64 v19, null, s9, v5, vcc_lo
	v_lshlrev_b64_e32 v[4:5], 2, v[9:10]
	s_delay_alu instid0(VALU_DEP_4)
	v_add_co_u32 v6, vcc_lo, v6, v24
	s_lshl_b64 s[8:9], s[40:41], 7
	s_wait_alu 0xfffd
	v_add_co_ci_u32_e64 v7, null, 0, v7, vcc_lo
	s_wait_alu 0xfffe
	v_add_co_u32 v8, vcc_lo, v4, s8
	s_wait_alu 0xfffd
	v_add_co_ci_u32_e64 v9, null, s9, v5, vcc_lo
	v_add_co_u32 v4, vcc_lo, s22, v6
	s_wait_alu 0xfffd
	v_add_co_ci_u32_e64 v5, null, s23, v7, vcc_lo
	;; [unrolled: 3-line block ×3, first 2 shown]
	v_cmp_gt_i64_e64 s22, s[36:37], 0
	s_delay_alu instid0(VALU_DEP_3) | instskip(SKIP_1) | instid1(VALU_DEP_3)
	v_add_co_u32 v6, vcc_lo, s16, v6
	s_wait_alu 0xfffd
	v_add_co_ci_u32_e64 v7, null, s17, v7, vcc_lo
	s_lshl_b64 s[8:9], s[20:21], 2
	s_lshl_b64 s[10:11], s[18:19], 5
	;; [unrolled: 1-line block ×3, first 2 shown]
	s_branch .LBB49_4
.LBB49_2:                               ;   in Loop: Header=BB49_4 Depth=1
	s_wait_alu 0xfffe
	s_or_b32 exec_lo, exec_lo, s20
.LBB49_3:                               ;   in Loop: Header=BB49_4 Depth=1
	s_add_co_i32 s34, s34, 0x10000
	s_wait_alu 0xfffe
	s_cmp_lt_i32 s34, s33
	s_cbranch_scc0 .LBB49_34
.LBB49_4:                               ; =>This Loop Header: Depth=1
                                        ;     Child Loop BB49_7 Depth 2
	v_dual_mov_b32 v23, 0 :: v_dual_mov_b32 v22, 0
	v_dual_mov_b32 v21, 0 :: v_dual_mov_b32 v20, 0
	s_and_not1_b32 vcc_lo, exec_lo, s22
	s_wait_alu 0xfffe
	s_cbranch_vccnz .LBB49_11
; %bb.5:                                ;   in Loop: Header=BB49_4 Depth=1
	v_mad_co_u64_u32 v[8:9], null, s6, s34, v[4:5]
	v_mad_co_u64_u32 v[10:11], null, s8, s34, v[6:7]
	v_dual_mov_b32 v20, 0 :: v_dual_mov_b32 v21, 0
	s_mov_b64 s[18:19], 0
	s_delay_alu instid0(VALU_DEP_2) | instskip(NEXT) | instid1(VALU_DEP_3)
	v_mad_co_u64_u32 v[23:24], null, s7, s34, v[9:10]
	v_mad_co_u64_u32 v[24:25], null, s9, s34, v[11:12]
	s_delay_alu instid0(VALU_DEP_2) | instskip(SKIP_1) | instid1(VALU_DEP_3)
	v_dual_mov_b32 v22, 0 :: v_dual_mov_b32 v9, v23
	v_mov_b32_e32 v23, 0
	v_mov_b32_e32 v11, v24
	s_branch .LBB49_7
.LBB49_6:                               ;   in Loop: Header=BB49_7 Depth=2
	s_wait_alu 0xfffe
	s_or_b32 exec_lo, exec_lo, s20
	s_wait_loadcnt 0x0
	ds_store_b32 v15, v25
	s_wait_dscnt 0x0
	s_barrier_signal -1
	s_barrier_wait -1
	global_inv scope:SCOPE_SE
	ds_load_b128 v[24:27], v17
	ds_load_2addr_b32 v[40:41], v16 offset1:16
	ds_load_b128 v[28:31], v17 offset:512
	ds_load_2addr_b32 v[42:43], v16 offset0:32 offset1:48
	ds_load_2addr_b32 v[44:45], v16 offset0:64 offset1:80
	;; [unrolled: 1-line block ×3, first 2 shown]
	ds_load_b128 v[32:35], v17 offset:16
	ds_load_2addr_b32 v[48:49], v16 offset0:128 offset1:144
	ds_load_b128 v[36:39], v17 offset:528
	ds_load_2addr_b32 v[50:51], v16 offset0:160 offset1:176
	s_add_nc_u64 s[18:19], s[18:19], 8
	v_add_co_u32 v8, vcc_lo, v8, 32
	s_wait_alu 0xfffe
	v_cmp_lt_i64_e64 s20, s[18:19], s[36:37]
	s_wait_alu 0xfffd
	v_add_co_ci_u32_e64 v9, null, 0, v9, vcc_lo
	v_add_co_u32 v10, vcc_lo, v10, s10
	s_wait_alu 0xfffd
	v_add_co_ci_u32_e64 v11, null, s11, v11, vcc_lo
	s_and_b32 vcc_lo, exec_lo, s20
	s_wait_dscnt 0x8
	v_fmac_f32_e32 v22, v41, v24
	v_fmac_f32_e32 v23, v40, v24
	s_wait_dscnt 0x7
	v_fmac_f32_e32 v20, v41, v28
	v_fmac_f32_e32 v21, v40, v28
	ds_load_2addr_b32 v[40:41], v16 offset0:192 offset1:208
	s_wait_dscnt 0x7
	v_fmac_f32_e32 v22, v43, v25
	v_fmac_f32_e32 v23, v42, v25
	;; [unrolled: 1-line block ×4, first 2 shown]
	ds_load_2addr_b32 v[24:25], v16 offset0:224 offset1:240
	s_wait_dscnt 0x7
	v_fmac_f32_e32 v22, v45, v26
	v_fmac_f32_e32 v23, v44, v26
	;; [unrolled: 1-line block ×4, first 2 shown]
	s_wait_loadcnt_dscnt 0x0
	v_fmac_f32_e32 v22, v47, v27
	v_fmac_f32_e32 v23, v46, v27
	;; [unrolled: 1-line block ×4, first 2 shown]
	s_barrier_signal -1
	v_fmac_f32_e32 v22, v49, v32
	v_fmac_f32_e32 v23, v48, v32
	;; [unrolled: 1-line block ×4, first 2 shown]
	s_barrier_wait -1
	v_fmac_f32_e32 v22, v51, v33
	v_fmac_f32_e32 v23, v50, v33
	;; [unrolled: 1-line block ×4, first 2 shown]
	global_inv scope:SCOPE_SE
	v_fmac_f32_e32 v22, v41, v34
	v_fmac_f32_e32 v23, v40, v34
	;; [unrolled: 1-line block ×3, first 2 shown]
	s_delay_alu instid0(VALU_DEP_3) | instskip(NEXT) | instid1(VALU_DEP_3)
	v_dual_fmac_f32 v21, v40, v38 :: v_dual_fmac_f32 v22, v25, v35
	v_fmac_f32_e32 v23, v24, v35
	s_delay_alu instid0(VALU_DEP_3) | instskip(NEXT) | instid1(VALU_DEP_3)
	v_fmac_f32_e32 v20, v25, v39
	v_fmac_f32_e32 v21, v24, v39
	s_wait_alu 0xfffe
	s_cbranch_vccz .LBB49_11
.LBB49_7:                               ;   Parent Loop BB49_4 Depth=1
                                        ; =>  This Inner Loop Header: Depth=2
	s_wait_alu 0xfffe
	v_add_co_u32 v24, s20, v12, s18
	s_wait_alu 0xf1ff
	v_add_co_ci_u32_e64 v25, null, 0, s19, s20
	s_delay_alu instid0(VALU_DEP_1)
	v_cmp_gt_i64_e32 vcc_lo, s[36:37], v[24:25]
	v_mov_b32_e32 v24, 0
	s_and_b32 s21, s0, vcc_lo
	s_wait_alu 0xfffe
	s_and_saveexec_b32 s20, s21
	s_cbranch_execz .LBB49_9
; %bb.8:                                ;   in Loop: Header=BB49_7 Depth=2
	global_load_b32 v24, v[10:11], off
.LBB49_9:                               ;   in Loop: Header=BB49_7 Depth=2
	s_wait_alu 0xfffe
	s_or_b32 exec_lo, exec_lo, s20
	v_add_co_u32 v25, s20, v13, s18
	s_wait_alu 0xf1ff
	v_add_co_ci_u32_e64 v26, null, 0, s19, s20
	s_wait_loadcnt 0x0
	ds_store_b32 v14, v24
	v_cmp_gt_i64_e32 vcc_lo, s[36:37], v[25:26]
	v_mov_b32_e32 v25, 0
	s_and_b32 s21, vcc_lo, s1
	s_wait_alu 0xfffe
	s_and_saveexec_b32 s20, s21
	s_cbranch_execz .LBB49_6
; %bb.10:                               ;   in Loop: Header=BB49_7 Depth=2
	global_load_b32 v25, v[8:9], off
	s_branch .LBB49_6
.LBB49_11:                              ;   in Loop: Header=BB49_4 Depth=1
	s_mul_u64 s[18:19], s[26:27], s[34:35]
	s_and_not1_b32 vcc_lo, exec_lo, s42
	s_wait_alu 0xfffe
	s_lshl_b64 s[18:19], s[18:19], 2
	s_wait_alu 0xfffe
	s_add_nc_u64 s[18:19], s[14:15], s[18:19]
	s_cbranch_vccnz .LBB49_16
; %bb.12:                               ;   in Loop: Header=BB49_4 Depth=1
	s_and_saveexec_b32 s20, s2
	s_cbranch_execz .LBB49_23
; %bb.13:                               ;   in Loop: Header=BB49_4 Depth=1
	v_lshlrev_b64_e32 v[8:9], 2, v[2:3]
	s_wait_alu 0xfffe
	s_delay_alu instid0(VALU_DEP_1) | instskip(SKIP_1) | instid1(VALU_DEP_2)
	v_add_co_u32 v8, vcc_lo, s18, v8
	s_wait_alu 0xfffd
	v_add_co_ci_u32_e64 v9, null, s19, v9, vcc_lo
	s_and_saveexec_b32 s21, s3
	s_cbranch_execnz .LBB49_17
; %bb.14:                               ;   in Loop: Header=BB49_4 Depth=1
	s_wait_alu 0xfffe
	s_or_b32 exec_lo, exec_lo, s21
	s_and_saveexec_b32 s21, s4
	s_cbranch_execnz .LBB49_18
.LBB49_15:                              ;   in Loop: Header=BB49_4 Depth=1
	s_wait_alu 0xfffe
	s_or_b32 exec_lo, exec_lo, s21
	s_delay_alu instid0(SALU_CYCLE_1)
	s_and_b32 exec_lo, exec_lo, s5
	s_cbranch_execnz .LBB49_19
	s_branch .LBB49_23
.LBB49_16:                              ;   in Loop: Header=BB49_4 Depth=1
	s_branch .LBB49_24
.LBB49_17:                              ;   in Loop: Header=BB49_4 Depth=1
	v_lshlrev_b64_e32 v[10:11], 2, v[0:1]
	v_mul_f32_e32 v24, s38, v23
	s_delay_alu instid0(VALU_DEP_2) | instskip(SKIP_1) | instid1(VALU_DEP_3)
	v_add_co_u32 v10, vcc_lo, v8, v10
	s_wait_alu 0xfffd
	v_add_co_ci_u32_e64 v11, null, v9, v11, vcc_lo
	global_store_b32 v[10:11], v24, off
	s_wait_alu 0xfffe
	s_or_b32 exec_lo, exec_lo, s21
	s_and_saveexec_b32 s21, s4
	s_cbranch_execz .LBB49_15
.LBB49_18:                              ;   in Loop: Header=BB49_4 Depth=1
	v_lshlrev_b64_e32 v[10:11], 2, v[0:1]
	v_mul_f32_e32 v24, s38, v22
	s_delay_alu instid0(VALU_DEP_2) | instskip(SKIP_1) | instid1(VALU_DEP_3)
	v_add_co_u32 v10, vcc_lo, v8, v10
	s_wait_alu 0xfffd
	v_add_co_ci_u32_e64 v11, null, v9, v11, vcc_lo
	global_store_b32 v[10:11], v24, off offset:64
	s_wait_alu 0xfffe
	s_or_b32 exec_lo, exec_lo, s21
	s_delay_alu instid0(SALU_CYCLE_1)
	s_and_b32 exec_lo, exec_lo, s5
	s_cbranch_execz .LBB49_23
.LBB49_19:                              ;   in Loop: Header=BB49_4 Depth=1
	s_lshl_b64 s[28:29], s[24:25], 2
	v_lshlrev_b64_e32 v[10:11], 2, v[0:1]
	s_wait_alu 0xfffe
	v_add_co_u32 v8, vcc_lo, v8, s28
	s_wait_alu 0xfffd
	v_add_co_ci_u32_e64 v9, null, s29, v9, vcc_lo
	s_delay_alu instid0(VALU_DEP_2) | instskip(SKIP_1) | instid1(VALU_DEP_2)
	v_add_co_u32 v8, vcc_lo, v8, v10
	s_wait_alu 0xfffd
	v_add_co_ci_u32_e64 v9, null, v9, v11, vcc_lo
	s_and_saveexec_b32 s21, s3
	s_cbranch_execz .LBB49_21
; %bb.20:                               ;   in Loop: Header=BB49_4 Depth=1
	v_mul_f32_e32 v10, s38, v21
	global_store_b32 v[8:9], v10, off
.LBB49_21:                              ;   in Loop: Header=BB49_4 Depth=1
	s_wait_alu 0xfffe
	s_or_b32 exec_lo, exec_lo, s21
	s_delay_alu instid0(SALU_CYCLE_1)
	s_and_b32 exec_lo, exec_lo, s4
	s_cbranch_execz .LBB49_23
; %bb.22:                               ;   in Loop: Header=BB49_4 Depth=1
	v_mul_f32_e32 v10, s38, v20
	global_store_b32 v[8:9], v10, off offset:64
.LBB49_23:                              ;   in Loop: Header=BB49_4 Depth=1
	s_wait_alu 0xfffe
	s_or_b32 exec_lo, exec_lo, s20
	s_cbranch_execnz .LBB49_3
.LBB49_24:                              ;   in Loop: Header=BB49_4 Depth=1
	s_and_saveexec_b32 s20, s2
	s_cbranch_execz .LBB49_2
; %bb.25:                               ;   in Loop: Header=BB49_4 Depth=1
	s_mul_u64 s[28:29], s[12:13], s[34:35]
	v_lshlrev_b64_e32 v[24:25], 2, v[2:3]
	s_wait_alu 0xfffe
	s_lshl_b64 s[28:29], s[28:29], 2
	v_lshlrev_b64_e32 v[8:9], 2, v[0:1]
	s_wait_alu 0xfffe
	v_add_co_u32 v10, vcc_lo, v18, s28
	s_wait_alu 0xfffd
	v_add_co_ci_u32_e64 v11, null, s29, v19, vcc_lo
	v_add_co_u32 v24, vcc_lo, s18, v24
	s_wait_alu 0xfffd
	v_add_co_ci_u32_e64 v25, null, s19, v25, vcc_lo
	s_and_saveexec_b32 s18, s3
	s_cbranch_execnz .LBB49_28
; %bb.26:                               ;   in Loop: Header=BB49_4 Depth=1
	s_wait_alu 0xfffe
	s_or_b32 exec_lo, exec_lo, s18
	s_and_saveexec_b32 s18, s4
	s_cbranch_execnz .LBB49_29
.LBB49_27:                              ;   in Loop: Header=BB49_4 Depth=1
	s_wait_alu 0xfffe
	s_or_b32 exec_lo, exec_lo, s18
	s_delay_alu instid0(SALU_CYCLE_1)
	s_and_b32 exec_lo, exec_lo, s5
	s_cbranch_execz .LBB49_2
	s_branch .LBB49_30
.LBB49_28:                              ;   in Loop: Header=BB49_4 Depth=1
	v_add_co_u32 v26, vcc_lo, v10, v8
	s_wait_alu 0xfffd
	v_add_co_ci_u32_e64 v27, null, v11, v9, vcc_lo
	global_load_b32 v26, v[26:27], off
	s_wait_loadcnt 0x0
	v_mul_f32_e32 v28, s39, v26
	v_add_co_u32 v26, vcc_lo, v24, v8
	s_wait_alu 0xfffd
	v_add_co_ci_u32_e64 v27, null, v25, v9, vcc_lo
	s_delay_alu instid0(VALU_DEP_3)
	v_fmac_f32_e32 v28, s38, v23
	global_store_b32 v[26:27], v28, off
	s_wait_alu 0xfffe
	s_or_b32 exec_lo, exec_lo, s18
	s_and_saveexec_b32 s18, s4
	s_cbranch_execz .LBB49_27
.LBB49_29:                              ;   in Loop: Header=BB49_4 Depth=1
	v_add_co_u32 v26, vcc_lo, v10, v8
	s_wait_alu 0xfffd
	v_add_co_ci_u32_e64 v27, null, v11, v9, vcc_lo
	global_load_b32 v23, v[26:27], off offset:64
	s_wait_loadcnt 0x0
	v_mul_f32_e32 v26, s39, v23
	s_delay_alu instid0(VALU_DEP_1)
	v_fmac_f32_e32 v26, s38, v22
	v_add_co_u32 v22, vcc_lo, v24, v8
	s_wait_alu 0xfffd
	v_add_co_ci_u32_e64 v23, null, v25, v9, vcc_lo
	global_store_b32 v[22:23], v26, off offset:64
	s_wait_alu 0xfffe
	s_or_b32 exec_lo, exec_lo, s18
	s_delay_alu instid0(SALU_CYCLE_1)
	s_and_b32 exec_lo, exec_lo, s5
	s_cbranch_execz .LBB49_2
.LBB49_30:                              ;   in Loop: Header=BB49_4 Depth=1
	v_add_co_u32 v10, vcc_lo, v10, s16
	s_lshl_b64 s[18:19], s[24:25], 2
	s_wait_alu 0xfffd
	v_add_co_ci_u32_e64 v11, null, s17, v11, vcc_lo
	s_wait_alu 0xfffe
	v_add_co_u32 v22, vcc_lo, v24, s18
	s_wait_alu 0xfffd
	v_add_co_ci_u32_e64 v23, null, s19, v25, vcc_lo
	v_add_co_u32 v10, vcc_lo, v10, v8
	s_wait_alu 0xfffd
	v_add_co_ci_u32_e64 v11, null, v11, v9, vcc_lo
	;; [unrolled: 3-line block ×3, first 2 shown]
	s_and_saveexec_b32 s18, s3
	s_cbranch_execz .LBB49_32
; %bb.31:                               ;   in Loop: Header=BB49_4 Depth=1
	global_load_b32 v22, v[10:11], off
	s_wait_loadcnt 0x0
	v_mul_f32_e32 v22, s39, v22
	s_delay_alu instid0(VALU_DEP_1)
	v_fmac_f32_e32 v22, s38, v21
	global_store_b32 v[8:9], v22, off
.LBB49_32:                              ;   in Loop: Header=BB49_4 Depth=1
	s_wait_alu 0xfffe
	s_or_b32 exec_lo, exec_lo, s18
	s_delay_alu instid0(SALU_CYCLE_1)
	s_and_b32 exec_lo, exec_lo, s4
	s_cbranch_execz .LBB49_2
; %bb.33:                               ;   in Loop: Header=BB49_4 Depth=1
	global_load_b32 v10, v[10:11], off offset:64
	s_wait_loadcnt 0x0
	v_mul_f32_e32 v10, s39, v10
	s_delay_alu instid0(VALU_DEP_1)
	v_fmac_f32_e32 v10, s38, v20
	global_store_b32 v[8:9], v10, off offset:64
	s_branch .LBB49_2
.LBB49_34:
	s_endpgm
	.section	.rodata,"a",@progbits
	.p2align	6, 0x0
	.amdhsa_kernel _ZN12_GLOBAL__N_135rocblas_gemm_batched_general_kernelIfLi16ELi16ELi32ELi32ELi8ELi32ELi8ELi8ELi32ELc78ELc78EKfS1_fEEvlllT_PT11_llS4_llS2_PT12_llPT13_lli
		.amdhsa_group_segment_fixed_size 2048
		.amdhsa_private_segment_fixed_size 0
		.amdhsa_kernarg_size 140
		.amdhsa_user_sgpr_count 2
		.amdhsa_user_sgpr_dispatch_ptr 0
		.amdhsa_user_sgpr_queue_ptr 0
		.amdhsa_user_sgpr_kernarg_segment_ptr 1
		.amdhsa_user_sgpr_dispatch_id 0
		.amdhsa_user_sgpr_private_segment_size 0
		.amdhsa_wavefront_size32 1
		.amdhsa_uses_dynamic_stack 0
		.amdhsa_enable_private_segment 0
		.amdhsa_system_sgpr_workgroup_id_x 1
		.amdhsa_system_sgpr_workgroup_id_y 1
		.amdhsa_system_sgpr_workgroup_id_z 1
		.amdhsa_system_sgpr_workgroup_info 0
		.amdhsa_system_vgpr_workitem_id 1
		.amdhsa_next_free_vgpr 52
		.amdhsa_next_free_sgpr 43
		.amdhsa_reserve_vcc 1
		.amdhsa_float_round_mode_32 0
		.amdhsa_float_round_mode_16_64 0
		.amdhsa_float_denorm_mode_32 3
		.amdhsa_float_denorm_mode_16_64 3
		.amdhsa_fp16_overflow 0
		.amdhsa_workgroup_processor_mode 1
		.amdhsa_memory_ordered 1
		.amdhsa_forward_progress 1
		.amdhsa_inst_pref_size 18
		.amdhsa_round_robin_scheduling 0
		.amdhsa_exception_fp_ieee_invalid_op 0
		.amdhsa_exception_fp_denorm_src 0
		.amdhsa_exception_fp_ieee_div_zero 0
		.amdhsa_exception_fp_ieee_overflow 0
		.amdhsa_exception_fp_ieee_underflow 0
		.amdhsa_exception_fp_ieee_inexact 0
		.amdhsa_exception_int_div_zero 0
	.end_amdhsa_kernel
	.section	.text._ZN12_GLOBAL__N_135rocblas_gemm_batched_general_kernelIfLi16ELi16ELi32ELi32ELi8ELi32ELi8ELi8ELi32ELc78ELc78EKfS1_fEEvlllT_PT11_llS4_llS2_PT12_llPT13_lli,"axG",@progbits,_ZN12_GLOBAL__N_135rocblas_gemm_batched_general_kernelIfLi16ELi16ELi32ELi32ELi8ELi32ELi8ELi8ELi32ELc78ELc78EKfS1_fEEvlllT_PT11_llS4_llS2_PT12_llPT13_lli,comdat
.Lfunc_end49:
	.size	_ZN12_GLOBAL__N_135rocblas_gemm_batched_general_kernelIfLi16ELi16ELi32ELi32ELi8ELi32ELi8ELi8ELi32ELc78ELc78EKfS1_fEEvlllT_PT11_llS4_llS2_PT12_llPT13_lli, .Lfunc_end49-_ZN12_GLOBAL__N_135rocblas_gemm_batched_general_kernelIfLi16ELi16ELi32ELi32ELi8ELi32ELi8ELi8ELi32ELc78ELc78EKfS1_fEEvlllT_PT11_llS4_llS2_PT12_llPT13_lli
                                        ; -- End function
	.set _ZN12_GLOBAL__N_135rocblas_gemm_batched_general_kernelIfLi16ELi16ELi32ELi32ELi8ELi32ELi8ELi8ELi32ELc78ELc78EKfS1_fEEvlllT_PT11_llS4_llS2_PT12_llPT13_lli.num_vgpr, 52
	.set _ZN12_GLOBAL__N_135rocblas_gemm_batched_general_kernelIfLi16ELi16ELi32ELi32ELi8ELi32ELi8ELi8ELi32ELc78ELc78EKfS1_fEEvlllT_PT11_llS4_llS2_PT12_llPT13_lli.num_agpr, 0
	.set _ZN12_GLOBAL__N_135rocblas_gemm_batched_general_kernelIfLi16ELi16ELi32ELi32ELi8ELi32ELi8ELi8ELi32ELc78ELc78EKfS1_fEEvlllT_PT11_llS4_llS2_PT12_llPT13_lli.numbered_sgpr, 43
	.set _ZN12_GLOBAL__N_135rocblas_gemm_batched_general_kernelIfLi16ELi16ELi32ELi32ELi8ELi32ELi8ELi8ELi32ELc78ELc78EKfS1_fEEvlllT_PT11_llS4_llS2_PT12_llPT13_lli.num_named_barrier, 0
	.set _ZN12_GLOBAL__N_135rocblas_gemm_batched_general_kernelIfLi16ELi16ELi32ELi32ELi8ELi32ELi8ELi8ELi32ELc78ELc78EKfS1_fEEvlllT_PT11_llS4_llS2_PT12_llPT13_lli.private_seg_size, 0
	.set _ZN12_GLOBAL__N_135rocblas_gemm_batched_general_kernelIfLi16ELi16ELi32ELi32ELi8ELi32ELi8ELi8ELi32ELc78ELc78EKfS1_fEEvlllT_PT11_llS4_llS2_PT12_llPT13_lli.uses_vcc, 1
	.set _ZN12_GLOBAL__N_135rocblas_gemm_batched_general_kernelIfLi16ELi16ELi32ELi32ELi8ELi32ELi8ELi8ELi32ELc78ELc78EKfS1_fEEvlllT_PT11_llS4_llS2_PT12_llPT13_lli.uses_flat_scratch, 0
	.set _ZN12_GLOBAL__N_135rocblas_gemm_batched_general_kernelIfLi16ELi16ELi32ELi32ELi8ELi32ELi8ELi8ELi32ELc78ELc78EKfS1_fEEvlllT_PT11_llS4_llS2_PT12_llPT13_lli.has_dyn_sized_stack, 0
	.set _ZN12_GLOBAL__N_135rocblas_gemm_batched_general_kernelIfLi16ELi16ELi32ELi32ELi8ELi32ELi8ELi8ELi32ELc78ELc78EKfS1_fEEvlllT_PT11_llS4_llS2_PT12_llPT13_lli.has_recursion, 0
	.set _ZN12_GLOBAL__N_135rocblas_gemm_batched_general_kernelIfLi16ELi16ELi32ELi32ELi8ELi32ELi8ELi8ELi32ELc78ELc78EKfS1_fEEvlllT_PT11_llS4_llS2_PT12_llPT13_lli.has_indirect_call, 0
	.section	.AMDGPU.csdata,"",@progbits
; Kernel info:
; codeLenInByte = 2204
; TotalNumSgprs: 45
; NumVgprs: 52
; ScratchSize: 0
; MemoryBound: 0
; FloatMode: 240
; IeeeMode: 1
; LDSByteSize: 2048 bytes/workgroup (compile time only)
; SGPRBlocks: 0
; VGPRBlocks: 6
; NumSGPRsForWavesPerEU: 45
; NumVGPRsForWavesPerEU: 52
; Occupancy: 16
; WaveLimiterHint : 0
; COMPUTE_PGM_RSRC2:SCRATCH_EN: 0
; COMPUTE_PGM_RSRC2:USER_SGPR: 2
; COMPUTE_PGM_RSRC2:TRAP_HANDLER: 0
; COMPUTE_PGM_RSRC2:TGID_X_EN: 1
; COMPUTE_PGM_RSRC2:TGID_Y_EN: 1
; COMPUTE_PGM_RSRC2:TGID_Z_EN: 1
; COMPUTE_PGM_RSRC2:TIDIG_COMP_CNT: 1
	.section	.text._ZN12_GLOBAL__N_135rocblas_gemm_batched_general_kernelIfLi16ELi16ELi32ELi32ELi8ELi32ELi8ELi8ELi32ELc84ELc78EKfS1_fEEvlllT_PT11_llS4_llS2_PT12_llPT13_lli,"axG",@progbits,_ZN12_GLOBAL__N_135rocblas_gemm_batched_general_kernelIfLi16ELi16ELi32ELi32ELi8ELi32ELi8ELi8ELi32ELc84ELc78EKfS1_fEEvlllT_PT11_llS4_llS2_PT12_llPT13_lli,comdat
	.globl	_ZN12_GLOBAL__N_135rocblas_gemm_batched_general_kernelIfLi16ELi16ELi32ELi32ELi8ELi32ELi8ELi8ELi32ELc84ELc78EKfS1_fEEvlllT_PT11_llS4_llS2_PT12_llPT13_lli ; -- Begin function _ZN12_GLOBAL__N_135rocblas_gemm_batched_general_kernelIfLi16ELi16ELi32ELi32ELi8ELi32ELi8ELi8ELi32ELc84ELc78EKfS1_fEEvlllT_PT11_llS4_llS2_PT12_llPT13_lli
	.p2align	8
	.type	_ZN12_GLOBAL__N_135rocblas_gemm_batched_general_kernelIfLi16ELi16ELi32ELi32ELi8ELi32ELi8ELi8ELi32ELc84ELc78EKfS1_fEEvlllT_PT11_llS4_llS2_PT12_llPT13_lli,@function
_ZN12_GLOBAL__N_135rocblas_gemm_batched_general_kernelIfLi16ELi16ELi32ELi32ELi8ELi32ELi8ELi8ELi32ELc84ELc78EKfS1_fEEvlllT_PT11_llS4_llS2_PT12_llPT13_lli: ; @_ZN12_GLOBAL__N_135rocblas_gemm_batched_general_kernelIfLi16ELi16ELi32ELi32ELi8ELi32ELi8ELi8ELi32ELc84ELc78EKfS1_fEEvlllT_PT11_llS4_llS2_PT12_llPT13_lli
; %bb.0:
	s_load_b32 s33, s[0:1], 0x88
	s_lshr_b32 s34, ttmp7, 16
	s_wait_kmcnt 0x0
	s_cmp_ge_i32 s34, s33
	s_cbranch_scc1 .LBB50_34
; %bb.1:
	v_bfe_u32 v2, v0, 10, 10
	v_and_b32_e32 v3, 0x3ff, v0
	s_clause 0x6
	s_load_b128 s[28:31], s[0:1], 0x0
	s_load_b96 s[36:38], s[0:1], 0x10
	s_load_b256 s[16:23], s[0:1], 0x20
	s_load_b128 s[4:7], s[0:1], 0x40
	s_load_b32 s39, s[0:1], 0x50
	s_load_b128 s[24:27], s[0:1], 0x78
	s_load_b256 s[8:15], s[0:1], 0x58
	s_mov_b32 s2, ttmp9
	s_ashr_i32 s3, ttmp9, 31
	v_lshl_add_u32 v1, v2, 4, v3
	v_and_b32_e32 v13, 7, v0
	s_lshl_b64 s[42:43], s[2:3], 5
	s_and_b32 s0, ttmp7, 0xffff
	s_delay_alu instid0(VALU_DEP_2)
	v_dual_mov_b32 v5, s43 :: v_dual_and_b32 v6, 31, v1
	v_lshrrev_b32_e32 v0, 3, v1
	s_lshl_b32 s2, s0, 5
	v_lshrrev_b32_e32 v12, 5, v1
	v_lshl_add_u32 v17, v2, 5, 0x400
	v_or_b32_e32 v4, s42, v6
	v_lshlrev_b32_e32 v1, 2, v6
	v_add_co_u32 v6, s0, v0, s2
	s_delay_alu instid0(VALU_DEP_1) | instskip(NEXT) | instid1(VALU_DEP_3)
	v_add_co_ci_u32_e64 v7, null, 0, 0, s0
	v_lshl_or_b32 v14, v12, 7, v1
	s_wait_kmcnt 0x0
	s_delay_alu instid0(VALU_DEP_3) | instskip(NEXT) | instid1(VALU_DEP_3)
	v_mad_co_u64_u32 v[18:19], null, s4, v6, 0
	v_cmp_gt_i64_e64 s1, s[30:31], v[6:7]
	v_add_co_u32 v7, s2, s2, v2
	s_wait_alu 0xf1ff
	v_add_co_ci_u32_e64 v8, null, 0, 0, s2
	v_add_co_u32 v2, s2, s42, v3
	s_delay_alu instid0(VALU_DEP_3)
	v_mad_co_u64_u32 v[9:10], null, v7, s10, 0
	v_lshlrev_b32_e32 v24, 2, v13
	v_lshlrev_b32_e32 v16, 2, v3
	s_wait_alu 0xf1ff
	v_add_co_ci_u32_e64 v3, null, s43, 0, s2
	v_cmp_gt_i64_e64 s0, s[28:29], v[4:5]
	v_lshl_or_b32 v0, v0, 5, v24
	v_mov_b32_e32 v5, v19
	v_add_co_u32 v20, vcc_lo, v2, 16
	s_delay_alu instid0(VALU_DEP_1) | instskip(NEXT) | instid1(VALU_DEP_4)
	v_add_co_ci_u32_e64 v21, null, 0, v3, vcc_lo
	v_add_nc_u32_e32 v15, 0x400, v0
	v_mad_co_u64_u32 v[0:1], null, v7, s24, 0
	v_mad_co_u64_u32 v[5:6], null, s5, v6, v[5:6]
	v_add_co_u32 v6, vcc_lo, v7, 16
	v_cmp_gt_i64_e64 s2, s[30:31], v[7:8]
	v_cmp_gt_i64_e64 s4, s[28:29], v[20:21]
	v_mad_co_u64_u32 v[22:23], null, v7, s25, v[1:2]
	v_mov_b32_e32 v1, v10
	v_mad_co_u64_u32 v[20:21], null, s18, v4, 0
	v_mov_b32_e32 v19, v5
	s_mul_i32 s18, s18, s43
	s_delay_alu instid0(VALU_DEP_3)
	v_mad_co_u64_u32 v[10:11], null, v7, s11, v[1:2]
	s_wait_alu 0xfffd
	v_add_co_ci_u32_e64 v7, null, 0, v8, vcc_lo
	v_mul_lo_u32 v8, s19, v4
	v_mov_b32_e32 v1, v22
	s_cmp_eq_f32 s39, 0
	s_delay_alu instid0(VALU_DEP_3)
	v_cmp_gt_i64_e64 s5, s[30:31], v[6:7]
	v_lshlrev_b64_e32 v[4:5], 2, v[9:10]
	v_lshlrev_b64_e32 v[6:7], 2, v[18:19]
	v_cmp_gt_i64_e64 s3, s[28:29], v[2:3]
	s_cselect_b32 s40, -1, 0
	s_wait_alu 0xfffe
	v_add3_u32 v21, v21, s18, v8
	v_lshlrev_b32_e32 v8, 2, v12
	v_add_co_u32 v18, vcc_lo, s8, v4
	s_wait_alu 0xfffd
	v_add_co_ci_u32_e64 v19, null, s9, v5, vcc_lo
	v_lshlrev_b64_e32 v[4:5], 2, v[20:21]
	v_add_co_u32 v6, vcc_lo, v6, v24
	s_wait_alu 0xfffd
	v_add_co_ci_u32_e64 v7, null, 0, v7, vcc_lo
	v_cmp_gt_i64_e64 s18, s[36:37], 0
	s_delay_alu instid0(VALU_DEP_4)
	v_add_co_u32 v8, vcc_lo, v4, v8
	s_wait_alu 0xfffd
	v_add_co_ci_u32_e64 v9, null, 0, v5, vcc_lo
	v_add_co_u32 v4, vcc_lo, s22, v6
	s_wait_alu 0xfffd
	v_add_co_ci_u32_e64 v5, null, s23, v7, vcc_lo
	;; [unrolled: 3-line block ×3, first 2 shown]
	s_lshl_b64 s[10:11], s[10:11], 4
	s_mov_b32 s35, 0
	s_lshl_b64 s[24:25], s[24:25], 4
	s_lshl_b64 s[6:7], s[6:7], 2
	;; [unrolled: 1-line block ×3, first 2 shown]
	s_wait_alu 0xfffe
	s_lshl_b64 s[10:11], s[10:11], 2
	s_branch .LBB50_4
.LBB50_2:                               ;   in Loop: Header=BB50_4 Depth=1
	s_wait_alu 0xfffe
	s_or_b32 exec_lo, exec_lo, s19
.LBB50_3:                               ;   in Loop: Header=BB50_4 Depth=1
	s_add_co_i32 s34, s34, 0x10000
	s_wait_alu 0xfffe
	s_cmp_lt_i32 s34, s33
	s_cbranch_scc0 .LBB50_34
.LBB50_4:                               ; =>This Loop Header: Depth=1
                                        ;     Child Loop BB50_7 Depth 2
	v_dual_mov_b32 v23, 0 :: v_dual_mov_b32 v22, 0
	v_dual_mov_b32 v21, 0 :: v_dual_mov_b32 v20, 0
	s_and_not1_b32 vcc_lo, exec_lo, s18
	s_wait_alu 0xfffe
	s_cbranch_vccnz .LBB50_11
; %bb.5:                                ;   in Loop: Header=BB50_4 Depth=1
	v_mad_co_u64_u32 v[8:9], null, s6, s34, v[4:5]
	v_mad_co_u64_u32 v[10:11], null, s8, s34, v[6:7]
	v_dual_mov_b32 v20, 0 :: v_dual_mov_b32 v21, 0
	s_mov_b64 s[16:17], 0
	s_delay_alu instid0(VALU_DEP_2) | instskip(NEXT) | instid1(VALU_DEP_3)
	v_mad_co_u64_u32 v[23:24], null, s7, s34, v[9:10]
	v_mad_co_u64_u32 v[24:25], null, s9, s34, v[11:12]
	s_delay_alu instid0(VALU_DEP_2) | instskip(SKIP_1) | instid1(VALU_DEP_3)
	v_dual_mov_b32 v22, 0 :: v_dual_mov_b32 v9, v23
	v_mov_b32_e32 v23, 0
	v_mov_b32_e32 v11, v24
	s_branch .LBB50_7
.LBB50_6:                               ;   in Loop: Header=BB50_7 Depth=2
	s_wait_alu 0xfffe
	s_or_b32 exec_lo, exec_lo, s19
	s_wait_loadcnt 0x0
	ds_store_b32 v15, v25
	s_wait_dscnt 0x0
	s_barrier_signal -1
	s_barrier_wait -1
	global_inv scope:SCOPE_SE
	ds_load_b128 v[24:27], v17
	ds_load_2addr_b32 v[40:41], v16 offset1:16
	ds_load_b128 v[28:31], v17 offset:512
	ds_load_2addr_b32 v[42:43], v16 offset0:32 offset1:48
	ds_load_2addr_b32 v[44:45], v16 offset0:64 offset1:80
	;; [unrolled: 1-line block ×3, first 2 shown]
	ds_load_b128 v[32:35], v17 offset:16
	ds_load_2addr_b32 v[48:49], v16 offset0:128 offset1:144
	ds_load_b128 v[36:39], v17 offset:528
	ds_load_2addr_b32 v[50:51], v16 offset0:160 offset1:176
	s_add_nc_u64 s[16:17], s[16:17], 8
	v_add_co_u32 v8, vcc_lo, v8, 32
	s_wait_alu 0xfffe
	v_cmp_lt_i64_e64 s19, s[16:17], s[36:37]
	s_wait_alu 0xfffd
	v_add_co_ci_u32_e64 v9, null, 0, v9, vcc_lo
	v_add_co_u32 v10, vcc_lo, v10, 32
	s_wait_alu 0xfffd
	v_add_co_ci_u32_e64 v11, null, 0, v11, vcc_lo
	s_and_b32 vcc_lo, exec_lo, s19
	s_wait_dscnt 0x8
	v_fmac_f32_e32 v22, v41, v24
	v_fmac_f32_e32 v23, v40, v24
	s_wait_dscnt 0x7
	v_fmac_f32_e32 v20, v41, v28
	v_fmac_f32_e32 v21, v40, v28
	ds_load_2addr_b32 v[40:41], v16 offset0:192 offset1:208
	s_wait_dscnt 0x7
	v_fmac_f32_e32 v22, v43, v25
	v_fmac_f32_e32 v23, v42, v25
	;; [unrolled: 1-line block ×4, first 2 shown]
	ds_load_2addr_b32 v[24:25], v16 offset0:224 offset1:240
	s_wait_dscnt 0x7
	v_fmac_f32_e32 v22, v45, v26
	v_fmac_f32_e32 v23, v44, v26
	;; [unrolled: 1-line block ×4, first 2 shown]
	s_wait_loadcnt_dscnt 0x0
	v_fmac_f32_e32 v22, v47, v27
	v_fmac_f32_e32 v23, v46, v27
	v_fmac_f32_e32 v20, v47, v31
	v_fmac_f32_e32 v21, v46, v31
	s_barrier_signal -1
	v_fmac_f32_e32 v22, v49, v32
	v_fmac_f32_e32 v23, v48, v32
	;; [unrolled: 1-line block ×4, first 2 shown]
	s_barrier_wait -1
	v_fmac_f32_e32 v22, v51, v33
	v_fmac_f32_e32 v23, v50, v33
	;; [unrolled: 1-line block ×4, first 2 shown]
	global_inv scope:SCOPE_SE
	v_fmac_f32_e32 v22, v41, v34
	v_fmac_f32_e32 v23, v40, v34
	;; [unrolled: 1-line block ×3, first 2 shown]
	s_delay_alu instid0(VALU_DEP_3) | instskip(NEXT) | instid1(VALU_DEP_3)
	v_dual_fmac_f32 v21, v40, v38 :: v_dual_fmac_f32 v22, v25, v35
	v_fmac_f32_e32 v23, v24, v35
	s_delay_alu instid0(VALU_DEP_3) | instskip(NEXT) | instid1(VALU_DEP_3)
	v_fmac_f32_e32 v20, v25, v39
	v_fmac_f32_e32 v21, v24, v39
	s_wait_alu 0xfffe
	s_cbranch_vccz .LBB50_11
.LBB50_7:                               ;   Parent Loop BB50_4 Depth=1
                                        ; =>  This Inner Loop Header: Depth=2
	s_wait_alu 0xfffe
	v_add_co_u32 v24, s19, v12, s16
	s_wait_alu 0xf1ff
	v_add_co_ci_u32_e64 v25, null, 0, s17, s19
	s_delay_alu instid0(VALU_DEP_1)
	v_cmp_gt_i64_e32 vcc_lo, s[36:37], v[24:25]
	v_mov_b32_e32 v24, 0
	s_and_b32 s20, s0, vcc_lo
	s_wait_alu 0xfffe
	s_and_saveexec_b32 s19, s20
	s_cbranch_execz .LBB50_9
; %bb.8:                                ;   in Loop: Header=BB50_7 Depth=2
	global_load_b32 v24, v[10:11], off
.LBB50_9:                               ;   in Loop: Header=BB50_7 Depth=2
	s_wait_alu 0xfffe
	s_or_b32 exec_lo, exec_lo, s19
	v_add_co_u32 v25, s19, v13, s16
	s_wait_alu 0xf1ff
	v_add_co_ci_u32_e64 v26, null, 0, s17, s19
	s_wait_loadcnt 0x0
	ds_store_b32 v14, v24
	v_cmp_gt_i64_e32 vcc_lo, s[36:37], v[25:26]
	v_mov_b32_e32 v25, 0
	s_and_b32 s20, vcc_lo, s1
	s_wait_alu 0xfffe
	s_and_saveexec_b32 s19, s20
	s_cbranch_execz .LBB50_6
; %bb.10:                               ;   in Loop: Header=BB50_7 Depth=2
	global_load_b32 v25, v[8:9], off
	s_branch .LBB50_6
.LBB50_11:                              ;   in Loop: Header=BB50_4 Depth=1
	s_mul_u64 s[16:17], s[26:27], s[34:35]
	s_and_not1_b32 vcc_lo, exec_lo, s40
	s_wait_alu 0xfffe
	s_lshl_b64 s[16:17], s[16:17], 2
	s_wait_alu 0xfffe
	s_add_nc_u64 s[16:17], s[14:15], s[16:17]
	s_cbranch_vccnz .LBB50_16
; %bb.12:                               ;   in Loop: Header=BB50_4 Depth=1
	s_and_saveexec_b32 s19, s2
	s_cbranch_execz .LBB50_23
; %bb.13:                               ;   in Loop: Header=BB50_4 Depth=1
	v_lshlrev_b64_e32 v[8:9], 2, v[0:1]
	s_wait_alu 0xfffe
	s_delay_alu instid0(VALU_DEP_1) | instskip(SKIP_1) | instid1(VALU_DEP_2)
	v_add_co_u32 v8, vcc_lo, s16, v8
	s_wait_alu 0xfffd
	v_add_co_ci_u32_e64 v9, null, s17, v9, vcc_lo
	s_and_saveexec_b32 s20, s3
	s_cbranch_execnz .LBB50_17
; %bb.14:                               ;   in Loop: Header=BB50_4 Depth=1
	s_wait_alu 0xfffe
	s_or_b32 exec_lo, exec_lo, s20
	s_and_saveexec_b32 s20, s4
	s_cbranch_execnz .LBB50_18
.LBB50_15:                              ;   in Loop: Header=BB50_4 Depth=1
	s_wait_alu 0xfffe
	s_or_b32 exec_lo, exec_lo, s20
	s_delay_alu instid0(SALU_CYCLE_1)
	s_and_b32 exec_lo, exec_lo, s5
	s_cbranch_execnz .LBB50_19
	s_branch .LBB50_23
.LBB50_16:                              ;   in Loop: Header=BB50_4 Depth=1
	s_branch .LBB50_24
.LBB50_17:                              ;   in Loop: Header=BB50_4 Depth=1
	v_lshlrev_b64_e32 v[10:11], 2, v[2:3]
	v_mul_f32_e32 v24, s38, v23
	s_delay_alu instid0(VALU_DEP_2) | instskip(SKIP_1) | instid1(VALU_DEP_3)
	v_add_co_u32 v10, vcc_lo, v8, v10
	s_wait_alu 0xfffd
	v_add_co_ci_u32_e64 v11, null, v9, v11, vcc_lo
	global_store_b32 v[10:11], v24, off
	s_wait_alu 0xfffe
	s_or_b32 exec_lo, exec_lo, s20
	s_and_saveexec_b32 s20, s4
	s_cbranch_execz .LBB50_15
.LBB50_18:                              ;   in Loop: Header=BB50_4 Depth=1
	v_lshlrev_b64_e32 v[10:11], 2, v[2:3]
	v_mul_f32_e32 v24, s38, v22
	s_delay_alu instid0(VALU_DEP_2) | instskip(SKIP_1) | instid1(VALU_DEP_3)
	v_add_co_u32 v10, vcc_lo, v8, v10
	s_wait_alu 0xfffd
	v_add_co_ci_u32_e64 v11, null, v9, v11, vcc_lo
	global_store_b32 v[10:11], v24, off offset:64
	s_wait_alu 0xfffe
	s_or_b32 exec_lo, exec_lo, s20
	s_delay_alu instid0(SALU_CYCLE_1)
	s_and_b32 exec_lo, exec_lo, s5
	s_cbranch_execz .LBB50_23
.LBB50_19:                              ;   in Loop: Header=BB50_4 Depth=1
	s_lshl_b64 s[20:21], s[24:25], 2
	v_lshlrev_b64_e32 v[10:11], 2, v[2:3]
	s_wait_alu 0xfffe
	v_add_co_u32 v8, vcc_lo, v8, s20
	s_wait_alu 0xfffd
	v_add_co_ci_u32_e64 v9, null, s21, v9, vcc_lo
	s_delay_alu instid0(VALU_DEP_2) | instskip(SKIP_1) | instid1(VALU_DEP_2)
	v_add_co_u32 v8, vcc_lo, v8, v10
	s_wait_alu 0xfffd
	v_add_co_ci_u32_e64 v9, null, v9, v11, vcc_lo
	s_and_saveexec_b32 s20, s3
	s_cbranch_execz .LBB50_21
; %bb.20:                               ;   in Loop: Header=BB50_4 Depth=1
	v_mul_f32_e32 v10, s38, v21
	global_store_b32 v[8:9], v10, off
.LBB50_21:                              ;   in Loop: Header=BB50_4 Depth=1
	s_wait_alu 0xfffe
	s_or_b32 exec_lo, exec_lo, s20
	s_delay_alu instid0(SALU_CYCLE_1)
	s_and_b32 exec_lo, exec_lo, s4
	s_cbranch_execz .LBB50_23
; %bb.22:                               ;   in Loop: Header=BB50_4 Depth=1
	v_mul_f32_e32 v10, s38, v20
	global_store_b32 v[8:9], v10, off offset:64
.LBB50_23:                              ;   in Loop: Header=BB50_4 Depth=1
	s_wait_alu 0xfffe
	s_or_b32 exec_lo, exec_lo, s19
	s_cbranch_execnz .LBB50_3
.LBB50_24:                              ;   in Loop: Header=BB50_4 Depth=1
	s_and_saveexec_b32 s19, s2
	s_cbranch_execz .LBB50_2
; %bb.25:                               ;   in Loop: Header=BB50_4 Depth=1
	s_mul_u64 s[20:21], s[12:13], s[34:35]
	v_lshlrev_b64_e32 v[24:25], 2, v[0:1]
	s_wait_alu 0xfffe
	s_lshl_b64 s[20:21], s[20:21], 2
	v_lshlrev_b64_e32 v[8:9], 2, v[2:3]
	s_wait_alu 0xfffe
	v_add_co_u32 v10, vcc_lo, v18, s20
	s_wait_alu 0xfffd
	v_add_co_ci_u32_e64 v11, null, s21, v19, vcc_lo
	v_add_co_u32 v24, vcc_lo, s16, v24
	s_wait_alu 0xfffd
	v_add_co_ci_u32_e64 v25, null, s17, v25, vcc_lo
	s_and_saveexec_b32 s16, s3
	s_cbranch_execnz .LBB50_28
; %bb.26:                               ;   in Loop: Header=BB50_4 Depth=1
	s_wait_alu 0xfffe
	s_or_b32 exec_lo, exec_lo, s16
	s_and_saveexec_b32 s16, s4
	s_cbranch_execnz .LBB50_29
.LBB50_27:                              ;   in Loop: Header=BB50_4 Depth=1
	s_wait_alu 0xfffe
	s_or_b32 exec_lo, exec_lo, s16
	s_delay_alu instid0(SALU_CYCLE_1)
	s_and_b32 exec_lo, exec_lo, s5
	s_cbranch_execz .LBB50_2
	s_branch .LBB50_30
.LBB50_28:                              ;   in Loop: Header=BB50_4 Depth=1
	v_add_co_u32 v26, vcc_lo, v10, v8
	s_wait_alu 0xfffd
	v_add_co_ci_u32_e64 v27, null, v11, v9, vcc_lo
	global_load_b32 v26, v[26:27], off
	s_wait_loadcnt 0x0
	v_mul_f32_e32 v28, s39, v26
	v_add_co_u32 v26, vcc_lo, v24, v8
	s_wait_alu 0xfffd
	v_add_co_ci_u32_e64 v27, null, v25, v9, vcc_lo
	s_delay_alu instid0(VALU_DEP_3)
	v_fmac_f32_e32 v28, s38, v23
	global_store_b32 v[26:27], v28, off
	s_wait_alu 0xfffe
	s_or_b32 exec_lo, exec_lo, s16
	s_and_saveexec_b32 s16, s4
	s_cbranch_execz .LBB50_27
.LBB50_29:                              ;   in Loop: Header=BB50_4 Depth=1
	v_add_co_u32 v26, vcc_lo, v10, v8
	s_wait_alu 0xfffd
	v_add_co_ci_u32_e64 v27, null, v11, v9, vcc_lo
	global_load_b32 v23, v[26:27], off offset:64
	s_wait_loadcnt 0x0
	v_mul_f32_e32 v26, s39, v23
	s_delay_alu instid0(VALU_DEP_1)
	v_fmac_f32_e32 v26, s38, v22
	v_add_co_u32 v22, vcc_lo, v24, v8
	s_wait_alu 0xfffd
	v_add_co_ci_u32_e64 v23, null, v25, v9, vcc_lo
	global_store_b32 v[22:23], v26, off offset:64
	s_wait_alu 0xfffe
	s_or_b32 exec_lo, exec_lo, s16
	s_delay_alu instid0(SALU_CYCLE_1)
	s_and_b32 exec_lo, exec_lo, s5
	s_cbranch_execz .LBB50_2
.LBB50_30:                              ;   in Loop: Header=BB50_4 Depth=1
	v_add_co_u32 v10, vcc_lo, v10, s10
	s_lshl_b64 s[16:17], s[24:25], 2
	s_wait_alu 0xfffd
	v_add_co_ci_u32_e64 v11, null, s11, v11, vcc_lo
	s_wait_alu 0xfffe
	v_add_co_u32 v22, vcc_lo, v24, s16
	s_wait_alu 0xfffd
	v_add_co_ci_u32_e64 v23, null, s17, v25, vcc_lo
	v_add_co_u32 v10, vcc_lo, v10, v8
	s_wait_alu 0xfffd
	v_add_co_ci_u32_e64 v11, null, v11, v9, vcc_lo
	;; [unrolled: 3-line block ×3, first 2 shown]
	s_and_saveexec_b32 s16, s3
	s_cbranch_execz .LBB50_32
; %bb.31:                               ;   in Loop: Header=BB50_4 Depth=1
	global_load_b32 v22, v[10:11], off
	s_wait_loadcnt 0x0
	v_mul_f32_e32 v22, s39, v22
	s_delay_alu instid0(VALU_DEP_1)
	v_fmac_f32_e32 v22, s38, v21
	global_store_b32 v[8:9], v22, off
.LBB50_32:                              ;   in Loop: Header=BB50_4 Depth=1
	s_wait_alu 0xfffe
	s_or_b32 exec_lo, exec_lo, s16
	s_delay_alu instid0(SALU_CYCLE_1)
	s_and_b32 exec_lo, exec_lo, s4
	s_cbranch_execz .LBB50_2
; %bb.33:                               ;   in Loop: Header=BB50_4 Depth=1
	global_load_b32 v10, v[10:11], off offset:64
	s_wait_loadcnt 0x0
	v_mul_f32_e32 v10, s39, v10
	s_delay_alu instid0(VALU_DEP_1)
	v_fmac_f32_e32 v10, s38, v20
	global_store_b32 v[8:9], v10, off offset:64
	s_branch .LBB50_2
.LBB50_34:
	s_endpgm
	.section	.rodata,"a",@progbits
	.p2align	6, 0x0
	.amdhsa_kernel _ZN12_GLOBAL__N_135rocblas_gemm_batched_general_kernelIfLi16ELi16ELi32ELi32ELi8ELi32ELi8ELi8ELi32ELc84ELc78EKfS1_fEEvlllT_PT11_llS4_llS2_PT12_llPT13_lli
		.amdhsa_group_segment_fixed_size 2048
		.amdhsa_private_segment_fixed_size 0
		.amdhsa_kernarg_size 140
		.amdhsa_user_sgpr_count 2
		.amdhsa_user_sgpr_dispatch_ptr 0
		.amdhsa_user_sgpr_queue_ptr 0
		.amdhsa_user_sgpr_kernarg_segment_ptr 1
		.amdhsa_user_sgpr_dispatch_id 0
		.amdhsa_user_sgpr_private_segment_size 0
		.amdhsa_wavefront_size32 1
		.amdhsa_uses_dynamic_stack 0
		.amdhsa_enable_private_segment 0
		.amdhsa_system_sgpr_workgroup_id_x 1
		.amdhsa_system_sgpr_workgroup_id_y 1
		.amdhsa_system_sgpr_workgroup_id_z 1
		.amdhsa_system_sgpr_workgroup_info 0
		.amdhsa_system_vgpr_workitem_id 1
		.amdhsa_next_free_vgpr 52
		.amdhsa_next_free_sgpr 44
		.amdhsa_reserve_vcc 1
		.amdhsa_float_round_mode_32 0
		.amdhsa_float_round_mode_16_64 0
		.amdhsa_float_denorm_mode_32 3
		.amdhsa_float_denorm_mode_16_64 3
		.amdhsa_fp16_overflow 0
		.amdhsa_workgroup_processor_mode 1
		.amdhsa_memory_ordered 1
		.amdhsa_forward_progress 1
		.amdhsa_inst_pref_size 18
		.amdhsa_round_robin_scheduling 0
		.amdhsa_exception_fp_ieee_invalid_op 0
		.amdhsa_exception_fp_denorm_src 0
		.amdhsa_exception_fp_ieee_div_zero 0
		.amdhsa_exception_fp_ieee_overflow 0
		.amdhsa_exception_fp_ieee_underflow 0
		.amdhsa_exception_fp_ieee_inexact 0
		.amdhsa_exception_int_div_zero 0
	.end_amdhsa_kernel
	.section	.text._ZN12_GLOBAL__N_135rocblas_gemm_batched_general_kernelIfLi16ELi16ELi32ELi32ELi8ELi32ELi8ELi8ELi32ELc84ELc78EKfS1_fEEvlllT_PT11_llS4_llS2_PT12_llPT13_lli,"axG",@progbits,_ZN12_GLOBAL__N_135rocblas_gemm_batched_general_kernelIfLi16ELi16ELi32ELi32ELi8ELi32ELi8ELi8ELi32ELc84ELc78EKfS1_fEEvlllT_PT11_llS4_llS2_PT12_llPT13_lli,comdat
.Lfunc_end50:
	.size	_ZN12_GLOBAL__N_135rocblas_gemm_batched_general_kernelIfLi16ELi16ELi32ELi32ELi8ELi32ELi8ELi8ELi32ELc84ELc78EKfS1_fEEvlllT_PT11_llS4_llS2_PT12_llPT13_lli, .Lfunc_end50-_ZN12_GLOBAL__N_135rocblas_gemm_batched_general_kernelIfLi16ELi16ELi32ELi32ELi8ELi32ELi8ELi8ELi32ELc84ELc78EKfS1_fEEvlllT_PT11_llS4_llS2_PT12_llPT13_lli
                                        ; -- End function
	.set _ZN12_GLOBAL__N_135rocblas_gemm_batched_general_kernelIfLi16ELi16ELi32ELi32ELi8ELi32ELi8ELi8ELi32ELc84ELc78EKfS1_fEEvlllT_PT11_llS4_llS2_PT12_llPT13_lli.num_vgpr, 52
	.set _ZN12_GLOBAL__N_135rocblas_gemm_batched_general_kernelIfLi16ELi16ELi32ELi32ELi8ELi32ELi8ELi8ELi32ELc84ELc78EKfS1_fEEvlllT_PT11_llS4_llS2_PT12_llPT13_lli.num_agpr, 0
	.set _ZN12_GLOBAL__N_135rocblas_gemm_batched_general_kernelIfLi16ELi16ELi32ELi32ELi8ELi32ELi8ELi8ELi32ELc84ELc78EKfS1_fEEvlllT_PT11_llS4_llS2_PT12_llPT13_lli.numbered_sgpr, 44
	.set _ZN12_GLOBAL__N_135rocblas_gemm_batched_general_kernelIfLi16ELi16ELi32ELi32ELi8ELi32ELi8ELi8ELi32ELc84ELc78EKfS1_fEEvlllT_PT11_llS4_llS2_PT12_llPT13_lli.num_named_barrier, 0
	.set _ZN12_GLOBAL__N_135rocblas_gemm_batched_general_kernelIfLi16ELi16ELi32ELi32ELi8ELi32ELi8ELi8ELi32ELc84ELc78EKfS1_fEEvlllT_PT11_llS4_llS2_PT12_llPT13_lli.private_seg_size, 0
	.set _ZN12_GLOBAL__N_135rocblas_gemm_batched_general_kernelIfLi16ELi16ELi32ELi32ELi8ELi32ELi8ELi8ELi32ELc84ELc78EKfS1_fEEvlllT_PT11_llS4_llS2_PT12_llPT13_lli.uses_vcc, 1
	.set _ZN12_GLOBAL__N_135rocblas_gemm_batched_general_kernelIfLi16ELi16ELi32ELi32ELi8ELi32ELi8ELi8ELi32ELc84ELc78EKfS1_fEEvlllT_PT11_llS4_llS2_PT12_llPT13_lli.uses_flat_scratch, 0
	.set _ZN12_GLOBAL__N_135rocblas_gemm_batched_general_kernelIfLi16ELi16ELi32ELi32ELi8ELi32ELi8ELi8ELi32ELc84ELc78EKfS1_fEEvlllT_PT11_llS4_llS2_PT12_llPT13_lli.has_dyn_sized_stack, 0
	.set _ZN12_GLOBAL__N_135rocblas_gemm_batched_general_kernelIfLi16ELi16ELi32ELi32ELi8ELi32ELi8ELi8ELi32ELc84ELc78EKfS1_fEEvlllT_PT11_llS4_llS2_PT12_llPT13_lli.has_recursion, 0
	.set _ZN12_GLOBAL__N_135rocblas_gemm_batched_general_kernelIfLi16ELi16ELi32ELi32ELi8ELi32ELi8ELi8ELi32ELc84ELc78EKfS1_fEEvlllT_PT11_llS4_llS2_PT12_llPT13_lli.has_indirect_call, 0
	.section	.AMDGPU.csdata,"",@progbits
; Kernel info:
; codeLenInByte = 2188
; TotalNumSgprs: 46
; NumVgprs: 52
; ScratchSize: 0
; MemoryBound: 0
; FloatMode: 240
; IeeeMode: 1
; LDSByteSize: 2048 bytes/workgroup (compile time only)
; SGPRBlocks: 0
; VGPRBlocks: 6
; NumSGPRsForWavesPerEU: 46
; NumVGPRsForWavesPerEU: 52
; Occupancy: 16
; WaveLimiterHint : 0
; COMPUTE_PGM_RSRC2:SCRATCH_EN: 0
; COMPUTE_PGM_RSRC2:USER_SGPR: 2
; COMPUTE_PGM_RSRC2:TRAP_HANDLER: 0
; COMPUTE_PGM_RSRC2:TGID_X_EN: 1
; COMPUTE_PGM_RSRC2:TGID_Y_EN: 1
; COMPUTE_PGM_RSRC2:TGID_Z_EN: 1
; COMPUTE_PGM_RSRC2:TIDIG_COMP_CNT: 1
	.section	.text._ZN12_GLOBAL__N_135rocblas_gemm_batched_general_kernelIfLi16ELi16ELi32ELi32ELi8ELi32ELi8ELi8ELi32ELc78ELc84EKfS1_fEEvlllT_PT11_llS4_llS2_PT12_llPT13_lli,"axG",@progbits,_ZN12_GLOBAL__N_135rocblas_gemm_batched_general_kernelIfLi16ELi16ELi32ELi32ELi8ELi32ELi8ELi8ELi32ELc78ELc84EKfS1_fEEvlllT_PT11_llS4_llS2_PT12_llPT13_lli,comdat
	.globl	_ZN12_GLOBAL__N_135rocblas_gemm_batched_general_kernelIfLi16ELi16ELi32ELi32ELi8ELi32ELi8ELi8ELi32ELc78ELc84EKfS1_fEEvlllT_PT11_llS4_llS2_PT12_llPT13_lli ; -- Begin function _ZN12_GLOBAL__N_135rocblas_gemm_batched_general_kernelIfLi16ELi16ELi32ELi32ELi8ELi32ELi8ELi8ELi32ELc78ELc84EKfS1_fEEvlllT_PT11_llS4_llS2_PT12_llPT13_lli
	.p2align	8
	.type	_ZN12_GLOBAL__N_135rocblas_gemm_batched_general_kernelIfLi16ELi16ELi32ELi32ELi8ELi32ELi8ELi8ELi32ELc78ELc84EKfS1_fEEvlllT_PT11_llS4_llS2_PT12_llPT13_lli,@function
_ZN12_GLOBAL__N_135rocblas_gemm_batched_general_kernelIfLi16ELi16ELi32ELi32ELi8ELi32ELi8ELi8ELi32ELc78ELc84EKfS1_fEEvlllT_PT11_llS4_llS2_PT12_llPT13_lli: ; @_ZN12_GLOBAL__N_135rocblas_gemm_batched_general_kernelIfLi16ELi16ELi32ELi32ELi8ELi32ELi8ELi8ELi32ELc78ELc84EKfS1_fEEvlllT_PT11_llS4_llS2_PT12_llPT13_lli
; %bb.0:
	s_load_b32 s33, s[0:1], 0x88
	s_lshr_b32 s34, ttmp7, 16
	s_wait_kmcnt 0x0
	s_cmp_ge_i32 s34, s33
	s_cbranch_scc1 .LBB51_34
; %bb.1:
	v_bfe_u32 v6, v0, 10, 10
	v_and_b32_e32 v7, 0x3ff, v0
	s_clause 0x6
	s_load_b128 s[4:7], s[0:1], 0x0
	s_load_b96 s[36:38], s[0:1], 0x10
	s_load_b256 s[16:23], s[0:1], 0x20
	s_load_b128 s[28:31], s[0:1], 0x40
	s_load_b32 s39, s[0:1], 0x50
	s_load_b128 s[24:27], s[0:1], 0x78
	s_load_b256 s[8:15], s[0:1], 0x58
	v_and_b32_e32 v13, 7, v0
	s_mov_b32 s40, ttmp9
	v_lshl_add_u32 v1, v6, 4, v7
	s_ashr_i32 s41, ttmp9, 31
	s_and_b32 s43, ttmp7, 0xffff
	v_lshlrev_b32_e32 v4, 2, v13
	s_lshl_b64 s[44:45], s[40:41], 5
	v_lshrrev_b32_e32 v24, 3, v1
	v_and_b32_e32 v2, 31, v1
	s_lshl_b32 s2, s43, 5
	v_lshrrev_b32_e32 v12, 5, v1
	v_mov_b32_e32 v1, s45
	v_lshl_or_b32 v4, v24, 5, v4
	v_or_b32_e32 v0, s44, v2
	v_lshlrev_b32_e32 v25, 2, v2
	v_add_co_u32 v2, s0, v24, s2
	s_delay_alu instid0(VALU_DEP_1)
	v_add_co_ci_u32_e64 v3, null, 0, 0, s0
	v_add_nc_u32_e32 v15, 0x400, v4
	v_add_co_u32 v4, s2, s2, v6
	s_wait_kmcnt 0x0
	v_cmp_gt_i64_e64 s0, s[4:5], v[0:1]
	v_cmp_gt_i64_e64 s1, s[6:7], v[2:3]
	v_lshl_add_u32 v17, v6, 5, 0x400
	v_mad_co_u64_u32 v[0:1], null, v4, s24, 0
	v_add_co_u32 v2, s3, s44, v7
	v_mad_co_u64_u32 v[8:9], null, s28, v13, 0
	v_lshlrev_b32_e32 v16, 2, v7
	v_mad_co_u64_u32 v[6:7], null, v4, s10, 0
	s_wait_alu 0xf1ff
	v_add_co_ci_u32_e64 v3, null, s45, 0, s3
	v_add_co_ci_u32_e64 v5, null, 0, 0, s2
	v_mad_co_u64_u32 v[18:19], null, v4, s25, v[1:2]
	s_delay_alu instid0(VALU_DEP_4) | instskip(SKIP_1) | instid1(VALU_DEP_1)
	v_mov_b32_e32 v1, v7
	v_add_co_u32 v10, vcc_lo, v2, 16
	v_add_co_ci_u32_e64 v11, null, 0, v3, vcc_lo
	v_add_co_u32 v19, vcc_lo, v4, 16
	v_cmp_gt_i64_e64 s2, s[6:7], v[4:5]
	v_mov_b32_e32 v7, v9
	s_wait_alu 0xfffd
	v_add_co_ci_u32_e64 v20, null, 0, v5, vcc_lo
	v_mad_co_u64_u32 v[4:5], null, v4, s11, v[1:2]
	s_delay_alu instid0(VALU_DEP_3)
	v_mad_co_u64_u32 v[21:22], null, s29, v13, v[7:8]
	v_mad_co_u64_u32 v[22:23], null, s18, v12, 0
	s_cmp_eq_f32 s39, 0
	v_cmp_gt_i64_e64 s3, s[4:5], v[2:3]
	v_mov_b32_e32 v7, v4
	v_cmp_gt_i64_e64 s4, s[4:5], v[10:11]
	v_mov_b32_e32 v9, v21
	s_cselect_b32 s42, -1, 0
	v_mov_b32_e32 v4, v23
	v_lshlrev_b64_e32 v[5:6], 2, v[6:7]
	v_mov_b32_e32 v1, v18
	v_lshlrev_b64_e32 v[7:8], 2, v[8:9]
	v_cmp_gt_i64_e64 s5, s[6:7], v[19:20]
	s_lshl_b64 s[6:7], s[24:25], 4
	v_cmp_gt_i64_e64 s24, s[36:37], 0
	v_mad_co_u64_u32 v[9:10], null, s19, v12, v[4:5]
	v_add_co_u32 v18, vcc_lo, s8, v5
	s_lshl_b32 s8, s43, 7
	s_wait_alu 0xfffd
	v_add_co_ci_u32_e64 v19, null, s9, v6, vcc_lo
	v_lshlrev_b32_e32 v4, 2, v24
	s_wait_alu 0xfffe
	v_add_co_u32 v5, vcc_lo, v7, s8
	s_wait_alu 0xfffd
	v_add_co_ci_u32_e64 v6, null, 0, v8, vcc_lo
	v_mov_b32_e32 v23, v9
	s_delay_alu instid0(VALU_DEP_3) | instskip(SKIP_1) | instid1(VALU_DEP_3)
	v_add_co_u32 v4, vcc_lo, v5, v4
	s_wait_alu 0xfffd
	v_add_co_ci_u32_e64 v5, null, 0, v6, vcc_lo
	s_delay_alu instid0(VALU_DEP_3) | instskip(NEXT) | instid1(VALU_DEP_3)
	v_lshlrev_b64_e32 v[6:7], 2, v[22:23]
	v_add_co_u32 v4, vcc_lo, s22, v4
	s_lshl_b64 s[8:9], s[40:41], 7
	s_wait_alu 0xfffd
	v_add_co_ci_u32_e64 v5, null, s23, v5, vcc_lo
	s_wait_alu 0xfffe
	v_add_co_u32 v6, vcc_lo, v6, s8
	s_wait_alu 0xfffd
	v_add_co_ci_u32_e64 v7, null, s9, v7, vcc_lo
	v_lshl_or_b32 v14, v12, 7, v25
	s_delay_alu instid0(VALU_DEP_3) | instskip(SKIP_1) | instid1(VALU_DEP_3)
	v_add_co_u32 v6, vcc_lo, v6, v25
	s_wait_alu 0xfffd
	v_add_co_ci_u32_e64 v7, null, 0, v7, vcc_lo
	s_lshl_b64 s[44:45], s[10:11], 4
	v_add_co_u32 v6, vcc_lo, s16, v6
	s_wait_alu 0xfffd
	v_add_co_ci_u32_e64 v7, null, s17, v7, vcc_lo
	s_mov_b32 s35, 0
	s_lshl_b64 s[8:9], s[30:31], 2
	s_lshl_b64 s[10:11], s[28:29], 5
	;; [unrolled: 1-line block ×4, first 2 shown]
	s_wait_alu 0xfffe
	s_lshl_b64 s[20:21], s[44:45], 2
	s_branch .LBB51_4
.LBB51_2:                               ;   in Loop: Header=BB51_4 Depth=1
	s_wait_alu 0xfffe
	s_or_b32 exec_lo, exec_lo, s25
.LBB51_3:                               ;   in Loop: Header=BB51_4 Depth=1
	s_add_co_i32 s34, s34, 0x10000
	s_wait_alu 0xfffe
	s_cmp_lt_i32 s34, s33
	s_cbranch_scc0 .LBB51_34
.LBB51_4:                               ; =>This Loop Header: Depth=1
                                        ;     Child Loop BB51_7 Depth 2
	v_dual_mov_b32 v23, 0 :: v_dual_mov_b32 v22, 0
	v_dual_mov_b32 v21, 0 :: v_dual_mov_b32 v20, 0
	s_and_not1_b32 vcc_lo, exec_lo, s24
	s_wait_alu 0xfffe
	s_cbranch_vccnz .LBB51_11
; %bb.5:                                ;   in Loop: Header=BB51_4 Depth=1
	v_mad_co_u64_u32 v[8:9], null, s8, s34, v[4:5]
	v_mad_co_u64_u32 v[10:11], null, s16, s34, v[6:7]
	v_dual_mov_b32 v20, 0 :: v_dual_mov_b32 v21, 0
	s_mov_b64 s[22:23], 0
	s_delay_alu instid0(VALU_DEP_2) | instskip(NEXT) | instid1(VALU_DEP_3)
	v_mad_co_u64_u32 v[23:24], null, s9, s34, v[9:10]
	v_mad_co_u64_u32 v[24:25], null, s17, s34, v[11:12]
	s_delay_alu instid0(VALU_DEP_2) | instskip(SKIP_1) | instid1(VALU_DEP_3)
	v_dual_mov_b32 v22, 0 :: v_dual_mov_b32 v9, v23
	v_mov_b32_e32 v23, 0
	v_mov_b32_e32 v11, v24
	s_branch .LBB51_7
.LBB51_6:                               ;   in Loop: Header=BB51_7 Depth=2
	s_wait_alu 0xfffe
	s_or_b32 exec_lo, exec_lo, s25
	s_wait_loadcnt 0x0
	ds_store_b32 v15, v25
	s_wait_dscnt 0x0
	s_barrier_signal -1
	s_barrier_wait -1
	global_inv scope:SCOPE_SE
	ds_load_b128 v[24:27], v17
	ds_load_2addr_b32 v[40:41], v16 offset1:16
	ds_load_b128 v[28:31], v17 offset:512
	ds_load_2addr_b32 v[42:43], v16 offset0:32 offset1:48
	ds_load_2addr_b32 v[44:45], v16 offset0:64 offset1:80
	;; [unrolled: 1-line block ×3, first 2 shown]
	ds_load_b128 v[32:35], v17 offset:16
	ds_load_2addr_b32 v[48:49], v16 offset0:128 offset1:144
	ds_load_b128 v[36:39], v17 offset:528
	ds_load_2addr_b32 v[50:51], v16 offset0:160 offset1:176
	s_add_nc_u64 s[22:23], s[22:23], 8
	v_add_co_u32 v8, vcc_lo, v8, s10
	s_wait_alu 0xfffe
	v_cmp_lt_i64_e64 s25, s[22:23], s[36:37]
	s_wait_alu 0xfffd
	v_add_co_ci_u32_e64 v9, null, s11, v9, vcc_lo
	v_add_co_u32 v10, vcc_lo, v10, s18
	s_wait_alu 0xfffd
	v_add_co_ci_u32_e64 v11, null, s19, v11, vcc_lo
	s_and_b32 vcc_lo, exec_lo, s25
	s_wait_dscnt 0x8
	v_fmac_f32_e32 v22, v41, v24
	v_fmac_f32_e32 v23, v40, v24
	s_wait_dscnt 0x7
	v_fmac_f32_e32 v20, v41, v28
	v_fmac_f32_e32 v21, v40, v28
	ds_load_2addr_b32 v[40:41], v16 offset0:192 offset1:208
	s_wait_dscnt 0x7
	v_fmac_f32_e32 v22, v43, v25
	v_fmac_f32_e32 v23, v42, v25
	;; [unrolled: 1-line block ×4, first 2 shown]
	ds_load_2addr_b32 v[24:25], v16 offset0:224 offset1:240
	s_wait_dscnt 0x7
	v_fmac_f32_e32 v22, v45, v26
	v_fmac_f32_e32 v23, v44, v26
	;; [unrolled: 1-line block ×4, first 2 shown]
	s_wait_loadcnt_dscnt 0x0
	v_fmac_f32_e32 v22, v47, v27
	v_fmac_f32_e32 v23, v46, v27
	;; [unrolled: 1-line block ×4, first 2 shown]
	s_barrier_signal -1
	v_fmac_f32_e32 v22, v49, v32
	v_fmac_f32_e32 v23, v48, v32
	;; [unrolled: 1-line block ×4, first 2 shown]
	s_barrier_wait -1
	v_fmac_f32_e32 v22, v51, v33
	v_fmac_f32_e32 v23, v50, v33
	;; [unrolled: 1-line block ×4, first 2 shown]
	global_inv scope:SCOPE_SE
	v_fmac_f32_e32 v22, v41, v34
	v_fmac_f32_e32 v23, v40, v34
	;; [unrolled: 1-line block ×3, first 2 shown]
	s_delay_alu instid0(VALU_DEP_3) | instskip(NEXT) | instid1(VALU_DEP_3)
	v_dual_fmac_f32 v21, v40, v38 :: v_dual_fmac_f32 v22, v25, v35
	v_fmac_f32_e32 v23, v24, v35
	s_delay_alu instid0(VALU_DEP_3) | instskip(NEXT) | instid1(VALU_DEP_3)
	v_fmac_f32_e32 v20, v25, v39
	v_fmac_f32_e32 v21, v24, v39
	s_wait_alu 0xfffe
	s_cbranch_vccz .LBB51_11
.LBB51_7:                               ;   Parent Loop BB51_4 Depth=1
                                        ; =>  This Inner Loop Header: Depth=2
	s_wait_alu 0xfffe
	v_add_co_u32 v24, s25, v12, s22
	s_wait_alu 0xf1ff
	v_add_co_ci_u32_e64 v25, null, 0, s23, s25
	s_delay_alu instid0(VALU_DEP_1)
	v_cmp_gt_i64_e32 vcc_lo, s[36:37], v[24:25]
	v_mov_b32_e32 v24, 0
	s_and_b32 s28, s0, vcc_lo
	s_wait_alu 0xfffe
	s_and_saveexec_b32 s25, s28
	s_cbranch_execz .LBB51_9
; %bb.8:                                ;   in Loop: Header=BB51_7 Depth=2
	global_load_b32 v24, v[10:11], off
.LBB51_9:                               ;   in Loop: Header=BB51_7 Depth=2
	s_wait_alu 0xfffe
	s_or_b32 exec_lo, exec_lo, s25
	v_add_co_u32 v25, s25, v13, s22
	s_wait_alu 0xf1ff
	v_add_co_ci_u32_e64 v26, null, 0, s23, s25
	s_wait_loadcnt 0x0
	ds_store_b32 v14, v24
	v_cmp_gt_i64_e32 vcc_lo, s[36:37], v[25:26]
	v_mov_b32_e32 v25, 0
	s_and_b32 s28, vcc_lo, s1
	s_wait_alu 0xfffe
	s_and_saveexec_b32 s25, s28
	s_cbranch_execz .LBB51_6
; %bb.10:                               ;   in Loop: Header=BB51_7 Depth=2
	global_load_b32 v25, v[8:9], off
	s_branch .LBB51_6
.LBB51_11:                              ;   in Loop: Header=BB51_4 Depth=1
	s_mul_u64 s[22:23], s[26:27], s[34:35]
	s_and_not1_b32 vcc_lo, exec_lo, s42
	s_wait_alu 0xfffe
	s_lshl_b64 s[22:23], s[22:23], 2
	s_wait_alu 0xfffe
	s_add_nc_u64 s[22:23], s[14:15], s[22:23]
	s_cbranch_vccnz .LBB51_16
; %bb.12:                               ;   in Loop: Header=BB51_4 Depth=1
	s_and_saveexec_b32 s25, s2
	s_cbranch_execz .LBB51_23
; %bb.13:                               ;   in Loop: Header=BB51_4 Depth=1
	v_lshlrev_b64_e32 v[8:9], 2, v[0:1]
	s_wait_alu 0xfffe
	s_delay_alu instid0(VALU_DEP_1) | instskip(SKIP_1) | instid1(VALU_DEP_2)
	v_add_co_u32 v8, vcc_lo, s22, v8
	s_wait_alu 0xfffd
	v_add_co_ci_u32_e64 v9, null, s23, v9, vcc_lo
	s_and_saveexec_b32 s28, s3
	s_cbranch_execnz .LBB51_17
; %bb.14:                               ;   in Loop: Header=BB51_4 Depth=1
	s_wait_alu 0xfffe
	s_or_b32 exec_lo, exec_lo, s28
	s_and_saveexec_b32 s28, s4
	s_cbranch_execnz .LBB51_18
.LBB51_15:                              ;   in Loop: Header=BB51_4 Depth=1
	s_wait_alu 0xfffe
	s_or_b32 exec_lo, exec_lo, s28
	s_delay_alu instid0(SALU_CYCLE_1)
	s_and_b32 exec_lo, exec_lo, s5
	s_cbranch_execnz .LBB51_19
	s_branch .LBB51_23
.LBB51_16:                              ;   in Loop: Header=BB51_4 Depth=1
	s_branch .LBB51_24
.LBB51_17:                              ;   in Loop: Header=BB51_4 Depth=1
	v_lshlrev_b64_e32 v[10:11], 2, v[2:3]
	v_mul_f32_e32 v24, s38, v23
	s_delay_alu instid0(VALU_DEP_2) | instskip(SKIP_1) | instid1(VALU_DEP_3)
	v_add_co_u32 v10, vcc_lo, v8, v10
	s_wait_alu 0xfffd
	v_add_co_ci_u32_e64 v11, null, v9, v11, vcc_lo
	global_store_b32 v[10:11], v24, off
	s_wait_alu 0xfffe
	s_or_b32 exec_lo, exec_lo, s28
	s_and_saveexec_b32 s28, s4
	s_cbranch_execz .LBB51_15
.LBB51_18:                              ;   in Loop: Header=BB51_4 Depth=1
	v_lshlrev_b64_e32 v[10:11], 2, v[2:3]
	v_mul_f32_e32 v24, s38, v22
	s_delay_alu instid0(VALU_DEP_2) | instskip(SKIP_1) | instid1(VALU_DEP_3)
	v_add_co_u32 v10, vcc_lo, v8, v10
	s_wait_alu 0xfffd
	v_add_co_ci_u32_e64 v11, null, v9, v11, vcc_lo
	global_store_b32 v[10:11], v24, off offset:64
	s_wait_alu 0xfffe
	s_or_b32 exec_lo, exec_lo, s28
	s_delay_alu instid0(SALU_CYCLE_1)
	s_and_b32 exec_lo, exec_lo, s5
	s_cbranch_execz .LBB51_23
.LBB51_19:                              ;   in Loop: Header=BB51_4 Depth=1
	s_lshl_b64 s[28:29], s[6:7], 2
	v_lshlrev_b64_e32 v[10:11], 2, v[2:3]
	s_wait_alu 0xfffe
	v_add_co_u32 v8, vcc_lo, v8, s28
	s_wait_alu 0xfffd
	v_add_co_ci_u32_e64 v9, null, s29, v9, vcc_lo
	s_delay_alu instid0(VALU_DEP_2) | instskip(SKIP_1) | instid1(VALU_DEP_2)
	v_add_co_u32 v8, vcc_lo, v8, v10
	s_wait_alu 0xfffd
	v_add_co_ci_u32_e64 v9, null, v9, v11, vcc_lo
	s_and_saveexec_b32 s28, s3
	s_cbranch_execz .LBB51_21
; %bb.20:                               ;   in Loop: Header=BB51_4 Depth=1
	v_mul_f32_e32 v10, s38, v21
	global_store_b32 v[8:9], v10, off
.LBB51_21:                              ;   in Loop: Header=BB51_4 Depth=1
	s_wait_alu 0xfffe
	s_or_b32 exec_lo, exec_lo, s28
	s_delay_alu instid0(SALU_CYCLE_1)
	s_and_b32 exec_lo, exec_lo, s4
	s_cbranch_execz .LBB51_23
; %bb.22:                               ;   in Loop: Header=BB51_4 Depth=1
	v_mul_f32_e32 v10, s38, v20
	global_store_b32 v[8:9], v10, off offset:64
.LBB51_23:                              ;   in Loop: Header=BB51_4 Depth=1
	s_wait_alu 0xfffe
	s_or_b32 exec_lo, exec_lo, s25
	s_cbranch_execnz .LBB51_3
.LBB51_24:                              ;   in Loop: Header=BB51_4 Depth=1
	s_and_saveexec_b32 s25, s2
	s_cbranch_execz .LBB51_2
; %bb.25:                               ;   in Loop: Header=BB51_4 Depth=1
	s_mul_u64 s[28:29], s[12:13], s[34:35]
	v_lshlrev_b64_e32 v[24:25], 2, v[0:1]
	s_wait_alu 0xfffe
	s_lshl_b64 s[28:29], s[28:29], 2
	v_lshlrev_b64_e32 v[8:9], 2, v[2:3]
	s_wait_alu 0xfffe
	v_add_co_u32 v10, vcc_lo, v18, s28
	s_wait_alu 0xfffd
	v_add_co_ci_u32_e64 v11, null, s29, v19, vcc_lo
	v_add_co_u32 v24, vcc_lo, s22, v24
	s_wait_alu 0xfffd
	v_add_co_ci_u32_e64 v25, null, s23, v25, vcc_lo
	s_and_saveexec_b32 s22, s3
	s_cbranch_execnz .LBB51_28
; %bb.26:                               ;   in Loop: Header=BB51_4 Depth=1
	s_wait_alu 0xfffe
	s_or_b32 exec_lo, exec_lo, s22
	s_and_saveexec_b32 s22, s4
	s_cbranch_execnz .LBB51_29
.LBB51_27:                              ;   in Loop: Header=BB51_4 Depth=1
	s_wait_alu 0xfffe
	s_or_b32 exec_lo, exec_lo, s22
	s_delay_alu instid0(SALU_CYCLE_1)
	s_and_b32 exec_lo, exec_lo, s5
	s_cbranch_execz .LBB51_2
	s_branch .LBB51_30
.LBB51_28:                              ;   in Loop: Header=BB51_4 Depth=1
	v_add_co_u32 v26, vcc_lo, v10, v8
	s_wait_alu 0xfffd
	v_add_co_ci_u32_e64 v27, null, v11, v9, vcc_lo
	global_load_b32 v26, v[26:27], off
	s_wait_loadcnt 0x0
	v_mul_f32_e32 v28, s39, v26
	v_add_co_u32 v26, vcc_lo, v24, v8
	s_wait_alu 0xfffd
	v_add_co_ci_u32_e64 v27, null, v25, v9, vcc_lo
	s_delay_alu instid0(VALU_DEP_3)
	v_fmac_f32_e32 v28, s38, v23
	global_store_b32 v[26:27], v28, off
	s_wait_alu 0xfffe
	s_or_b32 exec_lo, exec_lo, s22
	s_and_saveexec_b32 s22, s4
	s_cbranch_execz .LBB51_27
.LBB51_29:                              ;   in Loop: Header=BB51_4 Depth=1
	v_add_co_u32 v26, vcc_lo, v10, v8
	s_wait_alu 0xfffd
	v_add_co_ci_u32_e64 v27, null, v11, v9, vcc_lo
	global_load_b32 v23, v[26:27], off offset:64
	s_wait_loadcnt 0x0
	v_mul_f32_e32 v26, s39, v23
	s_delay_alu instid0(VALU_DEP_1)
	v_fmac_f32_e32 v26, s38, v22
	v_add_co_u32 v22, vcc_lo, v24, v8
	s_wait_alu 0xfffd
	v_add_co_ci_u32_e64 v23, null, v25, v9, vcc_lo
	global_store_b32 v[22:23], v26, off offset:64
	s_wait_alu 0xfffe
	s_or_b32 exec_lo, exec_lo, s22
	s_delay_alu instid0(SALU_CYCLE_1)
	s_and_b32 exec_lo, exec_lo, s5
	s_cbranch_execz .LBB51_2
.LBB51_30:                              ;   in Loop: Header=BB51_4 Depth=1
	v_add_co_u32 v10, vcc_lo, v10, s20
	s_lshl_b64 s[22:23], s[6:7], 2
	s_wait_alu 0xfffd
	v_add_co_ci_u32_e64 v11, null, s21, v11, vcc_lo
	s_wait_alu 0xfffe
	v_add_co_u32 v22, vcc_lo, v24, s22
	s_wait_alu 0xfffd
	v_add_co_ci_u32_e64 v23, null, s23, v25, vcc_lo
	v_add_co_u32 v10, vcc_lo, v10, v8
	s_wait_alu 0xfffd
	v_add_co_ci_u32_e64 v11, null, v11, v9, vcc_lo
	;; [unrolled: 3-line block ×3, first 2 shown]
	s_and_saveexec_b32 s22, s3
	s_cbranch_execz .LBB51_32
; %bb.31:                               ;   in Loop: Header=BB51_4 Depth=1
	global_load_b32 v22, v[10:11], off
	s_wait_loadcnt 0x0
	v_mul_f32_e32 v22, s39, v22
	s_delay_alu instid0(VALU_DEP_1)
	v_fmac_f32_e32 v22, s38, v21
	global_store_b32 v[8:9], v22, off
.LBB51_32:                              ;   in Loop: Header=BB51_4 Depth=1
	s_wait_alu 0xfffe
	s_or_b32 exec_lo, exec_lo, s22
	s_delay_alu instid0(SALU_CYCLE_1)
	s_and_b32 exec_lo, exec_lo, s4
	s_cbranch_execz .LBB51_2
; %bb.33:                               ;   in Loop: Header=BB51_4 Depth=1
	global_load_b32 v10, v[10:11], off offset:64
	s_wait_loadcnt 0x0
	v_mul_f32_e32 v10, s39, v10
	s_delay_alu instid0(VALU_DEP_1)
	v_fmac_f32_e32 v10, s38, v20
	global_store_b32 v[8:9], v10, off offset:64
	s_branch .LBB51_2
.LBB51_34:
	s_endpgm
	.section	.rodata,"a",@progbits
	.p2align	6, 0x0
	.amdhsa_kernel _ZN12_GLOBAL__N_135rocblas_gemm_batched_general_kernelIfLi16ELi16ELi32ELi32ELi8ELi32ELi8ELi8ELi32ELc78ELc84EKfS1_fEEvlllT_PT11_llS4_llS2_PT12_llPT13_lli
		.amdhsa_group_segment_fixed_size 2048
		.amdhsa_private_segment_fixed_size 0
		.amdhsa_kernarg_size 140
		.amdhsa_user_sgpr_count 2
		.amdhsa_user_sgpr_dispatch_ptr 0
		.amdhsa_user_sgpr_queue_ptr 0
		.amdhsa_user_sgpr_kernarg_segment_ptr 1
		.amdhsa_user_sgpr_dispatch_id 0
		.amdhsa_user_sgpr_private_segment_size 0
		.amdhsa_wavefront_size32 1
		.amdhsa_uses_dynamic_stack 0
		.amdhsa_enable_private_segment 0
		.amdhsa_system_sgpr_workgroup_id_x 1
		.amdhsa_system_sgpr_workgroup_id_y 1
		.amdhsa_system_sgpr_workgroup_id_z 1
		.amdhsa_system_sgpr_workgroup_info 0
		.amdhsa_system_vgpr_workitem_id 1
		.amdhsa_next_free_vgpr 52
		.amdhsa_next_free_sgpr 46
		.amdhsa_reserve_vcc 1
		.amdhsa_float_round_mode_32 0
		.amdhsa_float_round_mode_16_64 0
		.amdhsa_float_denorm_mode_32 3
		.amdhsa_float_denorm_mode_16_64 3
		.amdhsa_fp16_overflow 0
		.amdhsa_workgroup_processor_mode 1
		.amdhsa_memory_ordered 1
		.amdhsa_forward_progress 1
		.amdhsa_inst_pref_size 18
		.amdhsa_round_robin_scheduling 0
		.amdhsa_exception_fp_ieee_invalid_op 0
		.amdhsa_exception_fp_denorm_src 0
		.amdhsa_exception_fp_ieee_div_zero 0
		.amdhsa_exception_fp_ieee_overflow 0
		.amdhsa_exception_fp_ieee_underflow 0
		.amdhsa_exception_fp_ieee_inexact 0
		.amdhsa_exception_int_div_zero 0
	.end_amdhsa_kernel
	.section	.text._ZN12_GLOBAL__N_135rocblas_gemm_batched_general_kernelIfLi16ELi16ELi32ELi32ELi8ELi32ELi8ELi8ELi32ELc78ELc84EKfS1_fEEvlllT_PT11_llS4_llS2_PT12_llPT13_lli,"axG",@progbits,_ZN12_GLOBAL__N_135rocblas_gemm_batched_general_kernelIfLi16ELi16ELi32ELi32ELi8ELi32ELi8ELi8ELi32ELc78ELc84EKfS1_fEEvlllT_PT11_llS4_llS2_PT12_llPT13_lli,comdat
.Lfunc_end51:
	.size	_ZN12_GLOBAL__N_135rocblas_gemm_batched_general_kernelIfLi16ELi16ELi32ELi32ELi8ELi32ELi8ELi8ELi32ELc78ELc84EKfS1_fEEvlllT_PT11_llS4_llS2_PT12_llPT13_lli, .Lfunc_end51-_ZN12_GLOBAL__N_135rocblas_gemm_batched_general_kernelIfLi16ELi16ELi32ELi32ELi8ELi32ELi8ELi8ELi32ELc78ELc84EKfS1_fEEvlllT_PT11_llS4_llS2_PT12_llPT13_lli
                                        ; -- End function
	.set _ZN12_GLOBAL__N_135rocblas_gemm_batched_general_kernelIfLi16ELi16ELi32ELi32ELi8ELi32ELi8ELi8ELi32ELc78ELc84EKfS1_fEEvlllT_PT11_llS4_llS2_PT12_llPT13_lli.num_vgpr, 52
	.set _ZN12_GLOBAL__N_135rocblas_gemm_batched_general_kernelIfLi16ELi16ELi32ELi32ELi8ELi32ELi8ELi8ELi32ELc78ELc84EKfS1_fEEvlllT_PT11_llS4_llS2_PT12_llPT13_lli.num_agpr, 0
	.set _ZN12_GLOBAL__N_135rocblas_gemm_batched_general_kernelIfLi16ELi16ELi32ELi32ELi8ELi32ELi8ELi8ELi32ELc78ELc84EKfS1_fEEvlllT_PT11_llS4_llS2_PT12_llPT13_lli.numbered_sgpr, 46
	.set _ZN12_GLOBAL__N_135rocblas_gemm_batched_general_kernelIfLi16ELi16ELi32ELi32ELi8ELi32ELi8ELi8ELi32ELc78ELc84EKfS1_fEEvlllT_PT11_llS4_llS2_PT12_llPT13_lli.num_named_barrier, 0
	.set _ZN12_GLOBAL__N_135rocblas_gemm_batched_general_kernelIfLi16ELi16ELi32ELi32ELi8ELi32ELi8ELi8ELi32ELc78ELc84EKfS1_fEEvlllT_PT11_llS4_llS2_PT12_llPT13_lli.private_seg_size, 0
	.set _ZN12_GLOBAL__N_135rocblas_gemm_batched_general_kernelIfLi16ELi16ELi32ELi32ELi8ELi32ELi8ELi8ELi32ELc78ELc84EKfS1_fEEvlllT_PT11_llS4_llS2_PT12_llPT13_lli.uses_vcc, 1
	.set _ZN12_GLOBAL__N_135rocblas_gemm_batched_general_kernelIfLi16ELi16ELi32ELi32ELi8ELi32ELi8ELi8ELi32ELc78ELc84EKfS1_fEEvlllT_PT11_llS4_llS2_PT12_llPT13_lli.uses_flat_scratch, 0
	.set _ZN12_GLOBAL__N_135rocblas_gemm_batched_general_kernelIfLi16ELi16ELi32ELi32ELi8ELi32ELi8ELi8ELi32ELc78ELc84EKfS1_fEEvlllT_PT11_llS4_llS2_PT12_llPT13_lli.has_dyn_sized_stack, 0
	.set _ZN12_GLOBAL__N_135rocblas_gemm_batched_general_kernelIfLi16ELi16ELi32ELi32ELi8ELi32ELi8ELi8ELi32ELc78ELc84EKfS1_fEEvlllT_PT11_llS4_llS2_PT12_llPT13_lli.has_recursion, 0
	.set _ZN12_GLOBAL__N_135rocblas_gemm_batched_general_kernelIfLi16ELi16ELi32ELi32ELi8ELi32ELi8ELi8ELi32ELc78ELc84EKfS1_fEEvlllT_PT11_llS4_llS2_PT12_llPT13_lli.has_indirect_call, 0
	.section	.AMDGPU.csdata,"",@progbits
; Kernel info:
; codeLenInByte = 2236
; TotalNumSgprs: 48
; NumVgprs: 52
; ScratchSize: 0
; MemoryBound: 0
; FloatMode: 240
; IeeeMode: 1
; LDSByteSize: 2048 bytes/workgroup (compile time only)
; SGPRBlocks: 0
; VGPRBlocks: 6
; NumSGPRsForWavesPerEU: 48
; NumVGPRsForWavesPerEU: 52
; Occupancy: 16
; WaveLimiterHint : 0
; COMPUTE_PGM_RSRC2:SCRATCH_EN: 0
; COMPUTE_PGM_RSRC2:USER_SGPR: 2
; COMPUTE_PGM_RSRC2:TRAP_HANDLER: 0
; COMPUTE_PGM_RSRC2:TGID_X_EN: 1
; COMPUTE_PGM_RSRC2:TGID_Y_EN: 1
; COMPUTE_PGM_RSRC2:TGID_Z_EN: 1
; COMPUTE_PGM_RSRC2:TIDIG_COMP_CNT: 1
	.section	.text._ZN12_GLOBAL__N_135rocblas_gemm_batched_general_kernelIfLi16ELi16ELi32ELi32ELi8ELi32ELi8ELi8ELi32ELc84ELc84EKfS1_fEEvlllT_PT11_llS4_llS2_PT12_llPT13_lli,"axG",@progbits,_ZN12_GLOBAL__N_135rocblas_gemm_batched_general_kernelIfLi16ELi16ELi32ELi32ELi8ELi32ELi8ELi8ELi32ELc84ELc84EKfS1_fEEvlllT_PT11_llS4_llS2_PT12_llPT13_lli,comdat
	.globl	_ZN12_GLOBAL__N_135rocblas_gemm_batched_general_kernelIfLi16ELi16ELi32ELi32ELi8ELi32ELi8ELi8ELi32ELc84ELc84EKfS1_fEEvlllT_PT11_llS4_llS2_PT12_llPT13_lli ; -- Begin function _ZN12_GLOBAL__N_135rocblas_gemm_batched_general_kernelIfLi16ELi16ELi32ELi32ELi8ELi32ELi8ELi8ELi32ELc84ELc84EKfS1_fEEvlllT_PT11_llS4_llS2_PT12_llPT13_lli
	.p2align	8
	.type	_ZN12_GLOBAL__N_135rocblas_gemm_batched_general_kernelIfLi16ELi16ELi32ELi32ELi8ELi32ELi8ELi8ELi32ELc84ELc84EKfS1_fEEvlllT_PT11_llS4_llS2_PT12_llPT13_lli,@function
_ZN12_GLOBAL__N_135rocblas_gemm_batched_general_kernelIfLi16ELi16ELi32ELi32ELi8ELi32ELi8ELi8ELi32ELc84ELc84EKfS1_fEEvlllT_PT11_llS4_llS2_PT12_llPT13_lli: ; @_ZN12_GLOBAL__N_135rocblas_gemm_batched_general_kernelIfLi16ELi16ELi32ELi32ELi8ELi32ELi8ELi8ELi32ELc84ELc84EKfS1_fEEvlllT_PT11_llS4_llS2_PT12_llPT13_lli
; %bb.0:
	s_load_b32 s33, s[0:1], 0x88
	s_lshr_b32 s34, ttmp7, 16
	s_wait_kmcnt 0x0
	s_cmp_ge_i32 s34, s33
	s_cbranch_scc1 .LBB52_34
; %bb.1:
	v_bfe_u32 v2, v0, 10, 10
	v_and_b32_e32 v3, 0x3ff, v0
	s_clause 0x6
	s_load_b128 s[4:7], s[0:1], 0x0
	s_load_b96 s[36:38], s[0:1], 0x10
	s_load_b256 s[16:23], s[0:1], 0x20
	s_load_b128 s[28:31], s[0:1], 0x40
	s_load_b32 s39, s[0:1], 0x50
	s_load_b128 s[24:27], s[0:1], 0x78
	s_load_b256 s[8:15], s[0:1], 0x58
	s_mov_b32 s2, ttmp9
	s_ashr_i32 s3, ttmp9, 31
	v_lshl_add_u32 v1, v2, 4, v3
	v_and_b32_e32 v13, 7, v0
	s_lshl_b64 s[40:41], s[2:3], 5
	s_and_b32 s43, ttmp7, 0xffff
	s_delay_alu instid0(VALU_DEP_2)
	v_dual_mov_b32 v5, s41 :: v_dual_and_b32 v6, 31, v1
	v_lshrrev_b32_e32 v23, 3, v1
	v_lshlrev_b32_e32 v7, 2, v13
	s_lshl_b32 s2, s43, 5
	v_lshrrev_b32_e32 v12, 5, v1
	v_or_b32_e32 v4, s40, v6
	v_add_co_u32 v0, s0, v23, s2
	s_delay_alu instid0(VALU_DEP_1)
	v_add_co_ci_u32_e64 v1, null, 0, 0, s0
	v_lshl_or_b32 v7, v23, 5, v7
	s_wait_kmcnt 0x0
	v_cmp_gt_i64_e64 s0, s[4:5], v[4:5]
	v_add_co_u32 v5, s2, s2, v2
	v_mad_co_u64_u32 v[9:10], null, s28, v13, 0
	v_add_nc_u32_e32 v15, 0x400, v7
	s_delay_alu instid0(VALU_DEP_3)
	v_mad_co_u64_u32 v[7:8], null, v5, s10, 0
	v_cmp_gt_i64_e64 s1, s[6:7], v[0:1]
	v_mad_co_u64_u32 v[0:1], null, v5, s24, 0
	v_lshl_add_u32 v17, v2, 5, 0x400
	v_lshlrev_b32_e32 v6, 2, v6
	s_cmp_eq_f32 s39, 0
	v_mad_co_u64_u32 v[20:21], null, v5, s11, v[8:9]
	s_mov_b32 s35, 0
	s_cselect_b32 s42, -1, 0
	v_mov_b32_e32 v8, v20
	v_add_co_u32 v2, s3, s40, v3
	s_delay_alu instid0(VALU_DEP_2) | instskip(NEXT) | instid1(VALU_DEP_2)
	v_lshlrev_b64_e32 v[7:8], 2, v[7:8]
	v_mad_co_u64_u32 v[21:22], null, v5, s25, v[1:2]
	v_mov_b32_e32 v1, v10
	v_lshl_or_b32 v14, v12, 7, v6
	v_lshlrev_b32_e32 v16, 2, v3
	s_wait_alu 0xf1ff
	v_add_co_ci_u32_e64 v6, null, 0, 0, s2
	v_add_co_ci_u32_e64 v3, null, s41, 0, s3
	v_add_co_u32 v18, vcc_lo, v2, 16
	v_mad_co_u64_u32 v[10:11], null, s29, v13, v[1:2]
	s_delay_alu instid0(VALU_DEP_4) | instskip(NEXT) | instid1(VALU_DEP_4)
	v_cmp_gt_i64_e64 s2, s[6:7], v[5:6]
	v_add_co_ci_u32_e64 v19, null, 0, v3, vcc_lo
	v_add_co_u32 v5, vcc_lo, v5, 16
	s_wait_alu 0xfffd
	v_add_co_ci_u32_e64 v6, null, 0, v6, vcc_lo
	v_cmp_gt_i64_e64 s3, s[4:5], v[2:3]
	v_cmp_gt_i64_e64 s4, s[4:5], v[18:19]
	v_add_co_u32 v18, vcc_lo, s8, v7
	s_delay_alu instid0(VALU_DEP_4)
	v_cmp_gt_i64_e64 s5, s[6:7], v[5:6]
	s_wait_alu 0xfffd
	v_add_co_ci_u32_e64 v19, null, s9, v8, vcc_lo
	v_lshlrev_b64_e32 v[5:6], 2, v[9:10]
	v_mul_lo_u32 v9, s19, v4
	v_mad_co_u64_u32 v[7:8], null, s18, v4, 0
	s_lshl_b32 s8, s43, 7
	v_lshlrev_b32_e32 v4, 2, v23
	s_mul_i32 s9, s18, s41
	s_wait_alu 0xfffe
	v_add_co_u32 v5, vcc_lo, v5, s8
	s_wait_alu 0xfffd
	v_add_co_ci_u32_e64 v6, null, 0, v6, vcc_lo
	v_add3_u32 v8, v8, s9, v9
	s_delay_alu instid0(VALU_DEP_3) | instskip(SKIP_1) | instid1(VALU_DEP_3)
	v_add_co_u32 v4, vcc_lo, v5, v4
	s_wait_alu 0xfffd
	v_add_co_ci_u32_e64 v5, null, 0, v6, vcc_lo
	s_delay_alu instid0(VALU_DEP_3) | instskip(SKIP_4) | instid1(VALU_DEP_3)
	v_lshlrev_b64_e32 v[6:7], 2, v[7:8]
	v_lshlrev_b32_e32 v8, 2, v12
	v_add_co_u32 v4, vcc_lo, s22, v4
	s_wait_alu 0xfffd
	v_add_co_ci_u32_e64 v5, null, s23, v5, vcc_lo
	v_add_co_u32 v6, vcc_lo, v6, v8
	s_wait_alu 0xfffd
	v_add_co_ci_u32_e64 v7, null, 0, v7, vcc_lo
	v_cmp_gt_i64_e64 s22, s[36:37], 0
	s_delay_alu instid0(VALU_DEP_3)
	v_add_co_u32 v6, vcc_lo, s16, v6
	v_mov_b32_e32 v1, v21
	s_wait_alu 0xfffd
	v_add_co_ci_u32_e64 v7, null, s17, v7, vcc_lo
	s_lshl_b64 s[6:7], s[24:25], 4
	s_lshl_b64 s[24:25], s[10:11], 4
	;; [unrolled: 1-line block ×5, first 2 shown]
	s_wait_alu 0xfffe
	s_lshl_b64 s[18:19], s[24:25], 2
	s_branch .LBB52_4
.LBB52_2:                               ;   in Loop: Header=BB52_4 Depth=1
	s_wait_alu 0xfffe
	s_or_b32 exec_lo, exec_lo, s23
.LBB52_3:                               ;   in Loop: Header=BB52_4 Depth=1
	s_add_co_i32 s34, s34, 0x10000
	s_wait_alu 0xfffe
	s_cmp_lt_i32 s34, s33
	s_cbranch_scc0 .LBB52_34
.LBB52_4:                               ; =>This Loop Header: Depth=1
                                        ;     Child Loop BB52_7 Depth 2
	v_dual_mov_b32 v23, 0 :: v_dual_mov_b32 v22, 0
	v_dual_mov_b32 v21, 0 :: v_dual_mov_b32 v20, 0
	s_and_not1_b32 vcc_lo, exec_lo, s22
	s_wait_alu 0xfffe
	s_cbranch_vccnz .LBB52_11
; %bb.5:                                ;   in Loop: Header=BB52_4 Depth=1
	v_mad_co_u64_u32 v[8:9], null, s8, s34, v[4:5]
	v_mad_co_u64_u32 v[10:11], null, s16, s34, v[6:7]
	v_dual_mov_b32 v20, 0 :: v_dual_mov_b32 v21, 0
	s_mov_b64 s[20:21], 0
	s_delay_alu instid0(VALU_DEP_2) | instskip(NEXT) | instid1(VALU_DEP_3)
	v_mad_co_u64_u32 v[23:24], null, s9, s34, v[9:10]
	v_mad_co_u64_u32 v[24:25], null, s17, s34, v[11:12]
	s_delay_alu instid0(VALU_DEP_2) | instskip(SKIP_1) | instid1(VALU_DEP_3)
	v_dual_mov_b32 v22, 0 :: v_dual_mov_b32 v9, v23
	v_mov_b32_e32 v23, 0
	v_mov_b32_e32 v11, v24
	s_branch .LBB52_7
.LBB52_6:                               ;   in Loop: Header=BB52_7 Depth=2
	s_wait_alu 0xfffe
	s_or_b32 exec_lo, exec_lo, s23
	s_wait_loadcnt 0x0
	ds_store_b32 v15, v25
	s_wait_dscnt 0x0
	s_barrier_signal -1
	s_barrier_wait -1
	global_inv scope:SCOPE_SE
	ds_load_b128 v[24:27], v17
	ds_load_2addr_b32 v[40:41], v16 offset1:16
	ds_load_b128 v[28:31], v17 offset:512
	ds_load_2addr_b32 v[42:43], v16 offset0:32 offset1:48
	ds_load_2addr_b32 v[44:45], v16 offset0:64 offset1:80
	;; [unrolled: 1-line block ×3, first 2 shown]
	ds_load_b128 v[32:35], v17 offset:16
	ds_load_2addr_b32 v[48:49], v16 offset0:128 offset1:144
	ds_load_b128 v[36:39], v17 offset:528
	ds_load_2addr_b32 v[50:51], v16 offset0:160 offset1:176
	s_add_nc_u64 s[20:21], s[20:21], 8
	v_add_co_u32 v8, vcc_lo, v8, s10
	s_wait_alu 0xfffe
	v_cmp_lt_i64_e64 s23, s[20:21], s[36:37]
	s_wait_alu 0xfffd
	v_add_co_ci_u32_e64 v9, null, s11, v9, vcc_lo
	v_add_co_u32 v10, vcc_lo, v10, 32
	s_wait_alu 0xfffd
	v_add_co_ci_u32_e64 v11, null, 0, v11, vcc_lo
	s_and_b32 vcc_lo, exec_lo, s23
	s_wait_dscnt 0x8
	v_fmac_f32_e32 v22, v41, v24
	v_fmac_f32_e32 v23, v40, v24
	s_wait_dscnt 0x7
	v_fmac_f32_e32 v20, v41, v28
	v_fmac_f32_e32 v21, v40, v28
	ds_load_2addr_b32 v[40:41], v16 offset0:192 offset1:208
	s_wait_dscnt 0x7
	v_fmac_f32_e32 v22, v43, v25
	v_fmac_f32_e32 v23, v42, v25
	;; [unrolled: 1-line block ×4, first 2 shown]
	ds_load_2addr_b32 v[24:25], v16 offset0:224 offset1:240
	s_wait_dscnt 0x7
	v_fmac_f32_e32 v22, v45, v26
	v_fmac_f32_e32 v23, v44, v26
	v_fmac_f32_e32 v20, v45, v30
	v_fmac_f32_e32 v21, v44, v30
	s_wait_loadcnt_dscnt 0x0
	v_fmac_f32_e32 v22, v47, v27
	v_fmac_f32_e32 v23, v46, v27
	;; [unrolled: 1-line block ×4, first 2 shown]
	s_barrier_signal -1
	v_fmac_f32_e32 v22, v49, v32
	v_fmac_f32_e32 v23, v48, v32
	;; [unrolled: 1-line block ×4, first 2 shown]
	s_barrier_wait -1
	v_fmac_f32_e32 v22, v51, v33
	v_fmac_f32_e32 v23, v50, v33
	;; [unrolled: 1-line block ×4, first 2 shown]
	global_inv scope:SCOPE_SE
	v_fmac_f32_e32 v22, v41, v34
	v_fmac_f32_e32 v23, v40, v34
	;; [unrolled: 1-line block ×3, first 2 shown]
	s_delay_alu instid0(VALU_DEP_3) | instskip(NEXT) | instid1(VALU_DEP_3)
	v_dual_fmac_f32 v21, v40, v38 :: v_dual_fmac_f32 v22, v25, v35
	v_fmac_f32_e32 v23, v24, v35
	s_delay_alu instid0(VALU_DEP_3) | instskip(NEXT) | instid1(VALU_DEP_3)
	v_fmac_f32_e32 v20, v25, v39
	v_fmac_f32_e32 v21, v24, v39
	s_wait_alu 0xfffe
	s_cbranch_vccz .LBB52_11
.LBB52_7:                               ;   Parent Loop BB52_4 Depth=1
                                        ; =>  This Inner Loop Header: Depth=2
	s_wait_alu 0xfffe
	v_add_co_u32 v24, s23, v12, s20
	s_wait_alu 0xf1ff
	v_add_co_ci_u32_e64 v25, null, 0, s21, s23
	s_delay_alu instid0(VALU_DEP_1)
	v_cmp_gt_i64_e32 vcc_lo, s[36:37], v[24:25]
	v_mov_b32_e32 v24, 0
	s_and_b32 s24, s0, vcc_lo
	s_wait_alu 0xfffe
	s_and_saveexec_b32 s23, s24
	s_cbranch_execz .LBB52_9
; %bb.8:                                ;   in Loop: Header=BB52_7 Depth=2
	global_load_b32 v24, v[10:11], off
.LBB52_9:                               ;   in Loop: Header=BB52_7 Depth=2
	s_wait_alu 0xfffe
	s_or_b32 exec_lo, exec_lo, s23
	v_add_co_u32 v25, s23, v13, s20
	s_wait_alu 0xf1ff
	v_add_co_ci_u32_e64 v26, null, 0, s21, s23
	s_wait_loadcnt 0x0
	ds_store_b32 v14, v24
	v_cmp_gt_i64_e32 vcc_lo, s[36:37], v[25:26]
	v_mov_b32_e32 v25, 0
	s_and_b32 s24, vcc_lo, s1
	s_wait_alu 0xfffe
	s_and_saveexec_b32 s23, s24
	s_cbranch_execz .LBB52_6
; %bb.10:                               ;   in Loop: Header=BB52_7 Depth=2
	global_load_b32 v25, v[8:9], off
	s_branch .LBB52_6
.LBB52_11:                              ;   in Loop: Header=BB52_4 Depth=1
	s_mul_u64 s[20:21], s[26:27], s[34:35]
	s_and_not1_b32 vcc_lo, exec_lo, s42
	s_wait_alu 0xfffe
	s_lshl_b64 s[20:21], s[20:21], 2
	s_wait_alu 0xfffe
	s_add_nc_u64 s[20:21], s[14:15], s[20:21]
	s_cbranch_vccnz .LBB52_16
; %bb.12:                               ;   in Loop: Header=BB52_4 Depth=1
	s_and_saveexec_b32 s23, s2
	s_cbranch_execz .LBB52_23
; %bb.13:                               ;   in Loop: Header=BB52_4 Depth=1
	v_lshlrev_b64_e32 v[8:9], 2, v[0:1]
	s_wait_alu 0xfffe
	s_delay_alu instid0(VALU_DEP_1) | instskip(SKIP_1) | instid1(VALU_DEP_2)
	v_add_co_u32 v8, vcc_lo, s20, v8
	s_wait_alu 0xfffd
	v_add_co_ci_u32_e64 v9, null, s21, v9, vcc_lo
	s_and_saveexec_b32 s24, s3
	s_cbranch_execnz .LBB52_17
; %bb.14:                               ;   in Loop: Header=BB52_4 Depth=1
	s_wait_alu 0xfffe
	s_or_b32 exec_lo, exec_lo, s24
	s_and_saveexec_b32 s24, s4
	s_cbranch_execnz .LBB52_18
.LBB52_15:                              ;   in Loop: Header=BB52_4 Depth=1
	s_wait_alu 0xfffe
	s_or_b32 exec_lo, exec_lo, s24
	s_delay_alu instid0(SALU_CYCLE_1)
	s_and_b32 exec_lo, exec_lo, s5
	s_cbranch_execnz .LBB52_19
	s_branch .LBB52_23
.LBB52_16:                              ;   in Loop: Header=BB52_4 Depth=1
	s_branch .LBB52_24
.LBB52_17:                              ;   in Loop: Header=BB52_4 Depth=1
	v_lshlrev_b64_e32 v[10:11], 2, v[2:3]
	v_mul_f32_e32 v24, s38, v23
	s_delay_alu instid0(VALU_DEP_2) | instskip(SKIP_1) | instid1(VALU_DEP_3)
	v_add_co_u32 v10, vcc_lo, v8, v10
	s_wait_alu 0xfffd
	v_add_co_ci_u32_e64 v11, null, v9, v11, vcc_lo
	global_store_b32 v[10:11], v24, off
	s_wait_alu 0xfffe
	s_or_b32 exec_lo, exec_lo, s24
	s_and_saveexec_b32 s24, s4
	s_cbranch_execz .LBB52_15
.LBB52_18:                              ;   in Loop: Header=BB52_4 Depth=1
	v_lshlrev_b64_e32 v[10:11], 2, v[2:3]
	v_mul_f32_e32 v24, s38, v22
	s_delay_alu instid0(VALU_DEP_2) | instskip(SKIP_1) | instid1(VALU_DEP_3)
	v_add_co_u32 v10, vcc_lo, v8, v10
	s_wait_alu 0xfffd
	v_add_co_ci_u32_e64 v11, null, v9, v11, vcc_lo
	global_store_b32 v[10:11], v24, off offset:64
	s_wait_alu 0xfffe
	s_or_b32 exec_lo, exec_lo, s24
	s_delay_alu instid0(SALU_CYCLE_1)
	s_and_b32 exec_lo, exec_lo, s5
	s_cbranch_execz .LBB52_23
.LBB52_19:                              ;   in Loop: Header=BB52_4 Depth=1
	s_lshl_b64 s[24:25], s[6:7], 2
	v_lshlrev_b64_e32 v[10:11], 2, v[2:3]
	s_wait_alu 0xfffe
	v_add_co_u32 v8, vcc_lo, v8, s24
	s_wait_alu 0xfffd
	v_add_co_ci_u32_e64 v9, null, s25, v9, vcc_lo
	s_delay_alu instid0(VALU_DEP_2) | instskip(SKIP_1) | instid1(VALU_DEP_2)
	v_add_co_u32 v8, vcc_lo, v8, v10
	s_wait_alu 0xfffd
	v_add_co_ci_u32_e64 v9, null, v9, v11, vcc_lo
	s_and_saveexec_b32 s24, s3
	s_cbranch_execz .LBB52_21
; %bb.20:                               ;   in Loop: Header=BB52_4 Depth=1
	v_mul_f32_e32 v10, s38, v21
	global_store_b32 v[8:9], v10, off
.LBB52_21:                              ;   in Loop: Header=BB52_4 Depth=1
	s_wait_alu 0xfffe
	s_or_b32 exec_lo, exec_lo, s24
	s_delay_alu instid0(SALU_CYCLE_1)
	s_and_b32 exec_lo, exec_lo, s4
	s_cbranch_execz .LBB52_23
; %bb.22:                               ;   in Loop: Header=BB52_4 Depth=1
	v_mul_f32_e32 v10, s38, v20
	global_store_b32 v[8:9], v10, off offset:64
.LBB52_23:                              ;   in Loop: Header=BB52_4 Depth=1
	s_wait_alu 0xfffe
	s_or_b32 exec_lo, exec_lo, s23
	s_cbranch_execnz .LBB52_3
.LBB52_24:                              ;   in Loop: Header=BB52_4 Depth=1
	s_and_saveexec_b32 s23, s2
	s_cbranch_execz .LBB52_2
; %bb.25:                               ;   in Loop: Header=BB52_4 Depth=1
	s_mul_u64 s[24:25], s[12:13], s[34:35]
	v_lshlrev_b64_e32 v[24:25], 2, v[0:1]
	s_wait_alu 0xfffe
	s_lshl_b64 s[24:25], s[24:25], 2
	v_lshlrev_b64_e32 v[8:9], 2, v[2:3]
	s_wait_alu 0xfffe
	v_add_co_u32 v10, vcc_lo, v18, s24
	s_wait_alu 0xfffd
	v_add_co_ci_u32_e64 v11, null, s25, v19, vcc_lo
	v_add_co_u32 v24, vcc_lo, s20, v24
	s_wait_alu 0xfffd
	v_add_co_ci_u32_e64 v25, null, s21, v25, vcc_lo
	s_and_saveexec_b32 s20, s3
	s_cbranch_execnz .LBB52_28
; %bb.26:                               ;   in Loop: Header=BB52_4 Depth=1
	s_wait_alu 0xfffe
	s_or_b32 exec_lo, exec_lo, s20
	s_and_saveexec_b32 s20, s4
	s_cbranch_execnz .LBB52_29
.LBB52_27:                              ;   in Loop: Header=BB52_4 Depth=1
	s_wait_alu 0xfffe
	s_or_b32 exec_lo, exec_lo, s20
	s_delay_alu instid0(SALU_CYCLE_1)
	s_and_b32 exec_lo, exec_lo, s5
	s_cbranch_execz .LBB52_2
	s_branch .LBB52_30
.LBB52_28:                              ;   in Loop: Header=BB52_4 Depth=1
	v_add_co_u32 v26, vcc_lo, v10, v8
	s_wait_alu 0xfffd
	v_add_co_ci_u32_e64 v27, null, v11, v9, vcc_lo
	global_load_b32 v26, v[26:27], off
	s_wait_loadcnt 0x0
	v_mul_f32_e32 v28, s39, v26
	v_add_co_u32 v26, vcc_lo, v24, v8
	s_wait_alu 0xfffd
	v_add_co_ci_u32_e64 v27, null, v25, v9, vcc_lo
	s_delay_alu instid0(VALU_DEP_3)
	v_fmac_f32_e32 v28, s38, v23
	global_store_b32 v[26:27], v28, off
	s_wait_alu 0xfffe
	s_or_b32 exec_lo, exec_lo, s20
	s_and_saveexec_b32 s20, s4
	s_cbranch_execz .LBB52_27
.LBB52_29:                              ;   in Loop: Header=BB52_4 Depth=1
	v_add_co_u32 v26, vcc_lo, v10, v8
	s_wait_alu 0xfffd
	v_add_co_ci_u32_e64 v27, null, v11, v9, vcc_lo
	global_load_b32 v23, v[26:27], off offset:64
	s_wait_loadcnt 0x0
	v_mul_f32_e32 v26, s39, v23
	s_delay_alu instid0(VALU_DEP_1)
	v_fmac_f32_e32 v26, s38, v22
	v_add_co_u32 v22, vcc_lo, v24, v8
	s_wait_alu 0xfffd
	v_add_co_ci_u32_e64 v23, null, v25, v9, vcc_lo
	global_store_b32 v[22:23], v26, off offset:64
	s_wait_alu 0xfffe
	s_or_b32 exec_lo, exec_lo, s20
	s_delay_alu instid0(SALU_CYCLE_1)
	s_and_b32 exec_lo, exec_lo, s5
	s_cbranch_execz .LBB52_2
.LBB52_30:                              ;   in Loop: Header=BB52_4 Depth=1
	v_add_co_u32 v10, vcc_lo, v10, s18
	s_lshl_b64 s[20:21], s[6:7], 2
	s_wait_alu 0xfffd
	v_add_co_ci_u32_e64 v11, null, s19, v11, vcc_lo
	s_wait_alu 0xfffe
	v_add_co_u32 v22, vcc_lo, v24, s20
	s_wait_alu 0xfffd
	v_add_co_ci_u32_e64 v23, null, s21, v25, vcc_lo
	v_add_co_u32 v10, vcc_lo, v10, v8
	s_wait_alu 0xfffd
	v_add_co_ci_u32_e64 v11, null, v11, v9, vcc_lo
	;; [unrolled: 3-line block ×3, first 2 shown]
	s_and_saveexec_b32 s20, s3
	s_cbranch_execz .LBB52_32
; %bb.31:                               ;   in Loop: Header=BB52_4 Depth=1
	global_load_b32 v22, v[10:11], off
	s_wait_loadcnt 0x0
	v_mul_f32_e32 v22, s39, v22
	s_delay_alu instid0(VALU_DEP_1)
	v_fmac_f32_e32 v22, s38, v21
	global_store_b32 v[8:9], v22, off
.LBB52_32:                              ;   in Loop: Header=BB52_4 Depth=1
	s_wait_alu 0xfffe
	s_or_b32 exec_lo, exec_lo, s20
	s_delay_alu instid0(SALU_CYCLE_1)
	s_and_b32 exec_lo, exec_lo, s4
	s_cbranch_execz .LBB52_2
; %bb.33:                               ;   in Loop: Header=BB52_4 Depth=1
	global_load_b32 v10, v[10:11], off offset:64
	s_wait_loadcnt 0x0
	v_mul_f32_e32 v10, s39, v10
	s_delay_alu instid0(VALU_DEP_1)
	v_fmac_f32_e32 v10, s38, v20
	global_store_b32 v[8:9], v10, off offset:64
	s_branch .LBB52_2
.LBB52_34:
	s_endpgm
	.section	.rodata,"a",@progbits
	.p2align	6, 0x0
	.amdhsa_kernel _ZN12_GLOBAL__N_135rocblas_gemm_batched_general_kernelIfLi16ELi16ELi32ELi32ELi8ELi32ELi8ELi8ELi32ELc84ELc84EKfS1_fEEvlllT_PT11_llS4_llS2_PT12_llPT13_lli
		.amdhsa_group_segment_fixed_size 2048
		.amdhsa_private_segment_fixed_size 0
		.amdhsa_kernarg_size 140
		.amdhsa_user_sgpr_count 2
		.amdhsa_user_sgpr_dispatch_ptr 0
		.amdhsa_user_sgpr_queue_ptr 0
		.amdhsa_user_sgpr_kernarg_segment_ptr 1
		.amdhsa_user_sgpr_dispatch_id 0
		.amdhsa_user_sgpr_private_segment_size 0
		.amdhsa_wavefront_size32 1
		.amdhsa_uses_dynamic_stack 0
		.amdhsa_enable_private_segment 0
		.amdhsa_system_sgpr_workgroup_id_x 1
		.amdhsa_system_sgpr_workgroup_id_y 1
		.amdhsa_system_sgpr_workgroup_id_z 1
		.amdhsa_system_sgpr_workgroup_info 0
		.amdhsa_system_vgpr_workitem_id 1
		.amdhsa_next_free_vgpr 52
		.amdhsa_next_free_sgpr 44
		.amdhsa_reserve_vcc 1
		.amdhsa_float_round_mode_32 0
		.amdhsa_float_round_mode_16_64 0
		.amdhsa_float_denorm_mode_32 3
		.amdhsa_float_denorm_mode_16_64 3
		.amdhsa_fp16_overflow 0
		.amdhsa_workgroup_processor_mode 1
		.amdhsa_memory_ordered 1
		.amdhsa_forward_progress 1
		.amdhsa_inst_pref_size 18
		.amdhsa_round_robin_scheduling 0
		.amdhsa_exception_fp_ieee_invalid_op 0
		.amdhsa_exception_fp_denorm_src 0
		.amdhsa_exception_fp_ieee_div_zero 0
		.amdhsa_exception_fp_ieee_overflow 0
		.amdhsa_exception_fp_ieee_underflow 0
		.amdhsa_exception_fp_ieee_inexact 0
		.amdhsa_exception_int_div_zero 0
	.end_amdhsa_kernel
	.section	.text._ZN12_GLOBAL__N_135rocblas_gemm_batched_general_kernelIfLi16ELi16ELi32ELi32ELi8ELi32ELi8ELi8ELi32ELc84ELc84EKfS1_fEEvlllT_PT11_llS4_llS2_PT12_llPT13_lli,"axG",@progbits,_ZN12_GLOBAL__N_135rocblas_gemm_batched_general_kernelIfLi16ELi16ELi32ELi32ELi8ELi32ELi8ELi8ELi32ELc84ELc84EKfS1_fEEvlllT_PT11_llS4_llS2_PT12_llPT13_lli,comdat
.Lfunc_end52:
	.size	_ZN12_GLOBAL__N_135rocblas_gemm_batched_general_kernelIfLi16ELi16ELi32ELi32ELi8ELi32ELi8ELi8ELi32ELc84ELc84EKfS1_fEEvlllT_PT11_llS4_llS2_PT12_llPT13_lli, .Lfunc_end52-_ZN12_GLOBAL__N_135rocblas_gemm_batched_general_kernelIfLi16ELi16ELi32ELi32ELi8ELi32ELi8ELi8ELi32ELc84ELc84EKfS1_fEEvlllT_PT11_llS4_llS2_PT12_llPT13_lli
                                        ; -- End function
	.set _ZN12_GLOBAL__N_135rocblas_gemm_batched_general_kernelIfLi16ELi16ELi32ELi32ELi8ELi32ELi8ELi8ELi32ELc84ELc84EKfS1_fEEvlllT_PT11_llS4_llS2_PT12_llPT13_lli.num_vgpr, 52
	.set _ZN12_GLOBAL__N_135rocblas_gemm_batched_general_kernelIfLi16ELi16ELi32ELi32ELi8ELi32ELi8ELi8ELi32ELc84ELc84EKfS1_fEEvlllT_PT11_llS4_llS2_PT12_llPT13_lli.num_agpr, 0
	.set _ZN12_GLOBAL__N_135rocblas_gemm_batched_general_kernelIfLi16ELi16ELi32ELi32ELi8ELi32ELi8ELi8ELi32ELc84ELc84EKfS1_fEEvlllT_PT11_llS4_llS2_PT12_llPT13_lli.numbered_sgpr, 44
	.set _ZN12_GLOBAL__N_135rocblas_gemm_batched_general_kernelIfLi16ELi16ELi32ELi32ELi8ELi32ELi8ELi8ELi32ELc84ELc84EKfS1_fEEvlllT_PT11_llS4_llS2_PT12_llPT13_lli.num_named_barrier, 0
	.set _ZN12_GLOBAL__N_135rocblas_gemm_batched_general_kernelIfLi16ELi16ELi32ELi32ELi8ELi32ELi8ELi8ELi32ELc84ELc84EKfS1_fEEvlllT_PT11_llS4_llS2_PT12_llPT13_lli.private_seg_size, 0
	.set _ZN12_GLOBAL__N_135rocblas_gemm_batched_general_kernelIfLi16ELi16ELi32ELi32ELi8ELi32ELi8ELi8ELi32ELc84ELc84EKfS1_fEEvlllT_PT11_llS4_llS2_PT12_llPT13_lli.uses_vcc, 1
	.set _ZN12_GLOBAL__N_135rocblas_gemm_batched_general_kernelIfLi16ELi16ELi32ELi32ELi8ELi32ELi8ELi8ELi32ELc84ELc84EKfS1_fEEvlllT_PT11_llS4_llS2_PT12_llPT13_lli.uses_flat_scratch, 0
	.set _ZN12_GLOBAL__N_135rocblas_gemm_batched_general_kernelIfLi16ELi16ELi32ELi32ELi8ELi32ELi8ELi8ELi32ELc84ELc84EKfS1_fEEvlllT_PT11_llS4_llS2_PT12_llPT13_lli.has_dyn_sized_stack, 0
	.set _ZN12_GLOBAL__N_135rocblas_gemm_batched_general_kernelIfLi16ELi16ELi32ELi32ELi8ELi32ELi8ELi8ELi32ELc84ELc84EKfS1_fEEvlllT_PT11_llS4_llS2_PT12_llPT13_lli.has_recursion, 0
	.set _ZN12_GLOBAL__N_135rocblas_gemm_batched_general_kernelIfLi16ELi16ELi32ELi32ELi8ELi32ELi8ELi8ELi32ELc84ELc84EKfS1_fEEvlllT_PT11_llS4_llS2_PT12_llPT13_lli.has_indirect_call, 0
	.section	.AMDGPU.csdata,"",@progbits
; Kernel info:
; codeLenInByte = 2216
; TotalNumSgprs: 46
; NumVgprs: 52
; ScratchSize: 0
; MemoryBound: 0
; FloatMode: 240
; IeeeMode: 1
; LDSByteSize: 2048 bytes/workgroup (compile time only)
; SGPRBlocks: 0
; VGPRBlocks: 6
; NumSGPRsForWavesPerEU: 46
; NumVGPRsForWavesPerEU: 52
; Occupancy: 16
; WaveLimiterHint : 0
; COMPUTE_PGM_RSRC2:SCRATCH_EN: 0
; COMPUTE_PGM_RSRC2:USER_SGPR: 2
; COMPUTE_PGM_RSRC2:TRAP_HANDLER: 0
; COMPUTE_PGM_RSRC2:TGID_X_EN: 1
; COMPUTE_PGM_RSRC2:TGID_Y_EN: 1
; COMPUTE_PGM_RSRC2:TGID_Z_EN: 1
; COMPUTE_PGM_RSRC2:TIDIG_COMP_CNT: 1
	.section	.text._ZN12_GLOBAL__N_135rocblas_gemm_batched_general_kernelIfLi16ELi16ELi32ELi32ELi8ELi32ELi8ELi8ELi32ELc67ELc67EKfS1_fEEvlllT_PT11_llS4_llS2_PT12_llPT13_lli,"axG",@progbits,_ZN12_GLOBAL__N_135rocblas_gemm_batched_general_kernelIfLi16ELi16ELi32ELi32ELi8ELi32ELi8ELi8ELi32ELc67ELc67EKfS1_fEEvlllT_PT11_llS4_llS2_PT12_llPT13_lli,comdat
	.globl	_ZN12_GLOBAL__N_135rocblas_gemm_batched_general_kernelIfLi16ELi16ELi32ELi32ELi8ELi32ELi8ELi8ELi32ELc67ELc67EKfS1_fEEvlllT_PT11_llS4_llS2_PT12_llPT13_lli ; -- Begin function _ZN12_GLOBAL__N_135rocblas_gemm_batched_general_kernelIfLi16ELi16ELi32ELi32ELi8ELi32ELi8ELi8ELi32ELc67ELc67EKfS1_fEEvlllT_PT11_llS4_llS2_PT12_llPT13_lli
	.p2align	8
	.type	_ZN12_GLOBAL__N_135rocblas_gemm_batched_general_kernelIfLi16ELi16ELi32ELi32ELi8ELi32ELi8ELi8ELi32ELc67ELc67EKfS1_fEEvlllT_PT11_llS4_llS2_PT12_llPT13_lli,@function
_ZN12_GLOBAL__N_135rocblas_gemm_batched_general_kernelIfLi16ELi16ELi32ELi32ELi8ELi32ELi8ELi8ELi32ELc67ELc67EKfS1_fEEvlllT_PT11_llS4_llS2_PT12_llPT13_lli: ; @_ZN12_GLOBAL__N_135rocblas_gemm_batched_general_kernelIfLi16ELi16ELi32ELi32ELi8ELi32ELi8ELi8ELi32ELc67ELc67EKfS1_fEEvlllT_PT11_llS4_llS2_PT12_llPT13_lli
; %bb.0:
	s_load_b32 s33, s[0:1], 0x88
	s_lshr_b32 s34, ttmp7, 16
	s_wait_kmcnt 0x0
	s_cmp_ge_i32 s34, s33
	s_cbranch_scc1 .LBB53_34
; %bb.1:
	v_bfe_u32 v2, v0, 10, 10
	v_and_b32_e32 v3, 0x3ff, v0
	s_clause 0x6
	s_load_b128 s[4:7], s[0:1], 0x0
	s_load_b96 s[36:38], s[0:1], 0x10
	s_load_b256 s[16:23], s[0:1], 0x20
	s_load_b128 s[28:31], s[0:1], 0x40
	s_load_b32 s39, s[0:1], 0x50
	s_load_b128 s[24:27], s[0:1], 0x78
	s_load_b256 s[8:15], s[0:1], 0x58
	s_mov_b32 s2, ttmp9
	s_ashr_i32 s3, ttmp9, 31
	v_lshl_add_u32 v1, v2, 4, v3
	v_and_b32_e32 v13, 7, v0
	s_lshl_b64 s[40:41], s[2:3], 5
	s_and_b32 s43, ttmp7, 0xffff
	s_delay_alu instid0(VALU_DEP_2)
	v_dual_mov_b32 v5, s41 :: v_dual_and_b32 v6, 31, v1
	v_lshrrev_b32_e32 v23, 3, v1
	v_lshlrev_b32_e32 v7, 2, v13
	s_lshl_b32 s2, s43, 5
	v_lshrrev_b32_e32 v12, 5, v1
	v_or_b32_e32 v4, s40, v6
	v_add_co_u32 v0, s0, v23, s2
	s_delay_alu instid0(VALU_DEP_1)
	v_add_co_ci_u32_e64 v1, null, 0, 0, s0
	v_lshl_or_b32 v7, v23, 5, v7
	s_wait_kmcnt 0x0
	v_cmp_gt_i64_e64 s0, s[4:5], v[4:5]
	v_add_co_u32 v5, s2, s2, v2
	v_mad_co_u64_u32 v[9:10], null, s28, v13, 0
	v_add_nc_u32_e32 v15, 0x400, v7
	s_delay_alu instid0(VALU_DEP_3)
	v_mad_co_u64_u32 v[7:8], null, v5, s10, 0
	v_cmp_gt_i64_e64 s1, s[6:7], v[0:1]
	v_mad_co_u64_u32 v[0:1], null, v5, s24, 0
	v_lshl_add_u32 v17, v2, 5, 0x400
	v_lshlrev_b32_e32 v6, 2, v6
	s_cmp_eq_f32 s39, 0
	v_mad_co_u64_u32 v[20:21], null, v5, s11, v[8:9]
	s_mov_b32 s35, 0
	s_cselect_b32 s42, -1, 0
	v_mov_b32_e32 v8, v20
	v_add_co_u32 v2, s3, s40, v3
	s_delay_alu instid0(VALU_DEP_2) | instskip(NEXT) | instid1(VALU_DEP_2)
	v_lshlrev_b64_e32 v[7:8], 2, v[7:8]
	v_mad_co_u64_u32 v[21:22], null, v5, s25, v[1:2]
	v_mov_b32_e32 v1, v10
	v_lshl_or_b32 v14, v12, 7, v6
	v_lshlrev_b32_e32 v16, 2, v3
	s_wait_alu 0xf1ff
	v_add_co_ci_u32_e64 v6, null, 0, 0, s2
	v_add_co_ci_u32_e64 v3, null, s41, 0, s3
	v_add_co_u32 v18, vcc_lo, v2, 16
	v_mad_co_u64_u32 v[10:11], null, s29, v13, v[1:2]
	s_delay_alu instid0(VALU_DEP_4) | instskip(NEXT) | instid1(VALU_DEP_4)
	v_cmp_gt_i64_e64 s2, s[6:7], v[5:6]
	v_add_co_ci_u32_e64 v19, null, 0, v3, vcc_lo
	v_add_co_u32 v5, vcc_lo, v5, 16
	s_wait_alu 0xfffd
	v_add_co_ci_u32_e64 v6, null, 0, v6, vcc_lo
	v_cmp_gt_i64_e64 s3, s[4:5], v[2:3]
	v_cmp_gt_i64_e64 s4, s[4:5], v[18:19]
	v_add_co_u32 v18, vcc_lo, s8, v7
	s_delay_alu instid0(VALU_DEP_4)
	v_cmp_gt_i64_e64 s5, s[6:7], v[5:6]
	s_wait_alu 0xfffd
	v_add_co_ci_u32_e64 v19, null, s9, v8, vcc_lo
	v_lshlrev_b64_e32 v[5:6], 2, v[9:10]
	v_mul_lo_u32 v9, s19, v4
	v_mad_co_u64_u32 v[7:8], null, s18, v4, 0
	s_lshl_b32 s8, s43, 7
	v_lshlrev_b32_e32 v4, 2, v23
	s_mul_i32 s9, s18, s41
	s_wait_alu 0xfffe
	v_add_co_u32 v5, vcc_lo, v5, s8
	s_wait_alu 0xfffd
	v_add_co_ci_u32_e64 v6, null, 0, v6, vcc_lo
	v_add3_u32 v8, v8, s9, v9
	s_delay_alu instid0(VALU_DEP_3) | instskip(SKIP_1) | instid1(VALU_DEP_3)
	v_add_co_u32 v4, vcc_lo, v5, v4
	s_wait_alu 0xfffd
	v_add_co_ci_u32_e64 v5, null, 0, v6, vcc_lo
	s_delay_alu instid0(VALU_DEP_3) | instskip(SKIP_4) | instid1(VALU_DEP_3)
	v_lshlrev_b64_e32 v[6:7], 2, v[7:8]
	v_lshlrev_b32_e32 v8, 2, v12
	v_add_co_u32 v4, vcc_lo, s22, v4
	s_wait_alu 0xfffd
	v_add_co_ci_u32_e64 v5, null, s23, v5, vcc_lo
	v_add_co_u32 v6, vcc_lo, v6, v8
	s_wait_alu 0xfffd
	v_add_co_ci_u32_e64 v7, null, 0, v7, vcc_lo
	v_cmp_gt_i64_e64 s22, s[36:37], 0
	s_delay_alu instid0(VALU_DEP_3)
	v_add_co_u32 v6, vcc_lo, s16, v6
	v_mov_b32_e32 v1, v21
	s_wait_alu 0xfffd
	v_add_co_ci_u32_e64 v7, null, s17, v7, vcc_lo
	s_lshl_b64 s[6:7], s[24:25], 4
	s_lshl_b64 s[24:25], s[10:11], 4
	;; [unrolled: 1-line block ×5, first 2 shown]
	s_wait_alu 0xfffe
	s_lshl_b64 s[18:19], s[24:25], 2
	s_branch .LBB53_4
.LBB53_2:                               ;   in Loop: Header=BB53_4 Depth=1
	s_wait_alu 0xfffe
	s_or_b32 exec_lo, exec_lo, s23
.LBB53_3:                               ;   in Loop: Header=BB53_4 Depth=1
	s_add_co_i32 s34, s34, 0x10000
	s_wait_alu 0xfffe
	s_cmp_lt_i32 s34, s33
	s_cbranch_scc0 .LBB53_34
.LBB53_4:                               ; =>This Loop Header: Depth=1
                                        ;     Child Loop BB53_7 Depth 2
	v_dual_mov_b32 v23, 0 :: v_dual_mov_b32 v22, 0
	v_dual_mov_b32 v21, 0 :: v_dual_mov_b32 v20, 0
	s_and_not1_b32 vcc_lo, exec_lo, s22
	s_wait_alu 0xfffe
	s_cbranch_vccnz .LBB53_11
; %bb.5:                                ;   in Loop: Header=BB53_4 Depth=1
	v_mad_co_u64_u32 v[8:9], null, s8, s34, v[4:5]
	v_mad_co_u64_u32 v[10:11], null, s16, s34, v[6:7]
	v_dual_mov_b32 v20, 0 :: v_dual_mov_b32 v21, 0
	s_mov_b64 s[20:21], 0
	s_delay_alu instid0(VALU_DEP_2) | instskip(NEXT) | instid1(VALU_DEP_3)
	v_mad_co_u64_u32 v[23:24], null, s9, s34, v[9:10]
	v_mad_co_u64_u32 v[24:25], null, s17, s34, v[11:12]
	s_delay_alu instid0(VALU_DEP_2) | instskip(SKIP_1) | instid1(VALU_DEP_3)
	v_dual_mov_b32 v22, 0 :: v_dual_mov_b32 v9, v23
	v_mov_b32_e32 v23, 0
	v_mov_b32_e32 v11, v24
	s_branch .LBB53_7
.LBB53_6:                               ;   in Loop: Header=BB53_7 Depth=2
	s_wait_alu 0xfffe
	s_or_b32 exec_lo, exec_lo, s23
	s_wait_loadcnt 0x0
	ds_store_b32 v15, v25
	s_wait_dscnt 0x0
	s_barrier_signal -1
	s_barrier_wait -1
	global_inv scope:SCOPE_SE
	ds_load_b128 v[24:27], v17
	ds_load_2addr_b32 v[40:41], v16 offset1:16
	ds_load_b128 v[28:31], v17 offset:512
	ds_load_2addr_b32 v[42:43], v16 offset0:32 offset1:48
	ds_load_2addr_b32 v[44:45], v16 offset0:64 offset1:80
	;; [unrolled: 1-line block ×3, first 2 shown]
	ds_load_b128 v[32:35], v17 offset:16
	ds_load_2addr_b32 v[48:49], v16 offset0:128 offset1:144
	ds_load_b128 v[36:39], v17 offset:528
	ds_load_2addr_b32 v[50:51], v16 offset0:160 offset1:176
	s_add_nc_u64 s[20:21], s[20:21], 8
	v_add_co_u32 v8, vcc_lo, v8, s10
	s_wait_alu 0xfffe
	v_cmp_lt_i64_e64 s23, s[20:21], s[36:37]
	s_wait_alu 0xfffd
	v_add_co_ci_u32_e64 v9, null, s11, v9, vcc_lo
	v_add_co_u32 v10, vcc_lo, v10, 32
	s_wait_alu 0xfffd
	v_add_co_ci_u32_e64 v11, null, 0, v11, vcc_lo
	s_and_b32 vcc_lo, exec_lo, s23
	s_wait_dscnt 0x8
	v_fmac_f32_e32 v22, v41, v24
	v_fmac_f32_e32 v23, v40, v24
	s_wait_dscnt 0x7
	v_fmac_f32_e32 v20, v41, v28
	v_fmac_f32_e32 v21, v40, v28
	ds_load_2addr_b32 v[40:41], v16 offset0:192 offset1:208
	s_wait_dscnt 0x7
	v_fmac_f32_e32 v22, v43, v25
	v_fmac_f32_e32 v23, v42, v25
	;; [unrolled: 1-line block ×4, first 2 shown]
	ds_load_2addr_b32 v[24:25], v16 offset0:224 offset1:240
	s_wait_dscnt 0x7
	v_fmac_f32_e32 v22, v45, v26
	v_fmac_f32_e32 v23, v44, v26
	;; [unrolled: 1-line block ×4, first 2 shown]
	s_wait_loadcnt_dscnt 0x0
	v_fmac_f32_e32 v22, v47, v27
	v_fmac_f32_e32 v23, v46, v27
	;; [unrolled: 1-line block ×4, first 2 shown]
	s_barrier_signal -1
	v_fmac_f32_e32 v22, v49, v32
	v_fmac_f32_e32 v23, v48, v32
	;; [unrolled: 1-line block ×4, first 2 shown]
	s_barrier_wait -1
	v_fmac_f32_e32 v22, v51, v33
	v_fmac_f32_e32 v23, v50, v33
	;; [unrolled: 1-line block ×4, first 2 shown]
	global_inv scope:SCOPE_SE
	v_fmac_f32_e32 v22, v41, v34
	v_fmac_f32_e32 v23, v40, v34
	v_fmac_f32_e32 v20, v41, v38
	s_delay_alu instid0(VALU_DEP_3) | instskip(NEXT) | instid1(VALU_DEP_3)
	v_dual_fmac_f32 v21, v40, v38 :: v_dual_fmac_f32 v22, v25, v35
	v_fmac_f32_e32 v23, v24, v35
	s_delay_alu instid0(VALU_DEP_3) | instskip(NEXT) | instid1(VALU_DEP_3)
	v_fmac_f32_e32 v20, v25, v39
	v_fmac_f32_e32 v21, v24, v39
	s_wait_alu 0xfffe
	s_cbranch_vccz .LBB53_11
.LBB53_7:                               ;   Parent Loop BB53_4 Depth=1
                                        ; =>  This Inner Loop Header: Depth=2
	s_wait_alu 0xfffe
	v_add_co_u32 v24, s23, v12, s20
	s_wait_alu 0xf1ff
	v_add_co_ci_u32_e64 v25, null, 0, s21, s23
	s_delay_alu instid0(VALU_DEP_1)
	v_cmp_gt_i64_e32 vcc_lo, s[36:37], v[24:25]
	v_mov_b32_e32 v24, 0
	s_and_b32 s24, s0, vcc_lo
	s_wait_alu 0xfffe
	s_and_saveexec_b32 s23, s24
	s_cbranch_execz .LBB53_9
; %bb.8:                                ;   in Loop: Header=BB53_7 Depth=2
	global_load_b32 v24, v[10:11], off
.LBB53_9:                               ;   in Loop: Header=BB53_7 Depth=2
	s_wait_alu 0xfffe
	s_or_b32 exec_lo, exec_lo, s23
	v_add_co_u32 v25, s23, v13, s20
	s_wait_alu 0xf1ff
	v_add_co_ci_u32_e64 v26, null, 0, s21, s23
	s_wait_loadcnt 0x0
	ds_store_b32 v14, v24
	v_cmp_gt_i64_e32 vcc_lo, s[36:37], v[25:26]
	v_mov_b32_e32 v25, 0
	s_and_b32 s24, vcc_lo, s1
	s_wait_alu 0xfffe
	s_and_saveexec_b32 s23, s24
	s_cbranch_execz .LBB53_6
; %bb.10:                               ;   in Loop: Header=BB53_7 Depth=2
	global_load_b32 v25, v[8:9], off
	s_branch .LBB53_6
.LBB53_11:                              ;   in Loop: Header=BB53_4 Depth=1
	s_mul_u64 s[20:21], s[26:27], s[34:35]
	s_and_not1_b32 vcc_lo, exec_lo, s42
	s_wait_alu 0xfffe
	s_lshl_b64 s[20:21], s[20:21], 2
	s_wait_alu 0xfffe
	s_add_nc_u64 s[20:21], s[14:15], s[20:21]
	s_cbranch_vccnz .LBB53_16
; %bb.12:                               ;   in Loop: Header=BB53_4 Depth=1
	s_and_saveexec_b32 s23, s2
	s_cbranch_execz .LBB53_23
; %bb.13:                               ;   in Loop: Header=BB53_4 Depth=1
	v_lshlrev_b64_e32 v[8:9], 2, v[0:1]
	s_wait_alu 0xfffe
	s_delay_alu instid0(VALU_DEP_1) | instskip(SKIP_1) | instid1(VALU_DEP_2)
	v_add_co_u32 v8, vcc_lo, s20, v8
	s_wait_alu 0xfffd
	v_add_co_ci_u32_e64 v9, null, s21, v9, vcc_lo
	s_and_saveexec_b32 s24, s3
	s_cbranch_execnz .LBB53_17
; %bb.14:                               ;   in Loop: Header=BB53_4 Depth=1
	s_wait_alu 0xfffe
	s_or_b32 exec_lo, exec_lo, s24
	s_and_saveexec_b32 s24, s4
	s_cbranch_execnz .LBB53_18
.LBB53_15:                              ;   in Loop: Header=BB53_4 Depth=1
	s_wait_alu 0xfffe
	s_or_b32 exec_lo, exec_lo, s24
	s_delay_alu instid0(SALU_CYCLE_1)
	s_and_b32 exec_lo, exec_lo, s5
	s_cbranch_execnz .LBB53_19
	s_branch .LBB53_23
.LBB53_16:                              ;   in Loop: Header=BB53_4 Depth=1
	s_branch .LBB53_24
.LBB53_17:                              ;   in Loop: Header=BB53_4 Depth=1
	v_lshlrev_b64_e32 v[10:11], 2, v[2:3]
	v_mul_f32_e32 v24, s38, v23
	s_delay_alu instid0(VALU_DEP_2) | instskip(SKIP_1) | instid1(VALU_DEP_3)
	v_add_co_u32 v10, vcc_lo, v8, v10
	s_wait_alu 0xfffd
	v_add_co_ci_u32_e64 v11, null, v9, v11, vcc_lo
	global_store_b32 v[10:11], v24, off
	s_wait_alu 0xfffe
	s_or_b32 exec_lo, exec_lo, s24
	s_and_saveexec_b32 s24, s4
	s_cbranch_execz .LBB53_15
.LBB53_18:                              ;   in Loop: Header=BB53_4 Depth=1
	v_lshlrev_b64_e32 v[10:11], 2, v[2:3]
	v_mul_f32_e32 v24, s38, v22
	s_delay_alu instid0(VALU_DEP_2) | instskip(SKIP_1) | instid1(VALU_DEP_3)
	v_add_co_u32 v10, vcc_lo, v8, v10
	s_wait_alu 0xfffd
	v_add_co_ci_u32_e64 v11, null, v9, v11, vcc_lo
	global_store_b32 v[10:11], v24, off offset:64
	s_wait_alu 0xfffe
	s_or_b32 exec_lo, exec_lo, s24
	s_delay_alu instid0(SALU_CYCLE_1)
	s_and_b32 exec_lo, exec_lo, s5
	s_cbranch_execz .LBB53_23
.LBB53_19:                              ;   in Loop: Header=BB53_4 Depth=1
	s_lshl_b64 s[24:25], s[6:7], 2
	v_lshlrev_b64_e32 v[10:11], 2, v[2:3]
	s_wait_alu 0xfffe
	v_add_co_u32 v8, vcc_lo, v8, s24
	s_wait_alu 0xfffd
	v_add_co_ci_u32_e64 v9, null, s25, v9, vcc_lo
	s_delay_alu instid0(VALU_DEP_2) | instskip(SKIP_1) | instid1(VALU_DEP_2)
	v_add_co_u32 v8, vcc_lo, v8, v10
	s_wait_alu 0xfffd
	v_add_co_ci_u32_e64 v9, null, v9, v11, vcc_lo
	s_and_saveexec_b32 s24, s3
	s_cbranch_execz .LBB53_21
; %bb.20:                               ;   in Loop: Header=BB53_4 Depth=1
	v_mul_f32_e32 v10, s38, v21
	global_store_b32 v[8:9], v10, off
.LBB53_21:                              ;   in Loop: Header=BB53_4 Depth=1
	s_wait_alu 0xfffe
	s_or_b32 exec_lo, exec_lo, s24
	s_delay_alu instid0(SALU_CYCLE_1)
	s_and_b32 exec_lo, exec_lo, s4
	s_cbranch_execz .LBB53_23
; %bb.22:                               ;   in Loop: Header=BB53_4 Depth=1
	v_mul_f32_e32 v10, s38, v20
	global_store_b32 v[8:9], v10, off offset:64
.LBB53_23:                              ;   in Loop: Header=BB53_4 Depth=1
	s_wait_alu 0xfffe
	s_or_b32 exec_lo, exec_lo, s23
	s_cbranch_execnz .LBB53_3
.LBB53_24:                              ;   in Loop: Header=BB53_4 Depth=1
	s_and_saveexec_b32 s23, s2
	s_cbranch_execz .LBB53_2
; %bb.25:                               ;   in Loop: Header=BB53_4 Depth=1
	s_mul_u64 s[24:25], s[12:13], s[34:35]
	v_lshlrev_b64_e32 v[24:25], 2, v[0:1]
	s_wait_alu 0xfffe
	s_lshl_b64 s[24:25], s[24:25], 2
	v_lshlrev_b64_e32 v[8:9], 2, v[2:3]
	s_wait_alu 0xfffe
	v_add_co_u32 v10, vcc_lo, v18, s24
	s_wait_alu 0xfffd
	v_add_co_ci_u32_e64 v11, null, s25, v19, vcc_lo
	v_add_co_u32 v24, vcc_lo, s20, v24
	s_wait_alu 0xfffd
	v_add_co_ci_u32_e64 v25, null, s21, v25, vcc_lo
	s_and_saveexec_b32 s20, s3
	s_cbranch_execnz .LBB53_28
; %bb.26:                               ;   in Loop: Header=BB53_4 Depth=1
	s_wait_alu 0xfffe
	s_or_b32 exec_lo, exec_lo, s20
	s_and_saveexec_b32 s20, s4
	s_cbranch_execnz .LBB53_29
.LBB53_27:                              ;   in Loop: Header=BB53_4 Depth=1
	s_wait_alu 0xfffe
	s_or_b32 exec_lo, exec_lo, s20
	s_delay_alu instid0(SALU_CYCLE_1)
	s_and_b32 exec_lo, exec_lo, s5
	s_cbranch_execz .LBB53_2
	s_branch .LBB53_30
.LBB53_28:                              ;   in Loop: Header=BB53_4 Depth=1
	v_add_co_u32 v26, vcc_lo, v10, v8
	s_wait_alu 0xfffd
	v_add_co_ci_u32_e64 v27, null, v11, v9, vcc_lo
	global_load_b32 v26, v[26:27], off
	s_wait_loadcnt 0x0
	v_mul_f32_e32 v28, s39, v26
	v_add_co_u32 v26, vcc_lo, v24, v8
	s_wait_alu 0xfffd
	v_add_co_ci_u32_e64 v27, null, v25, v9, vcc_lo
	s_delay_alu instid0(VALU_DEP_3)
	v_fmac_f32_e32 v28, s38, v23
	global_store_b32 v[26:27], v28, off
	s_wait_alu 0xfffe
	s_or_b32 exec_lo, exec_lo, s20
	s_and_saveexec_b32 s20, s4
	s_cbranch_execz .LBB53_27
.LBB53_29:                              ;   in Loop: Header=BB53_4 Depth=1
	v_add_co_u32 v26, vcc_lo, v10, v8
	s_wait_alu 0xfffd
	v_add_co_ci_u32_e64 v27, null, v11, v9, vcc_lo
	global_load_b32 v23, v[26:27], off offset:64
	s_wait_loadcnt 0x0
	v_mul_f32_e32 v26, s39, v23
	s_delay_alu instid0(VALU_DEP_1)
	v_fmac_f32_e32 v26, s38, v22
	v_add_co_u32 v22, vcc_lo, v24, v8
	s_wait_alu 0xfffd
	v_add_co_ci_u32_e64 v23, null, v25, v9, vcc_lo
	global_store_b32 v[22:23], v26, off offset:64
	s_wait_alu 0xfffe
	s_or_b32 exec_lo, exec_lo, s20
	s_delay_alu instid0(SALU_CYCLE_1)
	s_and_b32 exec_lo, exec_lo, s5
	s_cbranch_execz .LBB53_2
.LBB53_30:                              ;   in Loop: Header=BB53_4 Depth=1
	v_add_co_u32 v10, vcc_lo, v10, s18
	s_lshl_b64 s[20:21], s[6:7], 2
	s_wait_alu 0xfffd
	v_add_co_ci_u32_e64 v11, null, s19, v11, vcc_lo
	s_wait_alu 0xfffe
	v_add_co_u32 v22, vcc_lo, v24, s20
	s_wait_alu 0xfffd
	v_add_co_ci_u32_e64 v23, null, s21, v25, vcc_lo
	v_add_co_u32 v10, vcc_lo, v10, v8
	s_wait_alu 0xfffd
	v_add_co_ci_u32_e64 v11, null, v11, v9, vcc_lo
	;; [unrolled: 3-line block ×3, first 2 shown]
	s_and_saveexec_b32 s20, s3
	s_cbranch_execz .LBB53_32
; %bb.31:                               ;   in Loop: Header=BB53_4 Depth=1
	global_load_b32 v22, v[10:11], off
	s_wait_loadcnt 0x0
	v_mul_f32_e32 v22, s39, v22
	s_delay_alu instid0(VALU_DEP_1)
	v_fmac_f32_e32 v22, s38, v21
	global_store_b32 v[8:9], v22, off
.LBB53_32:                              ;   in Loop: Header=BB53_4 Depth=1
	s_wait_alu 0xfffe
	s_or_b32 exec_lo, exec_lo, s20
	s_delay_alu instid0(SALU_CYCLE_1)
	s_and_b32 exec_lo, exec_lo, s4
	s_cbranch_execz .LBB53_2
; %bb.33:                               ;   in Loop: Header=BB53_4 Depth=1
	global_load_b32 v10, v[10:11], off offset:64
	s_wait_loadcnt 0x0
	v_mul_f32_e32 v10, s39, v10
	s_delay_alu instid0(VALU_DEP_1)
	v_fmac_f32_e32 v10, s38, v20
	global_store_b32 v[8:9], v10, off offset:64
	s_branch .LBB53_2
.LBB53_34:
	s_endpgm
	.section	.rodata,"a",@progbits
	.p2align	6, 0x0
	.amdhsa_kernel _ZN12_GLOBAL__N_135rocblas_gemm_batched_general_kernelIfLi16ELi16ELi32ELi32ELi8ELi32ELi8ELi8ELi32ELc67ELc67EKfS1_fEEvlllT_PT11_llS4_llS2_PT12_llPT13_lli
		.amdhsa_group_segment_fixed_size 2048
		.amdhsa_private_segment_fixed_size 0
		.amdhsa_kernarg_size 140
		.amdhsa_user_sgpr_count 2
		.amdhsa_user_sgpr_dispatch_ptr 0
		.amdhsa_user_sgpr_queue_ptr 0
		.amdhsa_user_sgpr_kernarg_segment_ptr 1
		.amdhsa_user_sgpr_dispatch_id 0
		.amdhsa_user_sgpr_private_segment_size 0
		.amdhsa_wavefront_size32 1
		.amdhsa_uses_dynamic_stack 0
		.amdhsa_enable_private_segment 0
		.amdhsa_system_sgpr_workgroup_id_x 1
		.amdhsa_system_sgpr_workgroup_id_y 1
		.amdhsa_system_sgpr_workgroup_id_z 1
		.amdhsa_system_sgpr_workgroup_info 0
		.amdhsa_system_vgpr_workitem_id 1
		.amdhsa_next_free_vgpr 52
		.amdhsa_next_free_sgpr 44
		.amdhsa_reserve_vcc 1
		.amdhsa_float_round_mode_32 0
		.amdhsa_float_round_mode_16_64 0
		.amdhsa_float_denorm_mode_32 3
		.amdhsa_float_denorm_mode_16_64 3
		.amdhsa_fp16_overflow 0
		.amdhsa_workgroup_processor_mode 1
		.amdhsa_memory_ordered 1
		.amdhsa_forward_progress 1
		.amdhsa_inst_pref_size 18
		.amdhsa_round_robin_scheduling 0
		.amdhsa_exception_fp_ieee_invalid_op 0
		.amdhsa_exception_fp_denorm_src 0
		.amdhsa_exception_fp_ieee_div_zero 0
		.amdhsa_exception_fp_ieee_overflow 0
		.amdhsa_exception_fp_ieee_underflow 0
		.amdhsa_exception_fp_ieee_inexact 0
		.amdhsa_exception_int_div_zero 0
	.end_amdhsa_kernel
	.section	.text._ZN12_GLOBAL__N_135rocblas_gemm_batched_general_kernelIfLi16ELi16ELi32ELi32ELi8ELi32ELi8ELi8ELi32ELc67ELc67EKfS1_fEEvlllT_PT11_llS4_llS2_PT12_llPT13_lli,"axG",@progbits,_ZN12_GLOBAL__N_135rocblas_gemm_batched_general_kernelIfLi16ELi16ELi32ELi32ELi8ELi32ELi8ELi8ELi32ELc67ELc67EKfS1_fEEvlllT_PT11_llS4_llS2_PT12_llPT13_lli,comdat
.Lfunc_end53:
	.size	_ZN12_GLOBAL__N_135rocblas_gemm_batched_general_kernelIfLi16ELi16ELi32ELi32ELi8ELi32ELi8ELi8ELi32ELc67ELc67EKfS1_fEEvlllT_PT11_llS4_llS2_PT12_llPT13_lli, .Lfunc_end53-_ZN12_GLOBAL__N_135rocblas_gemm_batched_general_kernelIfLi16ELi16ELi32ELi32ELi8ELi32ELi8ELi8ELi32ELc67ELc67EKfS1_fEEvlllT_PT11_llS4_llS2_PT12_llPT13_lli
                                        ; -- End function
	.set _ZN12_GLOBAL__N_135rocblas_gemm_batched_general_kernelIfLi16ELi16ELi32ELi32ELi8ELi32ELi8ELi8ELi32ELc67ELc67EKfS1_fEEvlllT_PT11_llS4_llS2_PT12_llPT13_lli.num_vgpr, 52
	.set _ZN12_GLOBAL__N_135rocblas_gemm_batched_general_kernelIfLi16ELi16ELi32ELi32ELi8ELi32ELi8ELi8ELi32ELc67ELc67EKfS1_fEEvlllT_PT11_llS4_llS2_PT12_llPT13_lli.num_agpr, 0
	.set _ZN12_GLOBAL__N_135rocblas_gemm_batched_general_kernelIfLi16ELi16ELi32ELi32ELi8ELi32ELi8ELi8ELi32ELc67ELc67EKfS1_fEEvlllT_PT11_llS4_llS2_PT12_llPT13_lli.numbered_sgpr, 44
	.set _ZN12_GLOBAL__N_135rocblas_gemm_batched_general_kernelIfLi16ELi16ELi32ELi32ELi8ELi32ELi8ELi8ELi32ELc67ELc67EKfS1_fEEvlllT_PT11_llS4_llS2_PT12_llPT13_lli.num_named_barrier, 0
	.set _ZN12_GLOBAL__N_135rocblas_gemm_batched_general_kernelIfLi16ELi16ELi32ELi32ELi8ELi32ELi8ELi8ELi32ELc67ELc67EKfS1_fEEvlllT_PT11_llS4_llS2_PT12_llPT13_lli.private_seg_size, 0
	.set _ZN12_GLOBAL__N_135rocblas_gemm_batched_general_kernelIfLi16ELi16ELi32ELi32ELi8ELi32ELi8ELi8ELi32ELc67ELc67EKfS1_fEEvlllT_PT11_llS4_llS2_PT12_llPT13_lli.uses_vcc, 1
	.set _ZN12_GLOBAL__N_135rocblas_gemm_batched_general_kernelIfLi16ELi16ELi32ELi32ELi8ELi32ELi8ELi8ELi32ELc67ELc67EKfS1_fEEvlllT_PT11_llS4_llS2_PT12_llPT13_lli.uses_flat_scratch, 0
	.set _ZN12_GLOBAL__N_135rocblas_gemm_batched_general_kernelIfLi16ELi16ELi32ELi32ELi8ELi32ELi8ELi8ELi32ELc67ELc67EKfS1_fEEvlllT_PT11_llS4_llS2_PT12_llPT13_lli.has_dyn_sized_stack, 0
	.set _ZN12_GLOBAL__N_135rocblas_gemm_batched_general_kernelIfLi16ELi16ELi32ELi32ELi8ELi32ELi8ELi8ELi32ELc67ELc67EKfS1_fEEvlllT_PT11_llS4_llS2_PT12_llPT13_lli.has_recursion, 0
	.set _ZN12_GLOBAL__N_135rocblas_gemm_batched_general_kernelIfLi16ELi16ELi32ELi32ELi8ELi32ELi8ELi8ELi32ELc67ELc67EKfS1_fEEvlllT_PT11_llS4_llS2_PT12_llPT13_lli.has_indirect_call, 0
	.section	.AMDGPU.csdata,"",@progbits
; Kernel info:
; codeLenInByte = 2216
; TotalNumSgprs: 46
; NumVgprs: 52
; ScratchSize: 0
; MemoryBound: 0
; FloatMode: 240
; IeeeMode: 1
; LDSByteSize: 2048 bytes/workgroup (compile time only)
; SGPRBlocks: 0
; VGPRBlocks: 6
; NumSGPRsForWavesPerEU: 46
; NumVGPRsForWavesPerEU: 52
; Occupancy: 16
; WaveLimiterHint : 0
; COMPUTE_PGM_RSRC2:SCRATCH_EN: 0
; COMPUTE_PGM_RSRC2:USER_SGPR: 2
; COMPUTE_PGM_RSRC2:TRAP_HANDLER: 0
; COMPUTE_PGM_RSRC2:TGID_X_EN: 1
; COMPUTE_PGM_RSRC2:TGID_Y_EN: 1
; COMPUTE_PGM_RSRC2:TGID_Z_EN: 1
; COMPUTE_PGM_RSRC2:TIDIG_COMP_CNT: 1
	.section	.text._ZN12_GLOBAL__N_135rocblas_gemm_batched_general_kernelIfLi16ELi16ELi32ELi32ELi8ELi32ELi8ELi8ELi32ELc67ELc78EKfS1_fEEvlllT_PT11_llS4_llS2_PT12_llPT13_lli,"axG",@progbits,_ZN12_GLOBAL__N_135rocblas_gemm_batched_general_kernelIfLi16ELi16ELi32ELi32ELi8ELi32ELi8ELi8ELi32ELc67ELc78EKfS1_fEEvlllT_PT11_llS4_llS2_PT12_llPT13_lli,comdat
	.globl	_ZN12_GLOBAL__N_135rocblas_gemm_batched_general_kernelIfLi16ELi16ELi32ELi32ELi8ELi32ELi8ELi8ELi32ELc67ELc78EKfS1_fEEvlllT_PT11_llS4_llS2_PT12_llPT13_lli ; -- Begin function _ZN12_GLOBAL__N_135rocblas_gemm_batched_general_kernelIfLi16ELi16ELi32ELi32ELi8ELi32ELi8ELi8ELi32ELc67ELc78EKfS1_fEEvlllT_PT11_llS4_llS2_PT12_llPT13_lli
	.p2align	8
	.type	_ZN12_GLOBAL__N_135rocblas_gemm_batched_general_kernelIfLi16ELi16ELi32ELi32ELi8ELi32ELi8ELi8ELi32ELc67ELc78EKfS1_fEEvlllT_PT11_llS4_llS2_PT12_llPT13_lli,@function
_ZN12_GLOBAL__N_135rocblas_gemm_batched_general_kernelIfLi16ELi16ELi32ELi32ELi8ELi32ELi8ELi8ELi32ELc67ELc78EKfS1_fEEvlllT_PT11_llS4_llS2_PT12_llPT13_lli: ; @_ZN12_GLOBAL__N_135rocblas_gemm_batched_general_kernelIfLi16ELi16ELi32ELi32ELi8ELi32ELi8ELi8ELi32ELc67ELc78EKfS1_fEEvlllT_PT11_llS4_llS2_PT12_llPT13_lli
; %bb.0:
	s_load_b32 s33, s[0:1], 0x88
	s_lshr_b32 s34, ttmp7, 16
	s_wait_kmcnt 0x0
	s_cmp_ge_i32 s34, s33
	s_cbranch_scc1 .LBB54_34
; %bb.1:
	v_bfe_u32 v2, v0, 10, 10
	v_and_b32_e32 v3, 0x3ff, v0
	s_clause 0x6
	s_load_b128 s[28:31], s[0:1], 0x0
	s_load_b96 s[36:38], s[0:1], 0x10
	s_load_b256 s[16:23], s[0:1], 0x20
	s_load_b128 s[4:7], s[0:1], 0x40
	s_load_b32 s39, s[0:1], 0x50
	s_load_b128 s[24:27], s[0:1], 0x78
	s_load_b256 s[8:15], s[0:1], 0x58
	s_mov_b32 s2, ttmp9
	s_ashr_i32 s3, ttmp9, 31
	v_lshl_add_u32 v1, v2, 4, v3
	v_and_b32_e32 v13, 7, v0
	s_lshl_b64 s[42:43], s[2:3], 5
	s_and_b32 s0, ttmp7, 0xffff
	s_delay_alu instid0(VALU_DEP_2)
	v_dual_mov_b32 v5, s43 :: v_dual_and_b32 v6, 31, v1
	v_lshrrev_b32_e32 v0, 3, v1
	s_lshl_b32 s2, s0, 5
	v_lshrrev_b32_e32 v12, 5, v1
	v_lshl_add_u32 v17, v2, 5, 0x400
	v_or_b32_e32 v4, s42, v6
	v_lshlrev_b32_e32 v1, 2, v6
	v_add_co_u32 v6, s0, v0, s2
	s_delay_alu instid0(VALU_DEP_1) | instskip(NEXT) | instid1(VALU_DEP_3)
	v_add_co_ci_u32_e64 v7, null, 0, 0, s0
	v_lshl_or_b32 v14, v12, 7, v1
	s_wait_kmcnt 0x0
	s_delay_alu instid0(VALU_DEP_3) | instskip(NEXT) | instid1(VALU_DEP_3)
	v_mad_co_u64_u32 v[18:19], null, s4, v6, 0
	v_cmp_gt_i64_e64 s1, s[30:31], v[6:7]
	v_add_co_u32 v7, s2, s2, v2
	s_wait_alu 0xf1ff
	v_add_co_ci_u32_e64 v8, null, 0, 0, s2
	v_add_co_u32 v2, s2, s42, v3
	s_delay_alu instid0(VALU_DEP_3)
	v_mad_co_u64_u32 v[9:10], null, v7, s10, 0
	v_lshlrev_b32_e32 v24, 2, v13
	v_lshlrev_b32_e32 v16, 2, v3
	s_wait_alu 0xf1ff
	v_add_co_ci_u32_e64 v3, null, s43, 0, s2
	v_cmp_gt_i64_e64 s0, s[28:29], v[4:5]
	v_lshl_or_b32 v0, v0, 5, v24
	v_mov_b32_e32 v5, v19
	v_add_co_u32 v20, vcc_lo, v2, 16
	s_delay_alu instid0(VALU_DEP_1) | instskip(NEXT) | instid1(VALU_DEP_4)
	v_add_co_ci_u32_e64 v21, null, 0, v3, vcc_lo
	v_add_nc_u32_e32 v15, 0x400, v0
	v_mad_co_u64_u32 v[0:1], null, v7, s24, 0
	v_mad_co_u64_u32 v[5:6], null, s5, v6, v[5:6]
	v_add_co_u32 v6, vcc_lo, v7, 16
	v_cmp_gt_i64_e64 s2, s[30:31], v[7:8]
	v_cmp_gt_i64_e64 s4, s[28:29], v[20:21]
	v_mad_co_u64_u32 v[22:23], null, v7, s25, v[1:2]
	v_mov_b32_e32 v1, v10
	v_mad_co_u64_u32 v[20:21], null, s18, v4, 0
	v_mov_b32_e32 v19, v5
	s_mul_i32 s18, s18, s43
	s_delay_alu instid0(VALU_DEP_3)
	v_mad_co_u64_u32 v[10:11], null, v7, s11, v[1:2]
	s_wait_alu 0xfffd
	v_add_co_ci_u32_e64 v7, null, 0, v8, vcc_lo
	v_mul_lo_u32 v8, s19, v4
	v_mov_b32_e32 v1, v22
	s_cmp_eq_f32 s39, 0
	s_delay_alu instid0(VALU_DEP_3)
	v_cmp_gt_i64_e64 s5, s[30:31], v[6:7]
	v_lshlrev_b64_e32 v[4:5], 2, v[9:10]
	v_lshlrev_b64_e32 v[6:7], 2, v[18:19]
	v_cmp_gt_i64_e64 s3, s[28:29], v[2:3]
	s_cselect_b32 s40, -1, 0
	s_wait_alu 0xfffe
	v_add3_u32 v21, v21, s18, v8
	v_lshlrev_b32_e32 v8, 2, v12
	v_add_co_u32 v18, vcc_lo, s8, v4
	s_wait_alu 0xfffd
	v_add_co_ci_u32_e64 v19, null, s9, v5, vcc_lo
	v_lshlrev_b64_e32 v[4:5], 2, v[20:21]
	v_add_co_u32 v6, vcc_lo, v6, v24
	s_wait_alu 0xfffd
	v_add_co_ci_u32_e64 v7, null, 0, v7, vcc_lo
	v_cmp_gt_i64_e64 s18, s[36:37], 0
	s_delay_alu instid0(VALU_DEP_4)
	v_add_co_u32 v8, vcc_lo, v4, v8
	s_wait_alu 0xfffd
	v_add_co_ci_u32_e64 v9, null, 0, v5, vcc_lo
	v_add_co_u32 v4, vcc_lo, s22, v6
	s_wait_alu 0xfffd
	v_add_co_ci_u32_e64 v5, null, s23, v7, vcc_lo
	;; [unrolled: 3-line block ×3, first 2 shown]
	s_lshl_b64 s[10:11], s[10:11], 4
	s_mov_b32 s35, 0
	s_lshl_b64 s[24:25], s[24:25], 4
	s_lshl_b64 s[6:7], s[6:7], 2
	;; [unrolled: 1-line block ×3, first 2 shown]
	s_wait_alu 0xfffe
	s_lshl_b64 s[10:11], s[10:11], 2
	s_branch .LBB54_4
.LBB54_2:                               ;   in Loop: Header=BB54_4 Depth=1
	s_wait_alu 0xfffe
	s_or_b32 exec_lo, exec_lo, s19
.LBB54_3:                               ;   in Loop: Header=BB54_4 Depth=1
	s_add_co_i32 s34, s34, 0x10000
	s_wait_alu 0xfffe
	s_cmp_lt_i32 s34, s33
	s_cbranch_scc0 .LBB54_34
.LBB54_4:                               ; =>This Loop Header: Depth=1
                                        ;     Child Loop BB54_7 Depth 2
	v_dual_mov_b32 v23, 0 :: v_dual_mov_b32 v22, 0
	v_dual_mov_b32 v21, 0 :: v_dual_mov_b32 v20, 0
	s_and_not1_b32 vcc_lo, exec_lo, s18
	s_wait_alu 0xfffe
	s_cbranch_vccnz .LBB54_11
; %bb.5:                                ;   in Loop: Header=BB54_4 Depth=1
	v_mad_co_u64_u32 v[8:9], null, s6, s34, v[4:5]
	v_mad_co_u64_u32 v[10:11], null, s8, s34, v[6:7]
	v_dual_mov_b32 v20, 0 :: v_dual_mov_b32 v21, 0
	s_mov_b64 s[16:17], 0
	s_delay_alu instid0(VALU_DEP_2) | instskip(NEXT) | instid1(VALU_DEP_3)
	v_mad_co_u64_u32 v[23:24], null, s7, s34, v[9:10]
	v_mad_co_u64_u32 v[24:25], null, s9, s34, v[11:12]
	s_delay_alu instid0(VALU_DEP_2) | instskip(SKIP_1) | instid1(VALU_DEP_3)
	v_dual_mov_b32 v22, 0 :: v_dual_mov_b32 v9, v23
	v_mov_b32_e32 v23, 0
	v_mov_b32_e32 v11, v24
	s_branch .LBB54_7
.LBB54_6:                               ;   in Loop: Header=BB54_7 Depth=2
	s_wait_alu 0xfffe
	s_or_b32 exec_lo, exec_lo, s19
	s_wait_loadcnt 0x0
	ds_store_b32 v15, v25
	s_wait_dscnt 0x0
	s_barrier_signal -1
	s_barrier_wait -1
	global_inv scope:SCOPE_SE
	ds_load_b128 v[24:27], v17
	ds_load_2addr_b32 v[40:41], v16 offset1:16
	ds_load_b128 v[28:31], v17 offset:512
	ds_load_2addr_b32 v[42:43], v16 offset0:32 offset1:48
	ds_load_2addr_b32 v[44:45], v16 offset0:64 offset1:80
	ds_load_2addr_b32 v[46:47], v16 offset0:96 offset1:112
	ds_load_b128 v[32:35], v17 offset:16
	ds_load_2addr_b32 v[48:49], v16 offset0:128 offset1:144
	ds_load_b128 v[36:39], v17 offset:528
	ds_load_2addr_b32 v[50:51], v16 offset0:160 offset1:176
	s_add_nc_u64 s[16:17], s[16:17], 8
	v_add_co_u32 v8, vcc_lo, v8, 32
	s_wait_alu 0xfffe
	v_cmp_lt_i64_e64 s19, s[16:17], s[36:37]
	s_wait_alu 0xfffd
	v_add_co_ci_u32_e64 v9, null, 0, v9, vcc_lo
	v_add_co_u32 v10, vcc_lo, v10, 32
	s_wait_alu 0xfffd
	v_add_co_ci_u32_e64 v11, null, 0, v11, vcc_lo
	s_and_b32 vcc_lo, exec_lo, s19
	s_wait_dscnt 0x8
	v_fmac_f32_e32 v22, v41, v24
	v_fmac_f32_e32 v23, v40, v24
	s_wait_dscnt 0x7
	v_fmac_f32_e32 v20, v41, v28
	v_fmac_f32_e32 v21, v40, v28
	ds_load_2addr_b32 v[40:41], v16 offset0:192 offset1:208
	s_wait_dscnt 0x7
	v_fmac_f32_e32 v22, v43, v25
	v_fmac_f32_e32 v23, v42, v25
	;; [unrolled: 1-line block ×4, first 2 shown]
	ds_load_2addr_b32 v[24:25], v16 offset0:224 offset1:240
	s_wait_dscnt 0x7
	v_fmac_f32_e32 v22, v45, v26
	v_fmac_f32_e32 v23, v44, v26
	;; [unrolled: 1-line block ×4, first 2 shown]
	s_wait_loadcnt_dscnt 0x0
	v_fmac_f32_e32 v22, v47, v27
	v_fmac_f32_e32 v23, v46, v27
	;; [unrolled: 1-line block ×4, first 2 shown]
	s_barrier_signal -1
	v_fmac_f32_e32 v22, v49, v32
	v_fmac_f32_e32 v23, v48, v32
	;; [unrolled: 1-line block ×4, first 2 shown]
	s_barrier_wait -1
	v_fmac_f32_e32 v22, v51, v33
	v_fmac_f32_e32 v23, v50, v33
	;; [unrolled: 1-line block ×4, first 2 shown]
	global_inv scope:SCOPE_SE
	v_fmac_f32_e32 v22, v41, v34
	v_fmac_f32_e32 v23, v40, v34
	;; [unrolled: 1-line block ×3, first 2 shown]
	s_delay_alu instid0(VALU_DEP_3) | instskip(NEXT) | instid1(VALU_DEP_3)
	v_dual_fmac_f32 v21, v40, v38 :: v_dual_fmac_f32 v22, v25, v35
	v_fmac_f32_e32 v23, v24, v35
	s_delay_alu instid0(VALU_DEP_3) | instskip(NEXT) | instid1(VALU_DEP_3)
	v_fmac_f32_e32 v20, v25, v39
	v_fmac_f32_e32 v21, v24, v39
	s_wait_alu 0xfffe
	s_cbranch_vccz .LBB54_11
.LBB54_7:                               ;   Parent Loop BB54_4 Depth=1
                                        ; =>  This Inner Loop Header: Depth=2
	s_wait_alu 0xfffe
	v_add_co_u32 v24, s19, v12, s16
	s_wait_alu 0xf1ff
	v_add_co_ci_u32_e64 v25, null, 0, s17, s19
	s_delay_alu instid0(VALU_DEP_1)
	v_cmp_gt_i64_e32 vcc_lo, s[36:37], v[24:25]
	v_mov_b32_e32 v24, 0
	s_and_b32 s20, s0, vcc_lo
	s_wait_alu 0xfffe
	s_and_saveexec_b32 s19, s20
	s_cbranch_execz .LBB54_9
; %bb.8:                                ;   in Loop: Header=BB54_7 Depth=2
	global_load_b32 v24, v[10:11], off
.LBB54_9:                               ;   in Loop: Header=BB54_7 Depth=2
	s_wait_alu 0xfffe
	s_or_b32 exec_lo, exec_lo, s19
	v_add_co_u32 v25, s19, v13, s16
	s_wait_alu 0xf1ff
	v_add_co_ci_u32_e64 v26, null, 0, s17, s19
	s_wait_loadcnt 0x0
	ds_store_b32 v14, v24
	v_cmp_gt_i64_e32 vcc_lo, s[36:37], v[25:26]
	v_mov_b32_e32 v25, 0
	s_and_b32 s20, vcc_lo, s1
	s_wait_alu 0xfffe
	s_and_saveexec_b32 s19, s20
	s_cbranch_execz .LBB54_6
; %bb.10:                               ;   in Loop: Header=BB54_7 Depth=2
	global_load_b32 v25, v[8:9], off
	s_branch .LBB54_6
.LBB54_11:                              ;   in Loop: Header=BB54_4 Depth=1
	s_mul_u64 s[16:17], s[26:27], s[34:35]
	s_and_not1_b32 vcc_lo, exec_lo, s40
	s_wait_alu 0xfffe
	s_lshl_b64 s[16:17], s[16:17], 2
	s_wait_alu 0xfffe
	s_add_nc_u64 s[16:17], s[14:15], s[16:17]
	s_cbranch_vccnz .LBB54_16
; %bb.12:                               ;   in Loop: Header=BB54_4 Depth=1
	s_and_saveexec_b32 s19, s2
	s_cbranch_execz .LBB54_23
; %bb.13:                               ;   in Loop: Header=BB54_4 Depth=1
	v_lshlrev_b64_e32 v[8:9], 2, v[0:1]
	s_wait_alu 0xfffe
	s_delay_alu instid0(VALU_DEP_1) | instskip(SKIP_1) | instid1(VALU_DEP_2)
	v_add_co_u32 v8, vcc_lo, s16, v8
	s_wait_alu 0xfffd
	v_add_co_ci_u32_e64 v9, null, s17, v9, vcc_lo
	s_and_saveexec_b32 s20, s3
	s_cbranch_execnz .LBB54_17
; %bb.14:                               ;   in Loop: Header=BB54_4 Depth=1
	s_wait_alu 0xfffe
	s_or_b32 exec_lo, exec_lo, s20
	s_and_saveexec_b32 s20, s4
	s_cbranch_execnz .LBB54_18
.LBB54_15:                              ;   in Loop: Header=BB54_4 Depth=1
	s_wait_alu 0xfffe
	s_or_b32 exec_lo, exec_lo, s20
	s_delay_alu instid0(SALU_CYCLE_1)
	s_and_b32 exec_lo, exec_lo, s5
	s_cbranch_execnz .LBB54_19
	s_branch .LBB54_23
.LBB54_16:                              ;   in Loop: Header=BB54_4 Depth=1
	s_branch .LBB54_24
.LBB54_17:                              ;   in Loop: Header=BB54_4 Depth=1
	v_lshlrev_b64_e32 v[10:11], 2, v[2:3]
	v_mul_f32_e32 v24, s38, v23
	s_delay_alu instid0(VALU_DEP_2) | instskip(SKIP_1) | instid1(VALU_DEP_3)
	v_add_co_u32 v10, vcc_lo, v8, v10
	s_wait_alu 0xfffd
	v_add_co_ci_u32_e64 v11, null, v9, v11, vcc_lo
	global_store_b32 v[10:11], v24, off
	s_wait_alu 0xfffe
	s_or_b32 exec_lo, exec_lo, s20
	s_and_saveexec_b32 s20, s4
	s_cbranch_execz .LBB54_15
.LBB54_18:                              ;   in Loop: Header=BB54_4 Depth=1
	v_lshlrev_b64_e32 v[10:11], 2, v[2:3]
	v_mul_f32_e32 v24, s38, v22
	s_delay_alu instid0(VALU_DEP_2) | instskip(SKIP_1) | instid1(VALU_DEP_3)
	v_add_co_u32 v10, vcc_lo, v8, v10
	s_wait_alu 0xfffd
	v_add_co_ci_u32_e64 v11, null, v9, v11, vcc_lo
	global_store_b32 v[10:11], v24, off offset:64
	s_wait_alu 0xfffe
	s_or_b32 exec_lo, exec_lo, s20
	s_delay_alu instid0(SALU_CYCLE_1)
	s_and_b32 exec_lo, exec_lo, s5
	s_cbranch_execz .LBB54_23
.LBB54_19:                              ;   in Loop: Header=BB54_4 Depth=1
	s_lshl_b64 s[20:21], s[24:25], 2
	v_lshlrev_b64_e32 v[10:11], 2, v[2:3]
	s_wait_alu 0xfffe
	v_add_co_u32 v8, vcc_lo, v8, s20
	s_wait_alu 0xfffd
	v_add_co_ci_u32_e64 v9, null, s21, v9, vcc_lo
	s_delay_alu instid0(VALU_DEP_2) | instskip(SKIP_1) | instid1(VALU_DEP_2)
	v_add_co_u32 v8, vcc_lo, v8, v10
	s_wait_alu 0xfffd
	v_add_co_ci_u32_e64 v9, null, v9, v11, vcc_lo
	s_and_saveexec_b32 s20, s3
	s_cbranch_execz .LBB54_21
; %bb.20:                               ;   in Loop: Header=BB54_4 Depth=1
	v_mul_f32_e32 v10, s38, v21
	global_store_b32 v[8:9], v10, off
.LBB54_21:                              ;   in Loop: Header=BB54_4 Depth=1
	s_wait_alu 0xfffe
	s_or_b32 exec_lo, exec_lo, s20
	s_delay_alu instid0(SALU_CYCLE_1)
	s_and_b32 exec_lo, exec_lo, s4
	s_cbranch_execz .LBB54_23
; %bb.22:                               ;   in Loop: Header=BB54_4 Depth=1
	v_mul_f32_e32 v10, s38, v20
	global_store_b32 v[8:9], v10, off offset:64
.LBB54_23:                              ;   in Loop: Header=BB54_4 Depth=1
	s_wait_alu 0xfffe
	s_or_b32 exec_lo, exec_lo, s19
	s_cbranch_execnz .LBB54_3
.LBB54_24:                              ;   in Loop: Header=BB54_4 Depth=1
	s_and_saveexec_b32 s19, s2
	s_cbranch_execz .LBB54_2
; %bb.25:                               ;   in Loop: Header=BB54_4 Depth=1
	s_mul_u64 s[20:21], s[12:13], s[34:35]
	v_lshlrev_b64_e32 v[24:25], 2, v[0:1]
	s_wait_alu 0xfffe
	s_lshl_b64 s[20:21], s[20:21], 2
	v_lshlrev_b64_e32 v[8:9], 2, v[2:3]
	s_wait_alu 0xfffe
	v_add_co_u32 v10, vcc_lo, v18, s20
	s_wait_alu 0xfffd
	v_add_co_ci_u32_e64 v11, null, s21, v19, vcc_lo
	v_add_co_u32 v24, vcc_lo, s16, v24
	s_wait_alu 0xfffd
	v_add_co_ci_u32_e64 v25, null, s17, v25, vcc_lo
	s_and_saveexec_b32 s16, s3
	s_cbranch_execnz .LBB54_28
; %bb.26:                               ;   in Loop: Header=BB54_4 Depth=1
	s_wait_alu 0xfffe
	s_or_b32 exec_lo, exec_lo, s16
	s_and_saveexec_b32 s16, s4
	s_cbranch_execnz .LBB54_29
.LBB54_27:                              ;   in Loop: Header=BB54_4 Depth=1
	s_wait_alu 0xfffe
	s_or_b32 exec_lo, exec_lo, s16
	s_delay_alu instid0(SALU_CYCLE_1)
	s_and_b32 exec_lo, exec_lo, s5
	s_cbranch_execz .LBB54_2
	s_branch .LBB54_30
.LBB54_28:                              ;   in Loop: Header=BB54_4 Depth=1
	v_add_co_u32 v26, vcc_lo, v10, v8
	s_wait_alu 0xfffd
	v_add_co_ci_u32_e64 v27, null, v11, v9, vcc_lo
	global_load_b32 v26, v[26:27], off
	s_wait_loadcnt 0x0
	v_mul_f32_e32 v28, s39, v26
	v_add_co_u32 v26, vcc_lo, v24, v8
	s_wait_alu 0xfffd
	v_add_co_ci_u32_e64 v27, null, v25, v9, vcc_lo
	s_delay_alu instid0(VALU_DEP_3)
	v_fmac_f32_e32 v28, s38, v23
	global_store_b32 v[26:27], v28, off
	s_wait_alu 0xfffe
	s_or_b32 exec_lo, exec_lo, s16
	s_and_saveexec_b32 s16, s4
	s_cbranch_execz .LBB54_27
.LBB54_29:                              ;   in Loop: Header=BB54_4 Depth=1
	v_add_co_u32 v26, vcc_lo, v10, v8
	s_wait_alu 0xfffd
	v_add_co_ci_u32_e64 v27, null, v11, v9, vcc_lo
	global_load_b32 v23, v[26:27], off offset:64
	s_wait_loadcnt 0x0
	v_mul_f32_e32 v26, s39, v23
	s_delay_alu instid0(VALU_DEP_1)
	v_fmac_f32_e32 v26, s38, v22
	v_add_co_u32 v22, vcc_lo, v24, v8
	s_wait_alu 0xfffd
	v_add_co_ci_u32_e64 v23, null, v25, v9, vcc_lo
	global_store_b32 v[22:23], v26, off offset:64
	s_wait_alu 0xfffe
	s_or_b32 exec_lo, exec_lo, s16
	s_delay_alu instid0(SALU_CYCLE_1)
	s_and_b32 exec_lo, exec_lo, s5
	s_cbranch_execz .LBB54_2
.LBB54_30:                              ;   in Loop: Header=BB54_4 Depth=1
	v_add_co_u32 v10, vcc_lo, v10, s10
	s_lshl_b64 s[16:17], s[24:25], 2
	s_wait_alu 0xfffd
	v_add_co_ci_u32_e64 v11, null, s11, v11, vcc_lo
	s_wait_alu 0xfffe
	v_add_co_u32 v22, vcc_lo, v24, s16
	s_wait_alu 0xfffd
	v_add_co_ci_u32_e64 v23, null, s17, v25, vcc_lo
	v_add_co_u32 v10, vcc_lo, v10, v8
	s_wait_alu 0xfffd
	v_add_co_ci_u32_e64 v11, null, v11, v9, vcc_lo
	;; [unrolled: 3-line block ×3, first 2 shown]
	s_and_saveexec_b32 s16, s3
	s_cbranch_execz .LBB54_32
; %bb.31:                               ;   in Loop: Header=BB54_4 Depth=1
	global_load_b32 v22, v[10:11], off
	s_wait_loadcnt 0x0
	v_mul_f32_e32 v22, s39, v22
	s_delay_alu instid0(VALU_DEP_1)
	v_fmac_f32_e32 v22, s38, v21
	global_store_b32 v[8:9], v22, off
.LBB54_32:                              ;   in Loop: Header=BB54_4 Depth=1
	s_wait_alu 0xfffe
	s_or_b32 exec_lo, exec_lo, s16
	s_delay_alu instid0(SALU_CYCLE_1)
	s_and_b32 exec_lo, exec_lo, s4
	s_cbranch_execz .LBB54_2
; %bb.33:                               ;   in Loop: Header=BB54_4 Depth=1
	global_load_b32 v10, v[10:11], off offset:64
	s_wait_loadcnt 0x0
	v_mul_f32_e32 v10, s39, v10
	s_delay_alu instid0(VALU_DEP_1)
	v_fmac_f32_e32 v10, s38, v20
	global_store_b32 v[8:9], v10, off offset:64
	s_branch .LBB54_2
.LBB54_34:
	s_endpgm
	.section	.rodata,"a",@progbits
	.p2align	6, 0x0
	.amdhsa_kernel _ZN12_GLOBAL__N_135rocblas_gemm_batched_general_kernelIfLi16ELi16ELi32ELi32ELi8ELi32ELi8ELi8ELi32ELc67ELc78EKfS1_fEEvlllT_PT11_llS4_llS2_PT12_llPT13_lli
		.amdhsa_group_segment_fixed_size 2048
		.amdhsa_private_segment_fixed_size 0
		.amdhsa_kernarg_size 140
		.amdhsa_user_sgpr_count 2
		.amdhsa_user_sgpr_dispatch_ptr 0
		.amdhsa_user_sgpr_queue_ptr 0
		.amdhsa_user_sgpr_kernarg_segment_ptr 1
		.amdhsa_user_sgpr_dispatch_id 0
		.amdhsa_user_sgpr_private_segment_size 0
		.amdhsa_wavefront_size32 1
		.amdhsa_uses_dynamic_stack 0
		.amdhsa_enable_private_segment 0
		.amdhsa_system_sgpr_workgroup_id_x 1
		.amdhsa_system_sgpr_workgroup_id_y 1
		.amdhsa_system_sgpr_workgroup_id_z 1
		.amdhsa_system_sgpr_workgroup_info 0
		.amdhsa_system_vgpr_workitem_id 1
		.amdhsa_next_free_vgpr 52
		.amdhsa_next_free_sgpr 44
		.amdhsa_reserve_vcc 1
		.amdhsa_float_round_mode_32 0
		.amdhsa_float_round_mode_16_64 0
		.amdhsa_float_denorm_mode_32 3
		.amdhsa_float_denorm_mode_16_64 3
		.amdhsa_fp16_overflow 0
		.amdhsa_workgroup_processor_mode 1
		.amdhsa_memory_ordered 1
		.amdhsa_forward_progress 1
		.amdhsa_inst_pref_size 18
		.amdhsa_round_robin_scheduling 0
		.amdhsa_exception_fp_ieee_invalid_op 0
		.amdhsa_exception_fp_denorm_src 0
		.amdhsa_exception_fp_ieee_div_zero 0
		.amdhsa_exception_fp_ieee_overflow 0
		.amdhsa_exception_fp_ieee_underflow 0
		.amdhsa_exception_fp_ieee_inexact 0
		.amdhsa_exception_int_div_zero 0
	.end_amdhsa_kernel
	.section	.text._ZN12_GLOBAL__N_135rocblas_gemm_batched_general_kernelIfLi16ELi16ELi32ELi32ELi8ELi32ELi8ELi8ELi32ELc67ELc78EKfS1_fEEvlllT_PT11_llS4_llS2_PT12_llPT13_lli,"axG",@progbits,_ZN12_GLOBAL__N_135rocblas_gemm_batched_general_kernelIfLi16ELi16ELi32ELi32ELi8ELi32ELi8ELi8ELi32ELc67ELc78EKfS1_fEEvlllT_PT11_llS4_llS2_PT12_llPT13_lli,comdat
.Lfunc_end54:
	.size	_ZN12_GLOBAL__N_135rocblas_gemm_batched_general_kernelIfLi16ELi16ELi32ELi32ELi8ELi32ELi8ELi8ELi32ELc67ELc78EKfS1_fEEvlllT_PT11_llS4_llS2_PT12_llPT13_lli, .Lfunc_end54-_ZN12_GLOBAL__N_135rocblas_gemm_batched_general_kernelIfLi16ELi16ELi32ELi32ELi8ELi32ELi8ELi8ELi32ELc67ELc78EKfS1_fEEvlllT_PT11_llS4_llS2_PT12_llPT13_lli
                                        ; -- End function
	.set _ZN12_GLOBAL__N_135rocblas_gemm_batched_general_kernelIfLi16ELi16ELi32ELi32ELi8ELi32ELi8ELi8ELi32ELc67ELc78EKfS1_fEEvlllT_PT11_llS4_llS2_PT12_llPT13_lli.num_vgpr, 52
	.set _ZN12_GLOBAL__N_135rocblas_gemm_batched_general_kernelIfLi16ELi16ELi32ELi32ELi8ELi32ELi8ELi8ELi32ELc67ELc78EKfS1_fEEvlllT_PT11_llS4_llS2_PT12_llPT13_lli.num_agpr, 0
	.set _ZN12_GLOBAL__N_135rocblas_gemm_batched_general_kernelIfLi16ELi16ELi32ELi32ELi8ELi32ELi8ELi8ELi32ELc67ELc78EKfS1_fEEvlllT_PT11_llS4_llS2_PT12_llPT13_lli.numbered_sgpr, 44
	.set _ZN12_GLOBAL__N_135rocblas_gemm_batched_general_kernelIfLi16ELi16ELi32ELi32ELi8ELi32ELi8ELi8ELi32ELc67ELc78EKfS1_fEEvlllT_PT11_llS4_llS2_PT12_llPT13_lli.num_named_barrier, 0
	.set _ZN12_GLOBAL__N_135rocblas_gemm_batched_general_kernelIfLi16ELi16ELi32ELi32ELi8ELi32ELi8ELi8ELi32ELc67ELc78EKfS1_fEEvlllT_PT11_llS4_llS2_PT12_llPT13_lli.private_seg_size, 0
	.set _ZN12_GLOBAL__N_135rocblas_gemm_batched_general_kernelIfLi16ELi16ELi32ELi32ELi8ELi32ELi8ELi8ELi32ELc67ELc78EKfS1_fEEvlllT_PT11_llS4_llS2_PT12_llPT13_lli.uses_vcc, 1
	.set _ZN12_GLOBAL__N_135rocblas_gemm_batched_general_kernelIfLi16ELi16ELi32ELi32ELi8ELi32ELi8ELi8ELi32ELc67ELc78EKfS1_fEEvlllT_PT11_llS4_llS2_PT12_llPT13_lli.uses_flat_scratch, 0
	.set _ZN12_GLOBAL__N_135rocblas_gemm_batched_general_kernelIfLi16ELi16ELi32ELi32ELi8ELi32ELi8ELi8ELi32ELc67ELc78EKfS1_fEEvlllT_PT11_llS4_llS2_PT12_llPT13_lli.has_dyn_sized_stack, 0
	.set _ZN12_GLOBAL__N_135rocblas_gemm_batched_general_kernelIfLi16ELi16ELi32ELi32ELi8ELi32ELi8ELi8ELi32ELc67ELc78EKfS1_fEEvlllT_PT11_llS4_llS2_PT12_llPT13_lli.has_recursion, 0
	.set _ZN12_GLOBAL__N_135rocblas_gemm_batched_general_kernelIfLi16ELi16ELi32ELi32ELi8ELi32ELi8ELi8ELi32ELc67ELc78EKfS1_fEEvlllT_PT11_llS4_llS2_PT12_llPT13_lli.has_indirect_call, 0
	.section	.AMDGPU.csdata,"",@progbits
; Kernel info:
; codeLenInByte = 2188
; TotalNumSgprs: 46
; NumVgprs: 52
; ScratchSize: 0
; MemoryBound: 0
; FloatMode: 240
; IeeeMode: 1
; LDSByteSize: 2048 bytes/workgroup (compile time only)
; SGPRBlocks: 0
; VGPRBlocks: 6
; NumSGPRsForWavesPerEU: 46
; NumVGPRsForWavesPerEU: 52
; Occupancy: 16
; WaveLimiterHint : 0
; COMPUTE_PGM_RSRC2:SCRATCH_EN: 0
; COMPUTE_PGM_RSRC2:USER_SGPR: 2
; COMPUTE_PGM_RSRC2:TRAP_HANDLER: 0
; COMPUTE_PGM_RSRC2:TGID_X_EN: 1
; COMPUTE_PGM_RSRC2:TGID_Y_EN: 1
; COMPUTE_PGM_RSRC2:TGID_Z_EN: 1
; COMPUTE_PGM_RSRC2:TIDIG_COMP_CNT: 1
	.section	.text._ZN12_GLOBAL__N_135rocblas_gemm_batched_general_kernelIfLi16ELi16ELi32ELi32ELi8ELi32ELi8ELi8ELi32ELc67ELc84EKfS1_fEEvlllT_PT11_llS4_llS2_PT12_llPT13_lli,"axG",@progbits,_ZN12_GLOBAL__N_135rocblas_gemm_batched_general_kernelIfLi16ELi16ELi32ELi32ELi8ELi32ELi8ELi8ELi32ELc67ELc84EKfS1_fEEvlllT_PT11_llS4_llS2_PT12_llPT13_lli,comdat
	.globl	_ZN12_GLOBAL__N_135rocblas_gemm_batched_general_kernelIfLi16ELi16ELi32ELi32ELi8ELi32ELi8ELi8ELi32ELc67ELc84EKfS1_fEEvlllT_PT11_llS4_llS2_PT12_llPT13_lli ; -- Begin function _ZN12_GLOBAL__N_135rocblas_gemm_batched_general_kernelIfLi16ELi16ELi32ELi32ELi8ELi32ELi8ELi8ELi32ELc67ELc84EKfS1_fEEvlllT_PT11_llS4_llS2_PT12_llPT13_lli
	.p2align	8
	.type	_ZN12_GLOBAL__N_135rocblas_gemm_batched_general_kernelIfLi16ELi16ELi32ELi32ELi8ELi32ELi8ELi8ELi32ELc67ELc84EKfS1_fEEvlllT_PT11_llS4_llS2_PT12_llPT13_lli,@function
_ZN12_GLOBAL__N_135rocblas_gemm_batched_general_kernelIfLi16ELi16ELi32ELi32ELi8ELi32ELi8ELi8ELi32ELc67ELc84EKfS1_fEEvlllT_PT11_llS4_llS2_PT12_llPT13_lli: ; @_ZN12_GLOBAL__N_135rocblas_gemm_batched_general_kernelIfLi16ELi16ELi32ELi32ELi8ELi32ELi8ELi8ELi32ELc67ELc84EKfS1_fEEvlllT_PT11_llS4_llS2_PT12_llPT13_lli
; %bb.0:
	s_load_b32 s33, s[0:1], 0x88
	s_lshr_b32 s34, ttmp7, 16
	s_wait_kmcnt 0x0
	s_cmp_ge_i32 s34, s33
	s_cbranch_scc1 .LBB55_34
; %bb.1:
	v_bfe_u32 v2, v0, 10, 10
	v_and_b32_e32 v3, 0x3ff, v0
	s_clause 0x6
	s_load_b128 s[4:7], s[0:1], 0x0
	s_load_b96 s[36:38], s[0:1], 0x10
	s_load_b256 s[16:23], s[0:1], 0x20
	s_load_b128 s[28:31], s[0:1], 0x40
	s_load_b32 s39, s[0:1], 0x50
	s_load_b128 s[24:27], s[0:1], 0x78
	s_load_b256 s[8:15], s[0:1], 0x58
	s_mov_b32 s2, ttmp9
	s_ashr_i32 s3, ttmp9, 31
	v_lshl_add_u32 v1, v2, 4, v3
	v_and_b32_e32 v13, 7, v0
	s_lshl_b64 s[40:41], s[2:3], 5
	s_and_b32 s43, ttmp7, 0xffff
	s_delay_alu instid0(VALU_DEP_2)
	v_dual_mov_b32 v5, s41 :: v_dual_and_b32 v6, 31, v1
	v_lshrrev_b32_e32 v23, 3, v1
	v_lshlrev_b32_e32 v7, 2, v13
	s_lshl_b32 s2, s43, 5
	v_lshrrev_b32_e32 v12, 5, v1
	v_or_b32_e32 v4, s40, v6
	v_add_co_u32 v0, s0, v23, s2
	s_delay_alu instid0(VALU_DEP_1)
	v_add_co_ci_u32_e64 v1, null, 0, 0, s0
	v_lshl_or_b32 v7, v23, 5, v7
	s_wait_kmcnt 0x0
	v_cmp_gt_i64_e64 s0, s[4:5], v[4:5]
	v_add_co_u32 v5, s2, s2, v2
	v_mad_co_u64_u32 v[9:10], null, s28, v13, 0
	v_add_nc_u32_e32 v15, 0x400, v7
	s_delay_alu instid0(VALU_DEP_3)
	v_mad_co_u64_u32 v[7:8], null, v5, s10, 0
	v_cmp_gt_i64_e64 s1, s[6:7], v[0:1]
	v_mad_co_u64_u32 v[0:1], null, v5, s24, 0
	v_lshl_add_u32 v17, v2, 5, 0x400
	v_lshlrev_b32_e32 v6, 2, v6
	s_cmp_eq_f32 s39, 0
	v_mad_co_u64_u32 v[20:21], null, v5, s11, v[8:9]
	s_mov_b32 s35, 0
	s_cselect_b32 s42, -1, 0
	v_mov_b32_e32 v8, v20
	v_add_co_u32 v2, s3, s40, v3
	s_delay_alu instid0(VALU_DEP_2) | instskip(NEXT) | instid1(VALU_DEP_2)
	v_lshlrev_b64_e32 v[7:8], 2, v[7:8]
	v_mad_co_u64_u32 v[21:22], null, v5, s25, v[1:2]
	v_mov_b32_e32 v1, v10
	v_lshl_or_b32 v14, v12, 7, v6
	v_lshlrev_b32_e32 v16, 2, v3
	s_wait_alu 0xf1ff
	v_add_co_ci_u32_e64 v6, null, 0, 0, s2
	v_add_co_ci_u32_e64 v3, null, s41, 0, s3
	v_add_co_u32 v18, vcc_lo, v2, 16
	v_mad_co_u64_u32 v[10:11], null, s29, v13, v[1:2]
	s_delay_alu instid0(VALU_DEP_4) | instskip(NEXT) | instid1(VALU_DEP_4)
	v_cmp_gt_i64_e64 s2, s[6:7], v[5:6]
	v_add_co_ci_u32_e64 v19, null, 0, v3, vcc_lo
	v_add_co_u32 v5, vcc_lo, v5, 16
	s_wait_alu 0xfffd
	v_add_co_ci_u32_e64 v6, null, 0, v6, vcc_lo
	v_cmp_gt_i64_e64 s3, s[4:5], v[2:3]
	v_cmp_gt_i64_e64 s4, s[4:5], v[18:19]
	v_add_co_u32 v18, vcc_lo, s8, v7
	s_delay_alu instid0(VALU_DEP_4)
	v_cmp_gt_i64_e64 s5, s[6:7], v[5:6]
	s_wait_alu 0xfffd
	v_add_co_ci_u32_e64 v19, null, s9, v8, vcc_lo
	v_lshlrev_b64_e32 v[5:6], 2, v[9:10]
	v_mul_lo_u32 v9, s19, v4
	v_mad_co_u64_u32 v[7:8], null, s18, v4, 0
	s_lshl_b32 s8, s43, 7
	v_lshlrev_b32_e32 v4, 2, v23
	s_mul_i32 s9, s18, s41
	s_wait_alu 0xfffe
	v_add_co_u32 v5, vcc_lo, v5, s8
	s_wait_alu 0xfffd
	v_add_co_ci_u32_e64 v6, null, 0, v6, vcc_lo
	v_add3_u32 v8, v8, s9, v9
	s_delay_alu instid0(VALU_DEP_3) | instskip(SKIP_1) | instid1(VALU_DEP_3)
	v_add_co_u32 v4, vcc_lo, v5, v4
	s_wait_alu 0xfffd
	v_add_co_ci_u32_e64 v5, null, 0, v6, vcc_lo
	s_delay_alu instid0(VALU_DEP_3) | instskip(SKIP_4) | instid1(VALU_DEP_3)
	v_lshlrev_b64_e32 v[6:7], 2, v[7:8]
	v_lshlrev_b32_e32 v8, 2, v12
	v_add_co_u32 v4, vcc_lo, s22, v4
	s_wait_alu 0xfffd
	v_add_co_ci_u32_e64 v5, null, s23, v5, vcc_lo
	v_add_co_u32 v6, vcc_lo, v6, v8
	s_wait_alu 0xfffd
	v_add_co_ci_u32_e64 v7, null, 0, v7, vcc_lo
	v_cmp_gt_i64_e64 s22, s[36:37], 0
	s_delay_alu instid0(VALU_DEP_3)
	v_add_co_u32 v6, vcc_lo, s16, v6
	v_mov_b32_e32 v1, v21
	s_wait_alu 0xfffd
	v_add_co_ci_u32_e64 v7, null, s17, v7, vcc_lo
	s_lshl_b64 s[6:7], s[24:25], 4
	s_lshl_b64 s[24:25], s[10:11], 4
	;; [unrolled: 1-line block ×5, first 2 shown]
	s_wait_alu 0xfffe
	s_lshl_b64 s[18:19], s[24:25], 2
	s_branch .LBB55_4
.LBB55_2:                               ;   in Loop: Header=BB55_4 Depth=1
	s_wait_alu 0xfffe
	s_or_b32 exec_lo, exec_lo, s23
.LBB55_3:                               ;   in Loop: Header=BB55_4 Depth=1
	s_add_co_i32 s34, s34, 0x10000
	s_wait_alu 0xfffe
	s_cmp_lt_i32 s34, s33
	s_cbranch_scc0 .LBB55_34
.LBB55_4:                               ; =>This Loop Header: Depth=1
                                        ;     Child Loop BB55_7 Depth 2
	v_dual_mov_b32 v23, 0 :: v_dual_mov_b32 v22, 0
	v_dual_mov_b32 v21, 0 :: v_dual_mov_b32 v20, 0
	s_and_not1_b32 vcc_lo, exec_lo, s22
	s_wait_alu 0xfffe
	s_cbranch_vccnz .LBB55_11
; %bb.5:                                ;   in Loop: Header=BB55_4 Depth=1
	v_mad_co_u64_u32 v[8:9], null, s8, s34, v[4:5]
	v_mad_co_u64_u32 v[10:11], null, s16, s34, v[6:7]
	v_dual_mov_b32 v20, 0 :: v_dual_mov_b32 v21, 0
	s_mov_b64 s[20:21], 0
	s_delay_alu instid0(VALU_DEP_2) | instskip(NEXT) | instid1(VALU_DEP_3)
	v_mad_co_u64_u32 v[23:24], null, s9, s34, v[9:10]
	v_mad_co_u64_u32 v[24:25], null, s17, s34, v[11:12]
	s_delay_alu instid0(VALU_DEP_2) | instskip(SKIP_1) | instid1(VALU_DEP_3)
	v_dual_mov_b32 v22, 0 :: v_dual_mov_b32 v9, v23
	v_mov_b32_e32 v23, 0
	v_mov_b32_e32 v11, v24
	s_branch .LBB55_7
.LBB55_6:                               ;   in Loop: Header=BB55_7 Depth=2
	s_wait_alu 0xfffe
	s_or_b32 exec_lo, exec_lo, s23
	s_wait_loadcnt 0x0
	ds_store_b32 v15, v25
	s_wait_dscnt 0x0
	s_barrier_signal -1
	s_barrier_wait -1
	global_inv scope:SCOPE_SE
	ds_load_b128 v[24:27], v17
	ds_load_2addr_b32 v[40:41], v16 offset1:16
	ds_load_b128 v[28:31], v17 offset:512
	ds_load_2addr_b32 v[42:43], v16 offset0:32 offset1:48
	ds_load_2addr_b32 v[44:45], v16 offset0:64 offset1:80
	;; [unrolled: 1-line block ×3, first 2 shown]
	ds_load_b128 v[32:35], v17 offset:16
	ds_load_2addr_b32 v[48:49], v16 offset0:128 offset1:144
	ds_load_b128 v[36:39], v17 offset:528
	ds_load_2addr_b32 v[50:51], v16 offset0:160 offset1:176
	s_add_nc_u64 s[20:21], s[20:21], 8
	v_add_co_u32 v8, vcc_lo, v8, s10
	s_wait_alu 0xfffe
	v_cmp_lt_i64_e64 s23, s[20:21], s[36:37]
	s_wait_alu 0xfffd
	v_add_co_ci_u32_e64 v9, null, s11, v9, vcc_lo
	v_add_co_u32 v10, vcc_lo, v10, 32
	s_wait_alu 0xfffd
	v_add_co_ci_u32_e64 v11, null, 0, v11, vcc_lo
	s_and_b32 vcc_lo, exec_lo, s23
	s_wait_dscnt 0x8
	v_fmac_f32_e32 v22, v41, v24
	v_fmac_f32_e32 v23, v40, v24
	s_wait_dscnt 0x7
	v_fmac_f32_e32 v20, v41, v28
	v_fmac_f32_e32 v21, v40, v28
	ds_load_2addr_b32 v[40:41], v16 offset0:192 offset1:208
	s_wait_dscnt 0x7
	v_fmac_f32_e32 v22, v43, v25
	v_fmac_f32_e32 v23, v42, v25
	;; [unrolled: 1-line block ×4, first 2 shown]
	ds_load_2addr_b32 v[24:25], v16 offset0:224 offset1:240
	s_wait_dscnt 0x7
	v_fmac_f32_e32 v22, v45, v26
	v_fmac_f32_e32 v23, v44, v26
	v_fmac_f32_e32 v20, v45, v30
	v_fmac_f32_e32 v21, v44, v30
	s_wait_loadcnt_dscnt 0x0
	v_fmac_f32_e32 v22, v47, v27
	v_fmac_f32_e32 v23, v46, v27
	;; [unrolled: 1-line block ×4, first 2 shown]
	s_barrier_signal -1
	v_fmac_f32_e32 v22, v49, v32
	v_fmac_f32_e32 v23, v48, v32
	;; [unrolled: 1-line block ×4, first 2 shown]
	s_barrier_wait -1
	v_fmac_f32_e32 v22, v51, v33
	v_fmac_f32_e32 v23, v50, v33
	;; [unrolled: 1-line block ×4, first 2 shown]
	global_inv scope:SCOPE_SE
	v_fmac_f32_e32 v22, v41, v34
	v_fmac_f32_e32 v23, v40, v34
	;; [unrolled: 1-line block ×3, first 2 shown]
	s_delay_alu instid0(VALU_DEP_3) | instskip(NEXT) | instid1(VALU_DEP_3)
	v_dual_fmac_f32 v21, v40, v38 :: v_dual_fmac_f32 v22, v25, v35
	v_fmac_f32_e32 v23, v24, v35
	s_delay_alu instid0(VALU_DEP_3) | instskip(NEXT) | instid1(VALU_DEP_3)
	v_fmac_f32_e32 v20, v25, v39
	v_fmac_f32_e32 v21, v24, v39
	s_wait_alu 0xfffe
	s_cbranch_vccz .LBB55_11
.LBB55_7:                               ;   Parent Loop BB55_4 Depth=1
                                        ; =>  This Inner Loop Header: Depth=2
	s_wait_alu 0xfffe
	v_add_co_u32 v24, s23, v12, s20
	s_wait_alu 0xf1ff
	v_add_co_ci_u32_e64 v25, null, 0, s21, s23
	s_delay_alu instid0(VALU_DEP_1)
	v_cmp_gt_i64_e32 vcc_lo, s[36:37], v[24:25]
	v_mov_b32_e32 v24, 0
	s_and_b32 s24, s0, vcc_lo
	s_wait_alu 0xfffe
	s_and_saveexec_b32 s23, s24
	s_cbranch_execz .LBB55_9
; %bb.8:                                ;   in Loop: Header=BB55_7 Depth=2
	global_load_b32 v24, v[10:11], off
.LBB55_9:                               ;   in Loop: Header=BB55_7 Depth=2
	s_wait_alu 0xfffe
	s_or_b32 exec_lo, exec_lo, s23
	v_add_co_u32 v25, s23, v13, s20
	s_wait_alu 0xf1ff
	v_add_co_ci_u32_e64 v26, null, 0, s21, s23
	s_wait_loadcnt 0x0
	ds_store_b32 v14, v24
	v_cmp_gt_i64_e32 vcc_lo, s[36:37], v[25:26]
	v_mov_b32_e32 v25, 0
	s_and_b32 s24, vcc_lo, s1
	s_wait_alu 0xfffe
	s_and_saveexec_b32 s23, s24
	s_cbranch_execz .LBB55_6
; %bb.10:                               ;   in Loop: Header=BB55_7 Depth=2
	global_load_b32 v25, v[8:9], off
	s_branch .LBB55_6
.LBB55_11:                              ;   in Loop: Header=BB55_4 Depth=1
	s_mul_u64 s[20:21], s[26:27], s[34:35]
	s_and_not1_b32 vcc_lo, exec_lo, s42
	s_wait_alu 0xfffe
	s_lshl_b64 s[20:21], s[20:21], 2
	s_wait_alu 0xfffe
	s_add_nc_u64 s[20:21], s[14:15], s[20:21]
	s_cbranch_vccnz .LBB55_16
; %bb.12:                               ;   in Loop: Header=BB55_4 Depth=1
	s_and_saveexec_b32 s23, s2
	s_cbranch_execz .LBB55_23
; %bb.13:                               ;   in Loop: Header=BB55_4 Depth=1
	v_lshlrev_b64_e32 v[8:9], 2, v[0:1]
	s_wait_alu 0xfffe
	s_delay_alu instid0(VALU_DEP_1) | instskip(SKIP_1) | instid1(VALU_DEP_2)
	v_add_co_u32 v8, vcc_lo, s20, v8
	s_wait_alu 0xfffd
	v_add_co_ci_u32_e64 v9, null, s21, v9, vcc_lo
	s_and_saveexec_b32 s24, s3
	s_cbranch_execnz .LBB55_17
; %bb.14:                               ;   in Loop: Header=BB55_4 Depth=1
	s_wait_alu 0xfffe
	s_or_b32 exec_lo, exec_lo, s24
	s_and_saveexec_b32 s24, s4
	s_cbranch_execnz .LBB55_18
.LBB55_15:                              ;   in Loop: Header=BB55_4 Depth=1
	s_wait_alu 0xfffe
	s_or_b32 exec_lo, exec_lo, s24
	s_delay_alu instid0(SALU_CYCLE_1)
	s_and_b32 exec_lo, exec_lo, s5
	s_cbranch_execnz .LBB55_19
	s_branch .LBB55_23
.LBB55_16:                              ;   in Loop: Header=BB55_4 Depth=1
	s_branch .LBB55_24
.LBB55_17:                              ;   in Loop: Header=BB55_4 Depth=1
	v_lshlrev_b64_e32 v[10:11], 2, v[2:3]
	v_mul_f32_e32 v24, s38, v23
	s_delay_alu instid0(VALU_DEP_2) | instskip(SKIP_1) | instid1(VALU_DEP_3)
	v_add_co_u32 v10, vcc_lo, v8, v10
	s_wait_alu 0xfffd
	v_add_co_ci_u32_e64 v11, null, v9, v11, vcc_lo
	global_store_b32 v[10:11], v24, off
	s_wait_alu 0xfffe
	s_or_b32 exec_lo, exec_lo, s24
	s_and_saveexec_b32 s24, s4
	s_cbranch_execz .LBB55_15
.LBB55_18:                              ;   in Loop: Header=BB55_4 Depth=1
	v_lshlrev_b64_e32 v[10:11], 2, v[2:3]
	v_mul_f32_e32 v24, s38, v22
	s_delay_alu instid0(VALU_DEP_2) | instskip(SKIP_1) | instid1(VALU_DEP_3)
	v_add_co_u32 v10, vcc_lo, v8, v10
	s_wait_alu 0xfffd
	v_add_co_ci_u32_e64 v11, null, v9, v11, vcc_lo
	global_store_b32 v[10:11], v24, off offset:64
	s_wait_alu 0xfffe
	s_or_b32 exec_lo, exec_lo, s24
	s_delay_alu instid0(SALU_CYCLE_1)
	s_and_b32 exec_lo, exec_lo, s5
	s_cbranch_execz .LBB55_23
.LBB55_19:                              ;   in Loop: Header=BB55_4 Depth=1
	s_lshl_b64 s[24:25], s[6:7], 2
	v_lshlrev_b64_e32 v[10:11], 2, v[2:3]
	s_wait_alu 0xfffe
	v_add_co_u32 v8, vcc_lo, v8, s24
	s_wait_alu 0xfffd
	v_add_co_ci_u32_e64 v9, null, s25, v9, vcc_lo
	s_delay_alu instid0(VALU_DEP_2) | instskip(SKIP_1) | instid1(VALU_DEP_2)
	v_add_co_u32 v8, vcc_lo, v8, v10
	s_wait_alu 0xfffd
	v_add_co_ci_u32_e64 v9, null, v9, v11, vcc_lo
	s_and_saveexec_b32 s24, s3
	s_cbranch_execz .LBB55_21
; %bb.20:                               ;   in Loop: Header=BB55_4 Depth=1
	v_mul_f32_e32 v10, s38, v21
	global_store_b32 v[8:9], v10, off
.LBB55_21:                              ;   in Loop: Header=BB55_4 Depth=1
	s_wait_alu 0xfffe
	s_or_b32 exec_lo, exec_lo, s24
	s_delay_alu instid0(SALU_CYCLE_1)
	s_and_b32 exec_lo, exec_lo, s4
	s_cbranch_execz .LBB55_23
; %bb.22:                               ;   in Loop: Header=BB55_4 Depth=1
	v_mul_f32_e32 v10, s38, v20
	global_store_b32 v[8:9], v10, off offset:64
.LBB55_23:                              ;   in Loop: Header=BB55_4 Depth=1
	s_wait_alu 0xfffe
	s_or_b32 exec_lo, exec_lo, s23
	s_cbranch_execnz .LBB55_3
.LBB55_24:                              ;   in Loop: Header=BB55_4 Depth=1
	s_and_saveexec_b32 s23, s2
	s_cbranch_execz .LBB55_2
; %bb.25:                               ;   in Loop: Header=BB55_4 Depth=1
	s_mul_u64 s[24:25], s[12:13], s[34:35]
	v_lshlrev_b64_e32 v[24:25], 2, v[0:1]
	s_wait_alu 0xfffe
	s_lshl_b64 s[24:25], s[24:25], 2
	v_lshlrev_b64_e32 v[8:9], 2, v[2:3]
	s_wait_alu 0xfffe
	v_add_co_u32 v10, vcc_lo, v18, s24
	s_wait_alu 0xfffd
	v_add_co_ci_u32_e64 v11, null, s25, v19, vcc_lo
	v_add_co_u32 v24, vcc_lo, s20, v24
	s_wait_alu 0xfffd
	v_add_co_ci_u32_e64 v25, null, s21, v25, vcc_lo
	s_and_saveexec_b32 s20, s3
	s_cbranch_execnz .LBB55_28
; %bb.26:                               ;   in Loop: Header=BB55_4 Depth=1
	s_wait_alu 0xfffe
	s_or_b32 exec_lo, exec_lo, s20
	s_and_saveexec_b32 s20, s4
	s_cbranch_execnz .LBB55_29
.LBB55_27:                              ;   in Loop: Header=BB55_4 Depth=1
	s_wait_alu 0xfffe
	s_or_b32 exec_lo, exec_lo, s20
	s_delay_alu instid0(SALU_CYCLE_1)
	s_and_b32 exec_lo, exec_lo, s5
	s_cbranch_execz .LBB55_2
	s_branch .LBB55_30
.LBB55_28:                              ;   in Loop: Header=BB55_4 Depth=1
	v_add_co_u32 v26, vcc_lo, v10, v8
	s_wait_alu 0xfffd
	v_add_co_ci_u32_e64 v27, null, v11, v9, vcc_lo
	global_load_b32 v26, v[26:27], off
	s_wait_loadcnt 0x0
	v_mul_f32_e32 v28, s39, v26
	v_add_co_u32 v26, vcc_lo, v24, v8
	s_wait_alu 0xfffd
	v_add_co_ci_u32_e64 v27, null, v25, v9, vcc_lo
	s_delay_alu instid0(VALU_DEP_3)
	v_fmac_f32_e32 v28, s38, v23
	global_store_b32 v[26:27], v28, off
	s_wait_alu 0xfffe
	s_or_b32 exec_lo, exec_lo, s20
	s_and_saveexec_b32 s20, s4
	s_cbranch_execz .LBB55_27
.LBB55_29:                              ;   in Loop: Header=BB55_4 Depth=1
	v_add_co_u32 v26, vcc_lo, v10, v8
	s_wait_alu 0xfffd
	v_add_co_ci_u32_e64 v27, null, v11, v9, vcc_lo
	global_load_b32 v23, v[26:27], off offset:64
	s_wait_loadcnt 0x0
	v_mul_f32_e32 v26, s39, v23
	s_delay_alu instid0(VALU_DEP_1)
	v_fmac_f32_e32 v26, s38, v22
	v_add_co_u32 v22, vcc_lo, v24, v8
	s_wait_alu 0xfffd
	v_add_co_ci_u32_e64 v23, null, v25, v9, vcc_lo
	global_store_b32 v[22:23], v26, off offset:64
	s_wait_alu 0xfffe
	s_or_b32 exec_lo, exec_lo, s20
	s_delay_alu instid0(SALU_CYCLE_1)
	s_and_b32 exec_lo, exec_lo, s5
	s_cbranch_execz .LBB55_2
.LBB55_30:                              ;   in Loop: Header=BB55_4 Depth=1
	v_add_co_u32 v10, vcc_lo, v10, s18
	s_lshl_b64 s[20:21], s[6:7], 2
	s_wait_alu 0xfffd
	v_add_co_ci_u32_e64 v11, null, s19, v11, vcc_lo
	s_wait_alu 0xfffe
	v_add_co_u32 v22, vcc_lo, v24, s20
	s_wait_alu 0xfffd
	v_add_co_ci_u32_e64 v23, null, s21, v25, vcc_lo
	v_add_co_u32 v10, vcc_lo, v10, v8
	s_wait_alu 0xfffd
	v_add_co_ci_u32_e64 v11, null, v11, v9, vcc_lo
	;; [unrolled: 3-line block ×3, first 2 shown]
	s_and_saveexec_b32 s20, s3
	s_cbranch_execz .LBB55_32
; %bb.31:                               ;   in Loop: Header=BB55_4 Depth=1
	global_load_b32 v22, v[10:11], off
	s_wait_loadcnt 0x0
	v_mul_f32_e32 v22, s39, v22
	s_delay_alu instid0(VALU_DEP_1)
	v_fmac_f32_e32 v22, s38, v21
	global_store_b32 v[8:9], v22, off
.LBB55_32:                              ;   in Loop: Header=BB55_4 Depth=1
	s_wait_alu 0xfffe
	s_or_b32 exec_lo, exec_lo, s20
	s_delay_alu instid0(SALU_CYCLE_1)
	s_and_b32 exec_lo, exec_lo, s4
	s_cbranch_execz .LBB55_2
; %bb.33:                               ;   in Loop: Header=BB55_4 Depth=1
	global_load_b32 v10, v[10:11], off offset:64
	s_wait_loadcnt 0x0
	v_mul_f32_e32 v10, s39, v10
	s_delay_alu instid0(VALU_DEP_1)
	v_fmac_f32_e32 v10, s38, v20
	global_store_b32 v[8:9], v10, off offset:64
	s_branch .LBB55_2
.LBB55_34:
	s_endpgm
	.section	.rodata,"a",@progbits
	.p2align	6, 0x0
	.amdhsa_kernel _ZN12_GLOBAL__N_135rocblas_gemm_batched_general_kernelIfLi16ELi16ELi32ELi32ELi8ELi32ELi8ELi8ELi32ELc67ELc84EKfS1_fEEvlllT_PT11_llS4_llS2_PT12_llPT13_lli
		.amdhsa_group_segment_fixed_size 2048
		.amdhsa_private_segment_fixed_size 0
		.amdhsa_kernarg_size 140
		.amdhsa_user_sgpr_count 2
		.amdhsa_user_sgpr_dispatch_ptr 0
		.amdhsa_user_sgpr_queue_ptr 0
		.amdhsa_user_sgpr_kernarg_segment_ptr 1
		.amdhsa_user_sgpr_dispatch_id 0
		.amdhsa_user_sgpr_private_segment_size 0
		.amdhsa_wavefront_size32 1
		.amdhsa_uses_dynamic_stack 0
		.amdhsa_enable_private_segment 0
		.amdhsa_system_sgpr_workgroup_id_x 1
		.amdhsa_system_sgpr_workgroup_id_y 1
		.amdhsa_system_sgpr_workgroup_id_z 1
		.amdhsa_system_sgpr_workgroup_info 0
		.amdhsa_system_vgpr_workitem_id 1
		.amdhsa_next_free_vgpr 52
		.amdhsa_next_free_sgpr 44
		.amdhsa_reserve_vcc 1
		.amdhsa_float_round_mode_32 0
		.amdhsa_float_round_mode_16_64 0
		.amdhsa_float_denorm_mode_32 3
		.amdhsa_float_denorm_mode_16_64 3
		.amdhsa_fp16_overflow 0
		.amdhsa_workgroup_processor_mode 1
		.amdhsa_memory_ordered 1
		.amdhsa_forward_progress 1
		.amdhsa_inst_pref_size 18
		.amdhsa_round_robin_scheduling 0
		.amdhsa_exception_fp_ieee_invalid_op 0
		.amdhsa_exception_fp_denorm_src 0
		.amdhsa_exception_fp_ieee_div_zero 0
		.amdhsa_exception_fp_ieee_overflow 0
		.amdhsa_exception_fp_ieee_underflow 0
		.amdhsa_exception_fp_ieee_inexact 0
		.amdhsa_exception_int_div_zero 0
	.end_amdhsa_kernel
	.section	.text._ZN12_GLOBAL__N_135rocblas_gemm_batched_general_kernelIfLi16ELi16ELi32ELi32ELi8ELi32ELi8ELi8ELi32ELc67ELc84EKfS1_fEEvlllT_PT11_llS4_llS2_PT12_llPT13_lli,"axG",@progbits,_ZN12_GLOBAL__N_135rocblas_gemm_batched_general_kernelIfLi16ELi16ELi32ELi32ELi8ELi32ELi8ELi8ELi32ELc67ELc84EKfS1_fEEvlllT_PT11_llS4_llS2_PT12_llPT13_lli,comdat
.Lfunc_end55:
	.size	_ZN12_GLOBAL__N_135rocblas_gemm_batched_general_kernelIfLi16ELi16ELi32ELi32ELi8ELi32ELi8ELi8ELi32ELc67ELc84EKfS1_fEEvlllT_PT11_llS4_llS2_PT12_llPT13_lli, .Lfunc_end55-_ZN12_GLOBAL__N_135rocblas_gemm_batched_general_kernelIfLi16ELi16ELi32ELi32ELi8ELi32ELi8ELi8ELi32ELc67ELc84EKfS1_fEEvlllT_PT11_llS4_llS2_PT12_llPT13_lli
                                        ; -- End function
	.set _ZN12_GLOBAL__N_135rocblas_gemm_batched_general_kernelIfLi16ELi16ELi32ELi32ELi8ELi32ELi8ELi8ELi32ELc67ELc84EKfS1_fEEvlllT_PT11_llS4_llS2_PT12_llPT13_lli.num_vgpr, 52
	.set _ZN12_GLOBAL__N_135rocblas_gemm_batched_general_kernelIfLi16ELi16ELi32ELi32ELi8ELi32ELi8ELi8ELi32ELc67ELc84EKfS1_fEEvlllT_PT11_llS4_llS2_PT12_llPT13_lli.num_agpr, 0
	.set _ZN12_GLOBAL__N_135rocblas_gemm_batched_general_kernelIfLi16ELi16ELi32ELi32ELi8ELi32ELi8ELi8ELi32ELc67ELc84EKfS1_fEEvlllT_PT11_llS4_llS2_PT12_llPT13_lli.numbered_sgpr, 44
	.set _ZN12_GLOBAL__N_135rocblas_gemm_batched_general_kernelIfLi16ELi16ELi32ELi32ELi8ELi32ELi8ELi8ELi32ELc67ELc84EKfS1_fEEvlllT_PT11_llS4_llS2_PT12_llPT13_lli.num_named_barrier, 0
	.set _ZN12_GLOBAL__N_135rocblas_gemm_batched_general_kernelIfLi16ELi16ELi32ELi32ELi8ELi32ELi8ELi8ELi32ELc67ELc84EKfS1_fEEvlllT_PT11_llS4_llS2_PT12_llPT13_lli.private_seg_size, 0
	.set _ZN12_GLOBAL__N_135rocblas_gemm_batched_general_kernelIfLi16ELi16ELi32ELi32ELi8ELi32ELi8ELi8ELi32ELc67ELc84EKfS1_fEEvlllT_PT11_llS4_llS2_PT12_llPT13_lli.uses_vcc, 1
	.set _ZN12_GLOBAL__N_135rocblas_gemm_batched_general_kernelIfLi16ELi16ELi32ELi32ELi8ELi32ELi8ELi8ELi32ELc67ELc84EKfS1_fEEvlllT_PT11_llS4_llS2_PT12_llPT13_lli.uses_flat_scratch, 0
	.set _ZN12_GLOBAL__N_135rocblas_gemm_batched_general_kernelIfLi16ELi16ELi32ELi32ELi8ELi32ELi8ELi8ELi32ELc67ELc84EKfS1_fEEvlllT_PT11_llS4_llS2_PT12_llPT13_lli.has_dyn_sized_stack, 0
	.set _ZN12_GLOBAL__N_135rocblas_gemm_batched_general_kernelIfLi16ELi16ELi32ELi32ELi8ELi32ELi8ELi8ELi32ELc67ELc84EKfS1_fEEvlllT_PT11_llS4_llS2_PT12_llPT13_lli.has_recursion, 0
	.set _ZN12_GLOBAL__N_135rocblas_gemm_batched_general_kernelIfLi16ELi16ELi32ELi32ELi8ELi32ELi8ELi8ELi32ELc67ELc84EKfS1_fEEvlllT_PT11_llS4_llS2_PT12_llPT13_lli.has_indirect_call, 0
	.section	.AMDGPU.csdata,"",@progbits
; Kernel info:
; codeLenInByte = 2216
; TotalNumSgprs: 46
; NumVgprs: 52
; ScratchSize: 0
; MemoryBound: 0
; FloatMode: 240
; IeeeMode: 1
; LDSByteSize: 2048 bytes/workgroup (compile time only)
; SGPRBlocks: 0
; VGPRBlocks: 6
; NumSGPRsForWavesPerEU: 46
; NumVGPRsForWavesPerEU: 52
; Occupancy: 16
; WaveLimiterHint : 0
; COMPUTE_PGM_RSRC2:SCRATCH_EN: 0
; COMPUTE_PGM_RSRC2:USER_SGPR: 2
; COMPUTE_PGM_RSRC2:TRAP_HANDLER: 0
; COMPUTE_PGM_RSRC2:TGID_X_EN: 1
; COMPUTE_PGM_RSRC2:TGID_Y_EN: 1
; COMPUTE_PGM_RSRC2:TGID_Z_EN: 1
; COMPUTE_PGM_RSRC2:TIDIG_COMP_CNT: 1
	.section	.text._ZN12_GLOBAL__N_135rocblas_gemm_batched_general_kernelIfLi16ELi16ELi32ELi32ELi8ELi32ELi8ELi8ELi32ELc78ELc67EKfS1_fEEvlllT_PT11_llS4_llS2_PT12_llPT13_lli,"axG",@progbits,_ZN12_GLOBAL__N_135rocblas_gemm_batched_general_kernelIfLi16ELi16ELi32ELi32ELi8ELi32ELi8ELi8ELi32ELc78ELc67EKfS1_fEEvlllT_PT11_llS4_llS2_PT12_llPT13_lli,comdat
	.globl	_ZN12_GLOBAL__N_135rocblas_gemm_batched_general_kernelIfLi16ELi16ELi32ELi32ELi8ELi32ELi8ELi8ELi32ELc78ELc67EKfS1_fEEvlllT_PT11_llS4_llS2_PT12_llPT13_lli ; -- Begin function _ZN12_GLOBAL__N_135rocblas_gemm_batched_general_kernelIfLi16ELi16ELi32ELi32ELi8ELi32ELi8ELi8ELi32ELc78ELc67EKfS1_fEEvlllT_PT11_llS4_llS2_PT12_llPT13_lli
	.p2align	8
	.type	_ZN12_GLOBAL__N_135rocblas_gemm_batched_general_kernelIfLi16ELi16ELi32ELi32ELi8ELi32ELi8ELi8ELi32ELc78ELc67EKfS1_fEEvlllT_PT11_llS4_llS2_PT12_llPT13_lli,@function
_ZN12_GLOBAL__N_135rocblas_gemm_batched_general_kernelIfLi16ELi16ELi32ELi32ELi8ELi32ELi8ELi8ELi32ELc78ELc67EKfS1_fEEvlllT_PT11_llS4_llS2_PT12_llPT13_lli: ; @_ZN12_GLOBAL__N_135rocblas_gemm_batched_general_kernelIfLi16ELi16ELi32ELi32ELi8ELi32ELi8ELi8ELi32ELc78ELc67EKfS1_fEEvlllT_PT11_llS4_llS2_PT12_llPT13_lli
; %bb.0:
	s_load_b32 s33, s[0:1], 0x88
	s_lshr_b32 s34, ttmp7, 16
	s_wait_kmcnt 0x0
	s_cmp_ge_i32 s34, s33
	s_cbranch_scc1 .LBB56_34
; %bb.1:
	v_bfe_u32 v6, v0, 10, 10
	v_and_b32_e32 v7, 0x3ff, v0
	s_clause 0x6
	s_load_b128 s[4:7], s[0:1], 0x0
	s_load_b96 s[36:38], s[0:1], 0x10
	s_load_b256 s[16:23], s[0:1], 0x20
	s_load_b128 s[28:31], s[0:1], 0x40
	s_load_b32 s39, s[0:1], 0x50
	s_load_b128 s[24:27], s[0:1], 0x78
	s_load_b256 s[8:15], s[0:1], 0x58
	v_and_b32_e32 v13, 7, v0
	s_mov_b32 s40, ttmp9
	v_lshl_add_u32 v1, v6, 4, v7
	s_ashr_i32 s41, ttmp9, 31
	s_and_b32 s43, ttmp7, 0xffff
	v_lshlrev_b32_e32 v4, 2, v13
	s_lshl_b64 s[44:45], s[40:41], 5
	v_lshrrev_b32_e32 v24, 3, v1
	v_and_b32_e32 v2, 31, v1
	s_lshl_b32 s2, s43, 5
	v_lshrrev_b32_e32 v12, 5, v1
	v_mov_b32_e32 v1, s45
	v_lshl_or_b32 v4, v24, 5, v4
	v_or_b32_e32 v0, s44, v2
	v_lshlrev_b32_e32 v25, 2, v2
	v_add_co_u32 v2, s0, v24, s2
	s_delay_alu instid0(VALU_DEP_1)
	v_add_co_ci_u32_e64 v3, null, 0, 0, s0
	v_add_nc_u32_e32 v15, 0x400, v4
	v_add_co_u32 v4, s2, s2, v6
	s_wait_kmcnt 0x0
	v_cmp_gt_i64_e64 s0, s[4:5], v[0:1]
	v_cmp_gt_i64_e64 s1, s[6:7], v[2:3]
	v_lshl_add_u32 v17, v6, 5, 0x400
	v_mad_co_u64_u32 v[0:1], null, v4, s24, 0
	v_add_co_u32 v2, s3, s44, v7
	v_mad_co_u64_u32 v[8:9], null, s28, v13, 0
	v_lshlrev_b32_e32 v16, 2, v7
	v_mad_co_u64_u32 v[6:7], null, v4, s10, 0
	s_wait_alu 0xf1ff
	v_add_co_ci_u32_e64 v3, null, s45, 0, s3
	v_add_co_ci_u32_e64 v5, null, 0, 0, s2
	v_mad_co_u64_u32 v[18:19], null, v4, s25, v[1:2]
	s_delay_alu instid0(VALU_DEP_4) | instskip(SKIP_1) | instid1(VALU_DEP_1)
	v_mov_b32_e32 v1, v7
	v_add_co_u32 v10, vcc_lo, v2, 16
	v_add_co_ci_u32_e64 v11, null, 0, v3, vcc_lo
	v_add_co_u32 v19, vcc_lo, v4, 16
	v_cmp_gt_i64_e64 s2, s[6:7], v[4:5]
	v_mov_b32_e32 v7, v9
	s_wait_alu 0xfffd
	v_add_co_ci_u32_e64 v20, null, 0, v5, vcc_lo
	v_mad_co_u64_u32 v[4:5], null, v4, s11, v[1:2]
	s_delay_alu instid0(VALU_DEP_3)
	v_mad_co_u64_u32 v[21:22], null, s29, v13, v[7:8]
	v_mad_co_u64_u32 v[22:23], null, s18, v12, 0
	s_cmp_eq_f32 s39, 0
	v_cmp_gt_i64_e64 s3, s[4:5], v[2:3]
	v_mov_b32_e32 v7, v4
	v_cmp_gt_i64_e64 s4, s[4:5], v[10:11]
	v_mov_b32_e32 v9, v21
	s_cselect_b32 s42, -1, 0
	v_mov_b32_e32 v4, v23
	v_lshlrev_b64_e32 v[5:6], 2, v[6:7]
	v_mov_b32_e32 v1, v18
	v_lshlrev_b64_e32 v[7:8], 2, v[8:9]
	v_cmp_gt_i64_e64 s5, s[6:7], v[19:20]
	s_lshl_b64 s[6:7], s[24:25], 4
	v_cmp_gt_i64_e64 s24, s[36:37], 0
	v_mad_co_u64_u32 v[9:10], null, s19, v12, v[4:5]
	v_add_co_u32 v18, vcc_lo, s8, v5
	s_lshl_b32 s8, s43, 7
	s_wait_alu 0xfffd
	v_add_co_ci_u32_e64 v19, null, s9, v6, vcc_lo
	v_lshlrev_b32_e32 v4, 2, v24
	s_wait_alu 0xfffe
	v_add_co_u32 v5, vcc_lo, v7, s8
	s_wait_alu 0xfffd
	v_add_co_ci_u32_e64 v6, null, 0, v8, vcc_lo
	v_mov_b32_e32 v23, v9
	s_delay_alu instid0(VALU_DEP_3) | instskip(SKIP_1) | instid1(VALU_DEP_3)
	v_add_co_u32 v4, vcc_lo, v5, v4
	s_wait_alu 0xfffd
	v_add_co_ci_u32_e64 v5, null, 0, v6, vcc_lo
	s_delay_alu instid0(VALU_DEP_3) | instskip(NEXT) | instid1(VALU_DEP_3)
	v_lshlrev_b64_e32 v[6:7], 2, v[22:23]
	v_add_co_u32 v4, vcc_lo, s22, v4
	s_lshl_b64 s[8:9], s[40:41], 7
	s_wait_alu 0xfffd
	v_add_co_ci_u32_e64 v5, null, s23, v5, vcc_lo
	s_wait_alu 0xfffe
	v_add_co_u32 v6, vcc_lo, v6, s8
	s_wait_alu 0xfffd
	v_add_co_ci_u32_e64 v7, null, s9, v7, vcc_lo
	v_lshl_or_b32 v14, v12, 7, v25
	s_delay_alu instid0(VALU_DEP_3) | instskip(SKIP_1) | instid1(VALU_DEP_3)
	v_add_co_u32 v6, vcc_lo, v6, v25
	s_wait_alu 0xfffd
	v_add_co_ci_u32_e64 v7, null, 0, v7, vcc_lo
	s_lshl_b64 s[44:45], s[10:11], 4
	v_add_co_u32 v6, vcc_lo, s16, v6
	s_wait_alu 0xfffd
	v_add_co_ci_u32_e64 v7, null, s17, v7, vcc_lo
	s_mov_b32 s35, 0
	s_lshl_b64 s[8:9], s[30:31], 2
	s_lshl_b64 s[10:11], s[28:29], 5
	;; [unrolled: 1-line block ×4, first 2 shown]
	s_wait_alu 0xfffe
	s_lshl_b64 s[20:21], s[44:45], 2
	s_branch .LBB56_4
.LBB56_2:                               ;   in Loop: Header=BB56_4 Depth=1
	s_wait_alu 0xfffe
	s_or_b32 exec_lo, exec_lo, s25
.LBB56_3:                               ;   in Loop: Header=BB56_4 Depth=1
	s_add_co_i32 s34, s34, 0x10000
	s_wait_alu 0xfffe
	s_cmp_lt_i32 s34, s33
	s_cbranch_scc0 .LBB56_34
.LBB56_4:                               ; =>This Loop Header: Depth=1
                                        ;     Child Loop BB56_7 Depth 2
	v_dual_mov_b32 v23, 0 :: v_dual_mov_b32 v22, 0
	v_dual_mov_b32 v21, 0 :: v_dual_mov_b32 v20, 0
	s_and_not1_b32 vcc_lo, exec_lo, s24
	s_wait_alu 0xfffe
	s_cbranch_vccnz .LBB56_11
; %bb.5:                                ;   in Loop: Header=BB56_4 Depth=1
	v_mad_co_u64_u32 v[8:9], null, s8, s34, v[4:5]
	v_mad_co_u64_u32 v[10:11], null, s16, s34, v[6:7]
	v_dual_mov_b32 v20, 0 :: v_dual_mov_b32 v21, 0
	s_mov_b64 s[22:23], 0
	s_delay_alu instid0(VALU_DEP_2) | instskip(NEXT) | instid1(VALU_DEP_3)
	v_mad_co_u64_u32 v[23:24], null, s9, s34, v[9:10]
	v_mad_co_u64_u32 v[24:25], null, s17, s34, v[11:12]
	s_delay_alu instid0(VALU_DEP_2) | instskip(SKIP_1) | instid1(VALU_DEP_3)
	v_dual_mov_b32 v22, 0 :: v_dual_mov_b32 v9, v23
	v_mov_b32_e32 v23, 0
	v_mov_b32_e32 v11, v24
	s_branch .LBB56_7
.LBB56_6:                               ;   in Loop: Header=BB56_7 Depth=2
	s_wait_alu 0xfffe
	s_or_b32 exec_lo, exec_lo, s25
	s_wait_loadcnt 0x0
	ds_store_b32 v15, v25
	s_wait_dscnt 0x0
	s_barrier_signal -1
	s_barrier_wait -1
	global_inv scope:SCOPE_SE
	ds_load_b128 v[24:27], v17
	ds_load_2addr_b32 v[40:41], v16 offset1:16
	ds_load_b128 v[28:31], v17 offset:512
	ds_load_2addr_b32 v[42:43], v16 offset0:32 offset1:48
	ds_load_2addr_b32 v[44:45], v16 offset0:64 offset1:80
	;; [unrolled: 1-line block ×3, first 2 shown]
	ds_load_b128 v[32:35], v17 offset:16
	ds_load_2addr_b32 v[48:49], v16 offset0:128 offset1:144
	ds_load_b128 v[36:39], v17 offset:528
	ds_load_2addr_b32 v[50:51], v16 offset0:160 offset1:176
	s_add_nc_u64 s[22:23], s[22:23], 8
	v_add_co_u32 v8, vcc_lo, v8, s10
	s_wait_alu 0xfffe
	v_cmp_lt_i64_e64 s25, s[22:23], s[36:37]
	s_wait_alu 0xfffd
	v_add_co_ci_u32_e64 v9, null, s11, v9, vcc_lo
	v_add_co_u32 v10, vcc_lo, v10, s18
	s_wait_alu 0xfffd
	v_add_co_ci_u32_e64 v11, null, s19, v11, vcc_lo
	s_and_b32 vcc_lo, exec_lo, s25
	s_wait_dscnt 0x8
	v_fmac_f32_e32 v22, v41, v24
	v_fmac_f32_e32 v23, v40, v24
	s_wait_dscnt 0x7
	v_fmac_f32_e32 v20, v41, v28
	v_fmac_f32_e32 v21, v40, v28
	ds_load_2addr_b32 v[40:41], v16 offset0:192 offset1:208
	s_wait_dscnt 0x7
	v_fmac_f32_e32 v22, v43, v25
	v_fmac_f32_e32 v23, v42, v25
	;; [unrolled: 1-line block ×4, first 2 shown]
	ds_load_2addr_b32 v[24:25], v16 offset0:224 offset1:240
	s_wait_dscnt 0x7
	v_fmac_f32_e32 v22, v45, v26
	v_fmac_f32_e32 v23, v44, v26
	;; [unrolled: 1-line block ×4, first 2 shown]
	s_wait_loadcnt_dscnt 0x0
	v_fmac_f32_e32 v22, v47, v27
	v_fmac_f32_e32 v23, v46, v27
	;; [unrolled: 1-line block ×4, first 2 shown]
	s_barrier_signal -1
	v_fmac_f32_e32 v22, v49, v32
	v_fmac_f32_e32 v23, v48, v32
	;; [unrolled: 1-line block ×4, first 2 shown]
	s_barrier_wait -1
	v_fmac_f32_e32 v22, v51, v33
	v_fmac_f32_e32 v23, v50, v33
	;; [unrolled: 1-line block ×4, first 2 shown]
	global_inv scope:SCOPE_SE
	v_fmac_f32_e32 v22, v41, v34
	v_fmac_f32_e32 v23, v40, v34
	;; [unrolled: 1-line block ×3, first 2 shown]
	s_delay_alu instid0(VALU_DEP_3) | instskip(NEXT) | instid1(VALU_DEP_3)
	v_dual_fmac_f32 v21, v40, v38 :: v_dual_fmac_f32 v22, v25, v35
	v_fmac_f32_e32 v23, v24, v35
	s_delay_alu instid0(VALU_DEP_3) | instskip(NEXT) | instid1(VALU_DEP_3)
	v_fmac_f32_e32 v20, v25, v39
	v_fmac_f32_e32 v21, v24, v39
	s_wait_alu 0xfffe
	s_cbranch_vccz .LBB56_11
.LBB56_7:                               ;   Parent Loop BB56_4 Depth=1
                                        ; =>  This Inner Loop Header: Depth=2
	s_wait_alu 0xfffe
	v_add_co_u32 v24, s25, v12, s22
	s_wait_alu 0xf1ff
	v_add_co_ci_u32_e64 v25, null, 0, s23, s25
	s_delay_alu instid0(VALU_DEP_1)
	v_cmp_gt_i64_e32 vcc_lo, s[36:37], v[24:25]
	v_mov_b32_e32 v24, 0
	s_and_b32 s28, s0, vcc_lo
	s_wait_alu 0xfffe
	s_and_saveexec_b32 s25, s28
	s_cbranch_execz .LBB56_9
; %bb.8:                                ;   in Loop: Header=BB56_7 Depth=2
	global_load_b32 v24, v[10:11], off
.LBB56_9:                               ;   in Loop: Header=BB56_7 Depth=2
	s_wait_alu 0xfffe
	s_or_b32 exec_lo, exec_lo, s25
	v_add_co_u32 v25, s25, v13, s22
	s_wait_alu 0xf1ff
	v_add_co_ci_u32_e64 v26, null, 0, s23, s25
	s_wait_loadcnt 0x0
	ds_store_b32 v14, v24
	v_cmp_gt_i64_e32 vcc_lo, s[36:37], v[25:26]
	v_mov_b32_e32 v25, 0
	s_and_b32 s28, vcc_lo, s1
	s_wait_alu 0xfffe
	s_and_saveexec_b32 s25, s28
	s_cbranch_execz .LBB56_6
; %bb.10:                               ;   in Loop: Header=BB56_7 Depth=2
	global_load_b32 v25, v[8:9], off
	s_branch .LBB56_6
.LBB56_11:                              ;   in Loop: Header=BB56_4 Depth=1
	s_mul_u64 s[22:23], s[26:27], s[34:35]
	s_and_not1_b32 vcc_lo, exec_lo, s42
	s_wait_alu 0xfffe
	s_lshl_b64 s[22:23], s[22:23], 2
	s_wait_alu 0xfffe
	s_add_nc_u64 s[22:23], s[14:15], s[22:23]
	s_cbranch_vccnz .LBB56_16
; %bb.12:                               ;   in Loop: Header=BB56_4 Depth=1
	s_and_saveexec_b32 s25, s2
	s_cbranch_execz .LBB56_23
; %bb.13:                               ;   in Loop: Header=BB56_4 Depth=1
	v_lshlrev_b64_e32 v[8:9], 2, v[0:1]
	s_wait_alu 0xfffe
	s_delay_alu instid0(VALU_DEP_1) | instskip(SKIP_1) | instid1(VALU_DEP_2)
	v_add_co_u32 v8, vcc_lo, s22, v8
	s_wait_alu 0xfffd
	v_add_co_ci_u32_e64 v9, null, s23, v9, vcc_lo
	s_and_saveexec_b32 s28, s3
	s_cbranch_execnz .LBB56_17
; %bb.14:                               ;   in Loop: Header=BB56_4 Depth=1
	s_wait_alu 0xfffe
	s_or_b32 exec_lo, exec_lo, s28
	s_and_saveexec_b32 s28, s4
	s_cbranch_execnz .LBB56_18
.LBB56_15:                              ;   in Loop: Header=BB56_4 Depth=1
	s_wait_alu 0xfffe
	s_or_b32 exec_lo, exec_lo, s28
	s_delay_alu instid0(SALU_CYCLE_1)
	s_and_b32 exec_lo, exec_lo, s5
	s_cbranch_execnz .LBB56_19
	s_branch .LBB56_23
.LBB56_16:                              ;   in Loop: Header=BB56_4 Depth=1
	s_branch .LBB56_24
.LBB56_17:                              ;   in Loop: Header=BB56_4 Depth=1
	v_lshlrev_b64_e32 v[10:11], 2, v[2:3]
	v_mul_f32_e32 v24, s38, v23
	s_delay_alu instid0(VALU_DEP_2) | instskip(SKIP_1) | instid1(VALU_DEP_3)
	v_add_co_u32 v10, vcc_lo, v8, v10
	s_wait_alu 0xfffd
	v_add_co_ci_u32_e64 v11, null, v9, v11, vcc_lo
	global_store_b32 v[10:11], v24, off
	s_wait_alu 0xfffe
	s_or_b32 exec_lo, exec_lo, s28
	s_and_saveexec_b32 s28, s4
	s_cbranch_execz .LBB56_15
.LBB56_18:                              ;   in Loop: Header=BB56_4 Depth=1
	v_lshlrev_b64_e32 v[10:11], 2, v[2:3]
	v_mul_f32_e32 v24, s38, v22
	s_delay_alu instid0(VALU_DEP_2) | instskip(SKIP_1) | instid1(VALU_DEP_3)
	v_add_co_u32 v10, vcc_lo, v8, v10
	s_wait_alu 0xfffd
	v_add_co_ci_u32_e64 v11, null, v9, v11, vcc_lo
	global_store_b32 v[10:11], v24, off offset:64
	s_wait_alu 0xfffe
	s_or_b32 exec_lo, exec_lo, s28
	s_delay_alu instid0(SALU_CYCLE_1)
	s_and_b32 exec_lo, exec_lo, s5
	s_cbranch_execz .LBB56_23
.LBB56_19:                              ;   in Loop: Header=BB56_4 Depth=1
	s_lshl_b64 s[28:29], s[6:7], 2
	v_lshlrev_b64_e32 v[10:11], 2, v[2:3]
	s_wait_alu 0xfffe
	v_add_co_u32 v8, vcc_lo, v8, s28
	s_wait_alu 0xfffd
	v_add_co_ci_u32_e64 v9, null, s29, v9, vcc_lo
	s_delay_alu instid0(VALU_DEP_2) | instskip(SKIP_1) | instid1(VALU_DEP_2)
	v_add_co_u32 v8, vcc_lo, v8, v10
	s_wait_alu 0xfffd
	v_add_co_ci_u32_e64 v9, null, v9, v11, vcc_lo
	s_and_saveexec_b32 s28, s3
	s_cbranch_execz .LBB56_21
; %bb.20:                               ;   in Loop: Header=BB56_4 Depth=1
	v_mul_f32_e32 v10, s38, v21
	global_store_b32 v[8:9], v10, off
.LBB56_21:                              ;   in Loop: Header=BB56_4 Depth=1
	s_wait_alu 0xfffe
	s_or_b32 exec_lo, exec_lo, s28
	s_delay_alu instid0(SALU_CYCLE_1)
	s_and_b32 exec_lo, exec_lo, s4
	s_cbranch_execz .LBB56_23
; %bb.22:                               ;   in Loop: Header=BB56_4 Depth=1
	v_mul_f32_e32 v10, s38, v20
	global_store_b32 v[8:9], v10, off offset:64
.LBB56_23:                              ;   in Loop: Header=BB56_4 Depth=1
	s_wait_alu 0xfffe
	s_or_b32 exec_lo, exec_lo, s25
	s_cbranch_execnz .LBB56_3
.LBB56_24:                              ;   in Loop: Header=BB56_4 Depth=1
	s_and_saveexec_b32 s25, s2
	s_cbranch_execz .LBB56_2
; %bb.25:                               ;   in Loop: Header=BB56_4 Depth=1
	s_mul_u64 s[28:29], s[12:13], s[34:35]
	v_lshlrev_b64_e32 v[24:25], 2, v[0:1]
	s_wait_alu 0xfffe
	s_lshl_b64 s[28:29], s[28:29], 2
	v_lshlrev_b64_e32 v[8:9], 2, v[2:3]
	s_wait_alu 0xfffe
	v_add_co_u32 v10, vcc_lo, v18, s28
	s_wait_alu 0xfffd
	v_add_co_ci_u32_e64 v11, null, s29, v19, vcc_lo
	v_add_co_u32 v24, vcc_lo, s22, v24
	s_wait_alu 0xfffd
	v_add_co_ci_u32_e64 v25, null, s23, v25, vcc_lo
	s_and_saveexec_b32 s22, s3
	s_cbranch_execnz .LBB56_28
; %bb.26:                               ;   in Loop: Header=BB56_4 Depth=1
	s_wait_alu 0xfffe
	s_or_b32 exec_lo, exec_lo, s22
	s_and_saveexec_b32 s22, s4
	s_cbranch_execnz .LBB56_29
.LBB56_27:                              ;   in Loop: Header=BB56_4 Depth=1
	s_wait_alu 0xfffe
	s_or_b32 exec_lo, exec_lo, s22
	s_delay_alu instid0(SALU_CYCLE_1)
	s_and_b32 exec_lo, exec_lo, s5
	s_cbranch_execz .LBB56_2
	s_branch .LBB56_30
.LBB56_28:                              ;   in Loop: Header=BB56_4 Depth=1
	v_add_co_u32 v26, vcc_lo, v10, v8
	s_wait_alu 0xfffd
	v_add_co_ci_u32_e64 v27, null, v11, v9, vcc_lo
	global_load_b32 v26, v[26:27], off
	s_wait_loadcnt 0x0
	v_mul_f32_e32 v28, s39, v26
	v_add_co_u32 v26, vcc_lo, v24, v8
	s_wait_alu 0xfffd
	v_add_co_ci_u32_e64 v27, null, v25, v9, vcc_lo
	s_delay_alu instid0(VALU_DEP_3)
	v_fmac_f32_e32 v28, s38, v23
	global_store_b32 v[26:27], v28, off
	s_wait_alu 0xfffe
	s_or_b32 exec_lo, exec_lo, s22
	s_and_saveexec_b32 s22, s4
	s_cbranch_execz .LBB56_27
.LBB56_29:                              ;   in Loop: Header=BB56_4 Depth=1
	v_add_co_u32 v26, vcc_lo, v10, v8
	s_wait_alu 0xfffd
	v_add_co_ci_u32_e64 v27, null, v11, v9, vcc_lo
	global_load_b32 v23, v[26:27], off offset:64
	s_wait_loadcnt 0x0
	v_mul_f32_e32 v26, s39, v23
	s_delay_alu instid0(VALU_DEP_1)
	v_fmac_f32_e32 v26, s38, v22
	v_add_co_u32 v22, vcc_lo, v24, v8
	s_wait_alu 0xfffd
	v_add_co_ci_u32_e64 v23, null, v25, v9, vcc_lo
	global_store_b32 v[22:23], v26, off offset:64
	s_wait_alu 0xfffe
	s_or_b32 exec_lo, exec_lo, s22
	s_delay_alu instid0(SALU_CYCLE_1)
	s_and_b32 exec_lo, exec_lo, s5
	s_cbranch_execz .LBB56_2
.LBB56_30:                              ;   in Loop: Header=BB56_4 Depth=1
	v_add_co_u32 v10, vcc_lo, v10, s20
	s_lshl_b64 s[22:23], s[6:7], 2
	s_wait_alu 0xfffd
	v_add_co_ci_u32_e64 v11, null, s21, v11, vcc_lo
	s_wait_alu 0xfffe
	v_add_co_u32 v22, vcc_lo, v24, s22
	s_wait_alu 0xfffd
	v_add_co_ci_u32_e64 v23, null, s23, v25, vcc_lo
	v_add_co_u32 v10, vcc_lo, v10, v8
	s_wait_alu 0xfffd
	v_add_co_ci_u32_e64 v11, null, v11, v9, vcc_lo
	;; [unrolled: 3-line block ×3, first 2 shown]
	s_and_saveexec_b32 s22, s3
	s_cbranch_execz .LBB56_32
; %bb.31:                               ;   in Loop: Header=BB56_4 Depth=1
	global_load_b32 v22, v[10:11], off
	s_wait_loadcnt 0x0
	v_mul_f32_e32 v22, s39, v22
	s_delay_alu instid0(VALU_DEP_1)
	v_fmac_f32_e32 v22, s38, v21
	global_store_b32 v[8:9], v22, off
.LBB56_32:                              ;   in Loop: Header=BB56_4 Depth=1
	s_wait_alu 0xfffe
	s_or_b32 exec_lo, exec_lo, s22
	s_delay_alu instid0(SALU_CYCLE_1)
	s_and_b32 exec_lo, exec_lo, s4
	s_cbranch_execz .LBB56_2
; %bb.33:                               ;   in Loop: Header=BB56_4 Depth=1
	global_load_b32 v10, v[10:11], off offset:64
	s_wait_loadcnt 0x0
	v_mul_f32_e32 v10, s39, v10
	s_delay_alu instid0(VALU_DEP_1)
	v_fmac_f32_e32 v10, s38, v20
	global_store_b32 v[8:9], v10, off offset:64
	s_branch .LBB56_2
.LBB56_34:
	s_endpgm
	.section	.rodata,"a",@progbits
	.p2align	6, 0x0
	.amdhsa_kernel _ZN12_GLOBAL__N_135rocblas_gemm_batched_general_kernelIfLi16ELi16ELi32ELi32ELi8ELi32ELi8ELi8ELi32ELc78ELc67EKfS1_fEEvlllT_PT11_llS4_llS2_PT12_llPT13_lli
		.amdhsa_group_segment_fixed_size 2048
		.amdhsa_private_segment_fixed_size 0
		.amdhsa_kernarg_size 140
		.amdhsa_user_sgpr_count 2
		.amdhsa_user_sgpr_dispatch_ptr 0
		.amdhsa_user_sgpr_queue_ptr 0
		.amdhsa_user_sgpr_kernarg_segment_ptr 1
		.amdhsa_user_sgpr_dispatch_id 0
		.amdhsa_user_sgpr_private_segment_size 0
		.amdhsa_wavefront_size32 1
		.amdhsa_uses_dynamic_stack 0
		.amdhsa_enable_private_segment 0
		.amdhsa_system_sgpr_workgroup_id_x 1
		.amdhsa_system_sgpr_workgroup_id_y 1
		.amdhsa_system_sgpr_workgroup_id_z 1
		.amdhsa_system_sgpr_workgroup_info 0
		.amdhsa_system_vgpr_workitem_id 1
		.amdhsa_next_free_vgpr 52
		.amdhsa_next_free_sgpr 46
		.amdhsa_reserve_vcc 1
		.amdhsa_float_round_mode_32 0
		.amdhsa_float_round_mode_16_64 0
		.amdhsa_float_denorm_mode_32 3
		.amdhsa_float_denorm_mode_16_64 3
		.amdhsa_fp16_overflow 0
		.amdhsa_workgroup_processor_mode 1
		.amdhsa_memory_ordered 1
		.amdhsa_forward_progress 1
		.amdhsa_inst_pref_size 18
		.amdhsa_round_robin_scheduling 0
		.amdhsa_exception_fp_ieee_invalid_op 0
		.amdhsa_exception_fp_denorm_src 0
		.amdhsa_exception_fp_ieee_div_zero 0
		.amdhsa_exception_fp_ieee_overflow 0
		.amdhsa_exception_fp_ieee_underflow 0
		.amdhsa_exception_fp_ieee_inexact 0
		.amdhsa_exception_int_div_zero 0
	.end_amdhsa_kernel
	.section	.text._ZN12_GLOBAL__N_135rocblas_gemm_batched_general_kernelIfLi16ELi16ELi32ELi32ELi8ELi32ELi8ELi8ELi32ELc78ELc67EKfS1_fEEvlllT_PT11_llS4_llS2_PT12_llPT13_lli,"axG",@progbits,_ZN12_GLOBAL__N_135rocblas_gemm_batched_general_kernelIfLi16ELi16ELi32ELi32ELi8ELi32ELi8ELi8ELi32ELc78ELc67EKfS1_fEEvlllT_PT11_llS4_llS2_PT12_llPT13_lli,comdat
.Lfunc_end56:
	.size	_ZN12_GLOBAL__N_135rocblas_gemm_batched_general_kernelIfLi16ELi16ELi32ELi32ELi8ELi32ELi8ELi8ELi32ELc78ELc67EKfS1_fEEvlllT_PT11_llS4_llS2_PT12_llPT13_lli, .Lfunc_end56-_ZN12_GLOBAL__N_135rocblas_gemm_batched_general_kernelIfLi16ELi16ELi32ELi32ELi8ELi32ELi8ELi8ELi32ELc78ELc67EKfS1_fEEvlllT_PT11_llS4_llS2_PT12_llPT13_lli
                                        ; -- End function
	.set _ZN12_GLOBAL__N_135rocblas_gemm_batched_general_kernelIfLi16ELi16ELi32ELi32ELi8ELi32ELi8ELi8ELi32ELc78ELc67EKfS1_fEEvlllT_PT11_llS4_llS2_PT12_llPT13_lli.num_vgpr, 52
	.set _ZN12_GLOBAL__N_135rocblas_gemm_batched_general_kernelIfLi16ELi16ELi32ELi32ELi8ELi32ELi8ELi8ELi32ELc78ELc67EKfS1_fEEvlllT_PT11_llS4_llS2_PT12_llPT13_lli.num_agpr, 0
	.set _ZN12_GLOBAL__N_135rocblas_gemm_batched_general_kernelIfLi16ELi16ELi32ELi32ELi8ELi32ELi8ELi8ELi32ELc78ELc67EKfS1_fEEvlllT_PT11_llS4_llS2_PT12_llPT13_lli.numbered_sgpr, 46
	.set _ZN12_GLOBAL__N_135rocblas_gemm_batched_general_kernelIfLi16ELi16ELi32ELi32ELi8ELi32ELi8ELi8ELi32ELc78ELc67EKfS1_fEEvlllT_PT11_llS4_llS2_PT12_llPT13_lli.num_named_barrier, 0
	.set _ZN12_GLOBAL__N_135rocblas_gemm_batched_general_kernelIfLi16ELi16ELi32ELi32ELi8ELi32ELi8ELi8ELi32ELc78ELc67EKfS1_fEEvlllT_PT11_llS4_llS2_PT12_llPT13_lli.private_seg_size, 0
	.set _ZN12_GLOBAL__N_135rocblas_gemm_batched_general_kernelIfLi16ELi16ELi32ELi32ELi8ELi32ELi8ELi8ELi32ELc78ELc67EKfS1_fEEvlllT_PT11_llS4_llS2_PT12_llPT13_lli.uses_vcc, 1
	.set _ZN12_GLOBAL__N_135rocblas_gemm_batched_general_kernelIfLi16ELi16ELi32ELi32ELi8ELi32ELi8ELi8ELi32ELc78ELc67EKfS1_fEEvlllT_PT11_llS4_llS2_PT12_llPT13_lli.uses_flat_scratch, 0
	.set _ZN12_GLOBAL__N_135rocblas_gemm_batched_general_kernelIfLi16ELi16ELi32ELi32ELi8ELi32ELi8ELi8ELi32ELc78ELc67EKfS1_fEEvlllT_PT11_llS4_llS2_PT12_llPT13_lli.has_dyn_sized_stack, 0
	.set _ZN12_GLOBAL__N_135rocblas_gemm_batched_general_kernelIfLi16ELi16ELi32ELi32ELi8ELi32ELi8ELi8ELi32ELc78ELc67EKfS1_fEEvlllT_PT11_llS4_llS2_PT12_llPT13_lli.has_recursion, 0
	.set _ZN12_GLOBAL__N_135rocblas_gemm_batched_general_kernelIfLi16ELi16ELi32ELi32ELi8ELi32ELi8ELi8ELi32ELc78ELc67EKfS1_fEEvlllT_PT11_llS4_llS2_PT12_llPT13_lli.has_indirect_call, 0
	.section	.AMDGPU.csdata,"",@progbits
; Kernel info:
; codeLenInByte = 2236
; TotalNumSgprs: 48
; NumVgprs: 52
; ScratchSize: 0
; MemoryBound: 0
; FloatMode: 240
; IeeeMode: 1
; LDSByteSize: 2048 bytes/workgroup (compile time only)
; SGPRBlocks: 0
; VGPRBlocks: 6
; NumSGPRsForWavesPerEU: 48
; NumVGPRsForWavesPerEU: 52
; Occupancy: 16
; WaveLimiterHint : 0
; COMPUTE_PGM_RSRC2:SCRATCH_EN: 0
; COMPUTE_PGM_RSRC2:USER_SGPR: 2
; COMPUTE_PGM_RSRC2:TRAP_HANDLER: 0
; COMPUTE_PGM_RSRC2:TGID_X_EN: 1
; COMPUTE_PGM_RSRC2:TGID_Y_EN: 1
; COMPUTE_PGM_RSRC2:TGID_Z_EN: 1
; COMPUTE_PGM_RSRC2:TIDIG_COMP_CNT: 1
	.section	.text._ZN12_GLOBAL__N_135rocblas_gemm_batched_general_kernelIfLi16ELi16ELi32ELi32ELi8ELi32ELi8ELi8ELi32ELc84ELc67EKfS1_fEEvlllT_PT11_llS4_llS2_PT12_llPT13_lli,"axG",@progbits,_ZN12_GLOBAL__N_135rocblas_gemm_batched_general_kernelIfLi16ELi16ELi32ELi32ELi8ELi32ELi8ELi8ELi32ELc84ELc67EKfS1_fEEvlllT_PT11_llS4_llS2_PT12_llPT13_lli,comdat
	.globl	_ZN12_GLOBAL__N_135rocblas_gemm_batched_general_kernelIfLi16ELi16ELi32ELi32ELi8ELi32ELi8ELi8ELi32ELc84ELc67EKfS1_fEEvlllT_PT11_llS4_llS2_PT12_llPT13_lli ; -- Begin function _ZN12_GLOBAL__N_135rocblas_gemm_batched_general_kernelIfLi16ELi16ELi32ELi32ELi8ELi32ELi8ELi8ELi32ELc84ELc67EKfS1_fEEvlllT_PT11_llS4_llS2_PT12_llPT13_lli
	.p2align	8
	.type	_ZN12_GLOBAL__N_135rocblas_gemm_batched_general_kernelIfLi16ELi16ELi32ELi32ELi8ELi32ELi8ELi8ELi32ELc84ELc67EKfS1_fEEvlllT_PT11_llS4_llS2_PT12_llPT13_lli,@function
_ZN12_GLOBAL__N_135rocblas_gemm_batched_general_kernelIfLi16ELi16ELi32ELi32ELi8ELi32ELi8ELi8ELi32ELc84ELc67EKfS1_fEEvlllT_PT11_llS4_llS2_PT12_llPT13_lli: ; @_ZN12_GLOBAL__N_135rocblas_gemm_batched_general_kernelIfLi16ELi16ELi32ELi32ELi8ELi32ELi8ELi8ELi32ELc84ELc67EKfS1_fEEvlllT_PT11_llS4_llS2_PT12_llPT13_lli
; %bb.0:
	s_load_b32 s33, s[0:1], 0x88
	s_lshr_b32 s34, ttmp7, 16
	s_wait_kmcnt 0x0
	s_cmp_ge_i32 s34, s33
	s_cbranch_scc1 .LBB57_34
; %bb.1:
	v_bfe_u32 v2, v0, 10, 10
	v_and_b32_e32 v3, 0x3ff, v0
	s_clause 0x6
	s_load_b128 s[4:7], s[0:1], 0x0
	s_load_b96 s[36:38], s[0:1], 0x10
	s_load_b256 s[16:23], s[0:1], 0x20
	s_load_b128 s[28:31], s[0:1], 0x40
	s_load_b32 s39, s[0:1], 0x50
	s_load_b128 s[24:27], s[0:1], 0x78
	s_load_b256 s[8:15], s[0:1], 0x58
	s_mov_b32 s2, ttmp9
	s_ashr_i32 s3, ttmp9, 31
	v_lshl_add_u32 v1, v2, 4, v3
	v_and_b32_e32 v13, 7, v0
	s_lshl_b64 s[40:41], s[2:3], 5
	s_and_b32 s43, ttmp7, 0xffff
	s_delay_alu instid0(VALU_DEP_2)
	v_dual_mov_b32 v5, s41 :: v_dual_and_b32 v6, 31, v1
	v_lshrrev_b32_e32 v23, 3, v1
	v_lshlrev_b32_e32 v7, 2, v13
	s_lshl_b32 s2, s43, 5
	v_lshrrev_b32_e32 v12, 5, v1
	v_or_b32_e32 v4, s40, v6
	v_add_co_u32 v0, s0, v23, s2
	s_delay_alu instid0(VALU_DEP_1)
	v_add_co_ci_u32_e64 v1, null, 0, 0, s0
	v_lshl_or_b32 v7, v23, 5, v7
	s_wait_kmcnt 0x0
	v_cmp_gt_i64_e64 s0, s[4:5], v[4:5]
	v_add_co_u32 v5, s2, s2, v2
	v_mad_co_u64_u32 v[9:10], null, s28, v13, 0
	v_add_nc_u32_e32 v15, 0x400, v7
	s_delay_alu instid0(VALU_DEP_3)
	v_mad_co_u64_u32 v[7:8], null, v5, s10, 0
	v_cmp_gt_i64_e64 s1, s[6:7], v[0:1]
	v_mad_co_u64_u32 v[0:1], null, v5, s24, 0
	v_lshl_add_u32 v17, v2, 5, 0x400
	v_lshlrev_b32_e32 v6, 2, v6
	s_cmp_eq_f32 s39, 0
	v_mad_co_u64_u32 v[20:21], null, v5, s11, v[8:9]
	s_mov_b32 s35, 0
	s_cselect_b32 s42, -1, 0
	v_mov_b32_e32 v8, v20
	v_add_co_u32 v2, s3, s40, v3
	s_delay_alu instid0(VALU_DEP_2) | instskip(NEXT) | instid1(VALU_DEP_2)
	v_lshlrev_b64_e32 v[7:8], 2, v[7:8]
	v_mad_co_u64_u32 v[21:22], null, v5, s25, v[1:2]
	v_mov_b32_e32 v1, v10
	v_lshl_or_b32 v14, v12, 7, v6
	v_lshlrev_b32_e32 v16, 2, v3
	s_wait_alu 0xf1ff
	v_add_co_ci_u32_e64 v6, null, 0, 0, s2
	v_add_co_ci_u32_e64 v3, null, s41, 0, s3
	v_add_co_u32 v18, vcc_lo, v2, 16
	v_mad_co_u64_u32 v[10:11], null, s29, v13, v[1:2]
	s_delay_alu instid0(VALU_DEP_4) | instskip(NEXT) | instid1(VALU_DEP_4)
	v_cmp_gt_i64_e64 s2, s[6:7], v[5:6]
	v_add_co_ci_u32_e64 v19, null, 0, v3, vcc_lo
	v_add_co_u32 v5, vcc_lo, v5, 16
	s_wait_alu 0xfffd
	v_add_co_ci_u32_e64 v6, null, 0, v6, vcc_lo
	v_cmp_gt_i64_e64 s3, s[4:5], v[2:3]
	v_cmp_gt_i64_e64 s4, s[4:5], v[18:19]
	v_add_co_u32 v18, vcc_lo, s8, v7
	s_delay_alu instid0(VALU_DEP_4)
	v_cmp_gt_i64_e64 s5, s[6:7], v[5:6]
	s_wait_alu 0xfffd
	v_add_co_ci_u32_e64 v19, null, s9, v8, vcc_lo
	v_lshlrev_b64_e32 v[5:6], 2, v[9:10]
	v_mul_lo_u32 v9, s19, v4
	v_mad_co_u64_u32 v[7:8], null, s18, v4, 0
	s_lshl_b32 s8, s43, 7
	v_lshlrev_b32_e32 v4, 2, v23
	s_mul_i32 s9, s18, s41
	s_wait_alu 0xfffe
	v_add_co_u32 v5, vcc_lo, v5, s8
	s_wait_alu 0xfffd
	v_add_co_ci_u32_e64 v6, null, 0, v6, vcc_lo
	v_add3_u32 v8, v8, s9, v9
	s_delay_alu instid0(VALU_DEP_3) | instskip(SKIP_1) | instid1(VALU_DEP_3)
	v_add_co_u32 v4, vcc_lo, v5, v4
	s_wait_alu 0xfffd
	v_add_co_ci_u32_e64 v5, null, 0, v6, vcc_lo
	s_delay_alu instid0(VALU_DEP_3) | instskip(SKIP_4) | instid1(VALU_DEP_3)
	v_lshlrev_b64_e32 v[6:7], 2, v[7:8]
	v_lshlrev_b32_e32 v8, 2, v12
	v_add_co_u32 v4, vcc_lo, s22, v4
	s_wait_alu 0xfffd
	v_add_co_ci_u32_e64 v5, null, s23, v5, vcc_lo
	v_add_co_u32 v6, vcc_lo, v6, v8
	s_wait_alu 0xfffd
	v_add_co_ci_u32_e64 v7, null, 0, v7, vcc_lo
	v_cmp_gt_i64_e64 s22, s[36:37], 0
	s_delay_alu instid0(VALU_DEP_3)
	v_add_co_u32 v6, vcc_lo, s16, v6
	v_mov_b32_e32 v1, v21
	s_wait_alu 0xfffd
	v_add_co_ci_u32_e64 v7, null, s17, v7, vcc_lo
	s_lshl_b64 s[6:7], s[24:25], 4
	s_lshl_b64 s[24:25], s[10:11], 4
	;; [unrolled: 1-line block ×5, first 2 shown]
	s_wait_alu 0xfffe
	s_lshl_b64 s[18:19], s[24:25], 2
	s_branch .LBB57_4
.LBB57_2:                               ;   in Loop: Header=BB57_4 Depth=1
	s_wait_alu 0xfffe
	s_or_b32 exec_lo, exec_lo, s23
.LBB57_3:                               ;   in Loop: Header=BB57_4 Depth=1
	s_add_co_i32 s34, s34, 0x10000
	s_wait_alu 0xfffe
	s_cmp_lt_i32 s34, s33
	s_cbranch_scc0 .LBB57_34
.LBB57_4:                               ; =>This Loop Header: Depth=1
                                        ;     Child Loop BB57_7 Depth 2
	v_dual_mov_b32 v23, 0 :: v_dual_mov_b32 v22, 0
	v_dual_mov_b32 v21, 0 :: v_dual_mov_b32 v20, 0
	s_and_not1_b32 vcc_lo, exec_lo, s22
	s_wait_alu 0xfffe
	s_cbranch_vccnz .LBB57_11
; %bb.5:                                ;   in Loop: Header=BB57_4 Depth=1
	v_mad_co_u64_u32 v[8:9], null, s8, s34, v[4:5]
	v_mad_co_u64_u32 v[10:11], null, s16, s34, v[6:7]
	v_dual_mov_b32 v20, 0 :: v_dual_mov_b32 v21, 0
	s_mov_b64 s[20:21], 0
	s_delay_alu instid0(VALU_DEP_2) | instskip(NEXT) | instid1(VALU_DEP_3)
	v_mad_co_u64_u32 v[23:24], null, s9, s34, v[9:10]
	v_mad_co_u64_u32 v[24:25], null, s17, s34, v[11:12]
	s_delay_alu instid0(VALU_DEP_2) | instskip(SKIP_1) | instid1(VALU_DEP_3)
	v_dual_mov_b32 v22, 0 :: v_dual_mov_b32 v9, v23
	v_mov_b32_e32 v23, 0
	v_mov_b32_e32 v11, v24
	s_branch .LBB57_7
.LBB57_6:                               ;   in Loop: Header=BB57_7 Depth=2
	s_wait_alu 0xfffe
	s_or_b32 exec_lo, exec_lo, s23
	s_wait_loadcnt 0x0
	ds_store_b32 v15, v25
	s_wait_dscnt 0x0
	s_barrier_signal -1
	s_barrier_wait -1
	global_inv scope:SCOPE_SE
	ds_load_b128 v[24:27], v17
	ds_load_2addr_b32 v[40:41], v16 offset1:16
	ds_load_b128 v[28:31], v17 offset:512
	ds_load_2addr_b32 v[42:43], v16 offset0:32 offset1:48
	ds_load_2addr_b32 v[44:45], v16 offset0:64 offset1:80
	;; [unrolled: 1-line block ×3, first 2 shown]
	ds_load_b128 v[32:35], v17 offset:16
	ds_load_2addr_b32 v[48:49], v16 offset0:128 offset1:144
	ds_load_b128 v[36:39], v17 offset:528
	ds_load_2addr_b32 v[50:51], v16 offset0:160 offset1:176
	s_add_nc_u64 s[20:21], s[20:21], 8
	v_add_co_u32 v8, vcc_lo, v8, s10
	s_wait_alu 0xfffe
	v_cmp_lt_i64_e64 s23, s[20:21], s[36:37]
	s_wait_alu 0xfffd
	v_add_co_ci_u32_e64 v9, null, s11, v9, vcc_lo
	v_add_co_u32 v10, vcc_lo, v10, 32
	s_wait_alu 0xfffd
	v_add_co_ci_u32_e64 v11, null, 0, v11, vcc_lo
	s_and_b32 vcc_lo, exec_lo, s23
	s_wait_dscnt 0x8
	v_fmac_f32_e32 v22, v41, v24
	v_fmac_f32_e32 v23, v40, v24
	s_wait_dscnt 0x7
	v_fmac_f32_e32 v20, v41, v28
	v_fmac_f32_e32 v21, v40, v28
	ds_load_2addr_b32 v[40:41], v16 offset0:192 offset1:208
	s_wait_dscnt 0x7
	v_fmac_f32_e32 v22, v43, v25
	v_fmac_f32_e32 v23, v42, v25
	;; [unrolled: 1-line block ×4, first 2 shown]
	ds_load_2addr_b32 v[24:25], v16 offset0:224 offset1:240
	s_wait_dscnt 0x7
	v_fmac_f32_e32 v22, v45, v26
	v_fmac_f32_e32 v23, v44, v26
	;; [unrolled: 1-line block ×4, first 2 shown]
	s_wait_loadcnt_dscnt 0x0
	v_fmac_f32_e32 v22, v47, v27
	v_fmac_f32_e32 v23, v46, v27
	;; [unrolled: 1-line block ×4, first 2 shown]
	s_barrier_signal -1
	v_fmac_f32_e32 v22, v49, v32
	v_fmac_f32_e32 v23, v48, v32
	;; [unrolled: 1-line block ×4, first 2 shown]
	s_barrier_wait -1
	v_fmac_f32_e32 v22, v51, v33
	v_fmac_f32_e32 v23, v50, v33
	;; [unrolled: 1-line block ×4, first 2 shown]
	global_inv scope:SCOPE_SE
	v_fmac_f32_e32 v22, v41, v34
	v_fmac_f32_e32 v23, v40, v34
	;; [unrolled: 1-line block ×3, first 2 shown]
	s_delay_alu instid0(VALU_DEP_3) | instskip(NEXT) | instid1(VALU_DEP_3)
	v_dual_fmac_f32 v21, v40, v38 :: v_dual_fmac_f32 v22, v25, v35
	v_fmac_f32_e32 v23, v24, v35
	s_delay_alu instid0(VALU_DEP_3) | instskip(NEXT) | instid1(VALU_DEP_3)
	v_fmac_f32_e32 v20, v25, v39
	v_fmac_f32_e32 v21, v24, v39
	s_wait_alu 0xfffe
	s_cbranch_vccz .LBB57_11
.LBB57_7:                               ;   Parent Loop BB57_4 Depth=1
                                        ; =>  This Inner Loop Header: Depth=2
	s_wait_alu 0xfffe
	v_add_co_u32 v24, s23, v12, s20
	s_wait_alu 0xf1ff
	v_add_co_ci_u32_e64 v25, null, 0, s21, s23
	s_delay_alu instid0(VALU_DEP_1)
	v_cmp_gt_i64_e32 vcc_lo, s[36:37], v[24:25]
	v_mov_b32_e32 v24, 0
	s_and_b32 s24, s0, vcc_lo
	s_wait_alu 0xfffe
	s_and_saveexec_b32 s23, s24
	s_cbranch_execz .LBB57_9
; %bb.8:                                ;   in Loop: Header=BB57_7 Depth=2
	global_load_b32 v24, v[10:11], off
.LBB57_9:                               ;   in Loop: Header=BB57_7 Depth=2
	s_wait_alu 0xfffe
	s_or_b32 exec_lo, exec_lo, s23
	v_add_co_u32 v25, s23, v13, s20
	s_wait_alu 0xf1ff
	v_add_co_ci_u32_e64 v26, null, 0, s21, s23
	s_wait_loadcnt 0x0
	ds_store_b32 v14, v24
	v_cmp_gt_i64_e32 vcc_lo, s[36:37], v[25:26]
	v_mov_b32_e32 v25, 0
	s_and_b32 s24, vcc_lo, s1
	s_wait_alu 0xfffe
	s_and_saveexec_b32 s23, s24
	s_cbranch_execz .LBB57_6
; %bb.10:                               ;   in Loop: Header=BB57_7 Depth=2
	global_load_b32 v25, v[8:9], off
	s_branch .LBB57_6
.LBB57_11:                              ;   in Loop: Header=BB57_4 Depth=1
	s_mul_u64 s[20:21], s[26:27], s[34:35]
	s_and_not1_b32 vcc_lo, exec_lo, s42
	s_wait_alu 0xfffe
	s_lshl_b64 s[20:21], s[20:21], 2
	s_wait_alu 0xfffe
	s_add_nc_u64 s[20:21], s[14:15], s[20:21]
	s_cbranch_vccnz .LBB57_16
; %bb.12:                               ;   in Loop: Header=BB57_4 Depth=1
	s_and_saveexec_b32 s23, s2
	s_cbranch_execz .LBB57_23
; %bb.13:                               ;   in Loop: Header=BB57_4 Depth=1
	v_lshlrev_b64_e32 v[8:9], 2, v[0:1]
	s_wait_alu 0xfffe
	s_delay_alu instid0(VALU_DEP_1) | instskip(SKIP_1) | instid1(VALU_DEP_2)
	v_add_co_u32 v8, vcc_lo, s20, v8
	s_wait_alu 0xfffd
	v_add_co_ci_u32_e64 v9, null, s21, v9, vcc_lo
	s_and_saveexec_b32 s24, s3
	s_cbranch_execnz .LBB57_17
; %bb.14:                               ;   in Loop: Header=BB57_4 Depth=1
	s_wait_alu 0xfffe
	s_or_b32 exec_lo, exec_lo, s24
	s_and_saveexec_b32 s24, s4
	s_cbranch_execnz .LBB57_18
.LBB57_15:                              ;   in Loop: Header=BB57_4 Depth=1
	s_wait_alu 0xfffe
	s_or_b32 exec_lo, exec_lo, s24
	s_delay_alu instid0(SALU_CYCLE_1)
	s_and_b32 exec_lo, exec_lo, s5
	s_cbranch_execnz .LBB57_19
	s_branch .LBB57_23
.LBB57_16:                              ;   in Loop: Header=BB57_4 Depth=1
	s_branch .LBB57_24
.LBB57_17:                              ;   in Loop: Header=BB57_4 Depth=1
	v_lshlrev_b64_e32 v[10:11], 2, v[2:3]
	v_mul_f32_e32 v24, s38, v23
	s_delay_alu instid0(VALU_DEP_2) | instskip(SKIP_1) | instid1(VALU_DEP_3)
	v_add_co_u32 v10, vcc_lo, v8, v10
	s_wait_alu 0xfffd
	v_add_co_ci_u32_e64 v11, null, v9, v11, vcc_lo
	global_store_b32 v[10:11], v24, off
	s_wait_alu 0xfffe
	s_or_b32 exec_lo, exec_lo, s24
	s_and_saveexec_b32 s24, s4
	s_cbranch_execz .LBB57_15
.LBB57_18:                              ;   in Loop: Header=BB57_4 Depth=1
	v_lshlrev_b64_e32 v[10:11], 2, v[2:3]
	v_mul_f32_e32 v24, s38, v22
	s_delay_alu instid0(VALU_DEP_2) | instskip(SKIP_1) | instid1(VALU_DEP_3)
	v_add_co_u32 v10, vcc_lo, v8, v10
	s_wait_alu 0xfffd
	v_add_co_ci_u32_e64 v11, null, v9, v11, vcc_lo
	global_store_b32 v[10:11], v24, off offset:64
	s_wait_alu 0xfffe
	s_or_b32 exec_lo, exec_lo, s24
	s_delay_alu instid0(SALU_CYCLE_1)
	s_and_b32 exec_lo, exec_lo, s5
	s_cbranch_execz .LBB57_23
.LBB57_19:                              ;   in Loop: Header=BB57_4 Depth=1
	s_lshl_b64 s[24:25], s[6:7], 2
	v_lshlrev_b64_e32 v[10:11], 2, v[2:3]
	s_wait_alu 0xfffe
	v_add_co_u32 v8, vcc_lo, v8, s24
	s_wait_alu 0xfffd
	v_add_co_ci_u32_e64 v9, null, s25, v9, vcc_lo
	s_delay_alu instid0(VALU_DEP_2) | instskip(SKIP_1) | instid1(VALU_DEP_2)
	v_add_co_u32 v8, vcc_lo, v8, v10
	s_wait_alu 0xfffd
	v_add_co_ci_u32_e64 v9, null, v9, v11, vcc_lo
	s_and_saveexec_b32 s24, s3
	s_cbranch_execz .LBB57_21
; %bb.20:                               ;   in Loop: Header=BB57_4 Depth=1
	v_mul_f32_e32 v10, s38, v21
	global_store_b32 v[8:9], v10, off
.LBB57_21:                              ;   in Loop: Header=BB57_4 Depth=1
	s_wait_alu 0xfffe
	s_or_b32 exec_lo, exec_lo, s24
	s_delay_alu instid0(SALU_CYCLE_1)
	s_and_b32 exec_lo, exec_lo, s4
	s_cbranch_execz .LBB57_23
; %bb.22:                               ;   in Loop: Header=BB57_4 Depth=1
	v_mul_f32_e32 v10, s38, v20
	global_store_b32 v[8:9], v10, off offset:64
.LBB57_23:                              ;   in Loop: Header=BB57_4 Depth=1
	s_wait_alu 0xfffe
	s_or_b32 exec_lo, exec_lo, s23
	s_cbranch_execnz .LBB57_3
.LBB57_24:                              ;   in Loop: Header=BB57_4 Depth=1
	s_and_saveexec_b32 s23, s2
	s_cbranch_execz .LBB57_2
; %bb.25:                               ;   in Loop: Header=BB57_4 Depth=1
	s_mul_u64 s[24:25], s[12:13], s[34:35]
	v_lshlrev_b64_e32 v[24:25], 2, v[0:1]
	s_wait_alu 0xfffe
	s_lshl_b64 s[24:25], s[24:25], 2
	v_lshlrev_b64_e32 v[8:9], 2, v[2:3]
	s_wait_alu 0xfffe
	v_add_co_u32 v10, vcc_lo, v18, s24
	s_wait_alu 0xfffd
	v_add_co_ci_u32_e64 v11, null, s25, v19, vcc_lo
	v_add_co_u32 v24, vcc_lo, s20, v24
	s_wait_alu 0xfffd
	v_add_co_ci_u32_e64 v25, null, s21, v25, vcc_lo
	s_and_saveexec_b32 s20, s3
	s_cbranch_execnz .LBB57_28
; %bb.26:                               ;   in Loop: Header=BB57_4 Depth=1
	s_wait_alu 0xfffe
	s_or_b32 exec_lo, exec_lo, s20
	s_and_saveexec_b32 s20, s4
	s_cbranch_execnz .LBB57_29
.LBB57_27:                              ;   in Loop: Header=BB57_4 Depth=1
	s_wait_alu 0xfffe
	s_or_b32 exec_lo, exec_lo, s20
	s_delay_alu instid0(SALU_CYCLE_1)
	s_and_b32 exec_lo, exec_lo, s5
	s_cbranch_execz .LBB57_2
	s_branch .LBB57_30
.LBB57_28:                              ;   in Loop: Header=BB57_4 Depth=1
	v_add_co_u32 v26, vcc_lo, v10, v8
	s_wait_alu 0xfffd
	v_add_co_ci_u32_e64 v27, null, v11, v9, vcc_lo
	global_load_b32 v26, v[26:27], off
	s_wait_loadcnt 0x0
	v_mul_f32_e32 v28, s39, v26
	v_add_co_u32 v26, vcc_lo, v24, v8
	s_wait_alu 0xfffd
	v_add_co_ci_u32_e64 v27, null, v25, v9, vcc_lo
	s_delay_alu instid0(VALU_DEP_3)
	v_fmac_f32_e32 v28, s38, v23
	global_store_b32 v[26:27], v28, off
	s_wait_alu 0xfffe
	s_or_b32 exec_lo, exec_lo, s20
	s_and_saveexec_b32 s20, s4
	s_cbranch_execz .LBB57_27
.LBB57_29:                              ;   in Loop: Header=BB57_4 Depth=1
	v_add_co_u32 v26, vcc_lo, v10, v8
	s_wait_alu 0xfffd
	v_add_co_ci_u32_e64 v27, null, v11, v9, vcc_lo
	global_load_b32 v23, v[26:27], off offset:64
	s_wait_loadcnt 0x0
	v_mul_f32_e32 v26, s39, v23
	s_delay_alu instid0(VALU_DEP_1)
	v_fmac_f32_e32 v26, s38, v22
	v_add_co_u32 v22, vcc_lo, v24, v8
	s_wait_alu 0xfffd
	v_add_co_ci_u32_e64 v23, null, v25, v9, vcc_lo
	global_store_b32 v[22:23], v26, off offset:64
	s_wait_alu 0xfffe
	s_or_b32 exec_lo, exec_lo, s20
	s_delay_alu instid0(SALU_CYCLE_1)
	s_and_b32 exec_lo, exec_lo, s5
	s_cbranch_execz .LBB57_2
.LBB57_30:                              ;   in Loop: Header=BB57_4 Depth=1
	v_add_co_u32 v10, vcc_lo, v10, s18
	s_lshl_b64 s[20:21], s[6:7], 2
	s_wait_alu 0xfffd
	v_add_co_ci_u32_e64 v11, null, s19, v11, vcc_lo
	s_wait_alu 0xfffe
	v_add_co_u32 v22, vcc_lo, v24, s20
	s_wait_alu 0xfffd
	v_add_co_ci_u32_e64 v23, null, s21, v25, vcc_lo
	v_add_co_u32 v10, vcc_lo, v10, v8
	s_wait_alu 0xfffd
	v_add_co_ci_u32_e64 v11, null, v11, v9, vcc_lo
	;; [unrolled: 3-line block ×3, first 2 shown]
	s_and_saveexec_b32 s20, s3
	s_cbranch_execz .LBB57_32
; %bb.31:                               ;   in Loop: Header=BB57_4 Depth=1
	global_load_b32 v22, v[10:11], off
	s_wait_loadcnt 0x0
	v_mul_f32_e32 v22, s39, v22
	s_delay_alu instid0(VALU_DEP_1)
	v_fmac_f32_e32 v22, s38, v21
	global_store_b32 v[8:9], v22, off
.LBB57_32:                              ;   in Loop: Header=BB57_4 Depth=1
	s_wait_alu 0xfffe
	s_or_b32 exec_lo, exec_lo, s20
	s_delay_alu instid0(SALU_CYCLE_1)
	s_and_b32 exec_lo, exec_lo, s4
	s_cbranch_execz .LBB57_2
; %bb.33:                               ;   in Loop: Header=BB57_4 Depth=1
	global_load_b32 v10, v[10:11], off offset:64
	s_wait_loadcnt 0x0
	v_mul_f32_e32 v10, s39, v10
	s_delay_alu instid0(VALU_DEP_1)
	v_fmac_f32_e32 v10, s38, v20
	global_store_b32 v[8:9], v10, off offset:64
	s_branch .LBB57_2
.LBB57_34:
	s_endpgm
	.section	.rodata,"a",@progbits
	.p2align	6, 0x0
	.amdhsa_kernel _ZN12_GLOBAL__N_135rocblas_gemm_batched_general_kernelIfLi16ELi16ELi32ELi32ELi8ELi32ELi8ELi8ELi32ELc84ELc67EKfS1_fEEvlllT_PT11_llS4_llS2_PT12_llPT13_lli
		.amdhsa_group_segment_fixed_size 2048
		.amdhsa_private_segment_fixed_size 0
		.amdhsa_kernarg_size 140
		.amdhsa_user_sgpr_count 2
		.amdhsa_user_sgpr_dispatch_ptr 0
		.amdhsa_user_sgpr_queue_ptr 0
		.amdhsa_user_sgpr_kernarg_segment_ptr 1
		.amdhsa_user_sgpr_dispatch_id 0
		.amdhsa_user_sgpr_private_segment_size 0
		.amdhsa_wavefront_size32 1
		.amdhsa_uses_dynamic_stack 0
		.amdhsa_enable_private_segment 0
		.amdhsa_system_sgpr_workgroup_id_x 1
		.amdhsa_system_sgpr_workgroup_id_y 1
		.amdhsa_system_sgpr_workgroup_id_z 1
		.amdhsa_system_sgpr_workgroup_info 0
		.amdhsa_system_vgpr_workitem_id 1
		.amdhsa_next_free_vgpr 52
		.amdhsa_next_free_sgpr 44
		.amdhsa_reserve_vcc 1
		.amdhsa_float_round_mode_32 0
		.amdhsa_float_round_mode_16_64 0
		.amdhsa_float_denorm_mode_32 3
		.amdhsa_float_denorm_mode_16_64 3
		.amdhsa_fp16_overflow 0
		.amdhsa_workgroup_processor_mode 1
		.amdhsa_memory_ordered 1
		.amdhsa_forward_progress 1
		.amdhsa_inst_pref_size 18
		.amdhsa_round_robin_scheduling 0
		.amdhsa_exception_fp_ieee_invalid_op 0
		.amdhsa_exception_fp_denorm_src 0
		.amdhsa_exception_fp_ieee_div_zero 0
		.amdhsa_exception_fp_ieee_overflow 0
		.amdhsa_exception_fp_ieee_underflow 0
		.amdhsa_exception_fp_ieee_inexact 0
		.amdhsa_exception_int_div_zero 0
	.end_amdhsa_kernel
	.section	.text._ZN12_GLOBAL__N_135rocblas_gemm_batched_general_kernelIfLi16ELi16ELi32ELi32ELi8ELi32ELi8ELi8ELi32ELc84ELc67EKfS1_fEEvlllT_PT11_llS4_llS2_PT12_llPT13_lli,"axG",@progbits,_ZN12_GLOBAL__N_135rocblas_gemm_batched_general_kernelIfLi16ELi16ELi32ELi32ELi8ELi32ELi8ELi8ELi32ELc84ELc67EKfS1_fEEvlllT_PT11_llS4_llS2_PT12_llPT13_lli,comdat
.Lfunc_end57:
	.size	_ZN12_GLOBAL__N_135rocblas_gemm_batched_general_kernelIfLi16ELi16ELi32ELi32ELi8ELi32ELi8ELi8ELi32ELc84ELc67EKfS1_fEEvlllT_PT11_llS4_llS2_PT12_llPT13_lli, .Lfunc_end57-_ZN12_GLOBAL__N_135rocblas_gemm_batched_general_kernelIfLi16ELi16ELi32ELi32ELi8ELi32ELi8ELi8ELi32ELc84ELc67EKfS1_fEEvlllT_PT11_llS4_llS2_PT12_llPT13_lli
                                        ; -- End function
	.set _ZN12_GLOBAL__N_135rocblas_gemm_batched_general_kernelIfLi16ELi16ELi32ELi32ELi8ELi32ELi8ELi8ELi32ELc84ELc67EKfS1_fEEvlllT_PT11_llS4_llS2_PT12_llPT13_lli.num_vgpr, 52
	.set _ZN12_GLOBAL__N_135rocblas_gemm_batched_general_kernelIfLi16ELi16ELi32ELi32ELi8ELi32ELi8ELi8ELi32ELc84ELc67EKfS1_fEEvlllT_PT11_llS4_llS2_PT12_llPT13_lli.num_agpr, 0
	.set _ZN12_GLOBAL__N_135rocblas_gemm_batched_general_kernelIfLi16ELi16ELi32ELi32ELi8ELi32ELi8ELi8ELi32ELc84ELc67EKfS1_fEEvlllT_PT11_llS4_llS2_PT12_llPT13_lli.numbered_sgpr, 44
	.set _ZN12_GLOBAL__N_135rocblas_gemm_batched_general_kernelIfLi16ELi16ELi32ELi32ELi8ELi32ELi8ELi8ELi32ELc84ELc67EKfS1_fEEvlllT_PT11_llS4_llS2_PT12_llPT13_lli.num_named_barrier, 0
	.set _ZN12_GLOBAL__N_135rocblas_gemm_batched_general_kernelIfLi16ELi16ELi32ELi32ELi8ELi32ELi8ELi8ELi32ELc84ELc67EKfS1_fEEvlllT_PT11_llS4_llS2_PT12_llPT13_lli.private_seg_size, 0
	.set _ZN12_GLOBAL__N_135rocblas_gemm_batched_general_kernelIfLi16ELi16ELi32ELi32ELi8ELi32ELi8ELi8ELi32ELc84ELc67EKfS1_fEEvlllT_PT11_llS4_llS2_PT12_llPT13_lli.uses_vcc, 1
	.set _ZN12_GLOBAL__N_135rocblas_gemm_batched_general_kernelIfLi16ELi16ELi32ELi32ELi8ELi32ELi8ELi8ELi32ELc84ELc67EKfS1_fEEvlllT_PT11_llS4_llS2_PT12_llPT13_lli.uses_flat_scratch, 0
	.set _ZN12_GLOBAL__N_135rocblas_gemm_batched_general_kernelIfLi16ELi16ELi32ELi32ELi8ELi32ELi8ELi8ELi32ELc84ELc67EKfS1_fEEvlllT_PT11_llS4_llS2_PT12_llPT13_lli.has_dyn_sized_stack, 0
	.set _ZN12_GLOBAL__N_135rocblas_gemm_batched_general_kernelIfLi16ELi16ELi32ELi32ELi8ELi32ELi8ELi8ELi32ELc84ELc67EKfS1_fEEvlllT_PT11_llS4_llS2_PT12_llPT13_lli.has_recursion, 0
	.set _ZN12_GLOBAL__N_135rocblas_gemm_batched_general_kernelIfLi16ELi16ELi32ELi32ELi8ELi32ELi8ELi8ELi32ELc84ELc67EKfS1_fEEvlllT_PT11_llS4_llS2_PT12_llPT13_lli.has_indirect_call, 0
	.section	.AMDGPU.csdata,"",@progbits
; Kernel info:
; codeLenInByte = 2216
; TotalNumSgprs: 46
; NumVgprs: 52
; ScratchSize: 0
; MemoryBound: 0
; FloatMode: 240
; IeeeMode: 1
; LDSByteSize: 2048 bytes/workgroup (compile time only)
; SGPRBlocks: 0
; VGPRBlocks: 6
; NumSGPRsForWavesPerEU: 46
; NumVGPRsForWavesPerEU: 52
; Occupancy: 16
; WaveLimiterHint : 0
; COMPUTE_PGM_RSRC2:SCRATCH_EN: 0
; COMPUTE_PGM_RSRC2:USER_SGPR: 2
; COMPUTE_PGM_RSRC2:TRAP_HANDLER: 0
; COMPUTE_PGM_RSRC2:TGID_X_EN: 1
; COMPUTE_PGM_RSRC2:TGID_Y_EN: 1
; COMPUTE_PGM_RSRC2:TGID_Z_EN: 1
; COMPUTE_PGM_RSRC2:TIDIG_COMP_CNT: 1
	.section	.text._ZN12_GLOBAL__N_125rocblas_gemm_scale_kernelILi32ELi32EdPdEEviiT1_T2_llli,"axG",@progbits,_ZN12_GLOBAL__N_125rocblas_gemm_scale_kernelILi32ELi32EdPdEEviiT1_T2_llli,comdat
	.globl	_ZN12_GLOBAL__N_125rocblas_gemm_scale_kernelILi32ELi32EdPdEEviiT1_T2_llli ; -- Begin function _ZN12_GLOBAL__N_125rocblas_gemm_scale_kernelILi32ELi32EdPdEEviiT1_T2_llli
	.p2align	8
	.type	_ZN12_GLOBAL__N_125rocblas_gemm_scale_kernelILi32ELi32EdPdEEviiT1_T2_llli,@function
_ZN12_GLOBAL__N_125rocblas_gemm_scale_kernelILi32ELi32EdPdEEviiT1_T2_llli: ; @_ZN12_GLOBAL__N_125rocblas_gemm_scale_kernelILi32ELi32EdPdEEviiT1_T2_llli
; %bb.0:
	s_load_b32 s14, s[0:1], 0x30
	s_lshr_b32 s2, ttmp7, 16
	s_wait_kmcnt 0x0
	s_cmp_ge_u32 s2, s14
	s_cbranch_scc1 .LBB58_8
; %bb.1:
	s_load_b256 s[4:11], s[0:1], 0x8
	v_bfe_u32 v1, v0, 10, 10
	s_and_b32 s3, ttmp7, 0xffff
	s_clause 0x1
	s_load_b64 s[16:17], s[0:1], 0x0
	s_load_b64 s[12:13], s[0:1], 0x28
	v_mov_b32_e32 v5, 0
	v_lshl_add_u32 v6, s3, 5, v1
	s_mov_b32 s3, 0
	s_wait_kmcnt 0x0
	s_delay_alu instid0(VALU_DEP_1) | instskip(SKIP_1) | instid1(VALU_DEP_2)
	v_mad_co_u64_u32 v[2:3], null, s10, v6, 0
	v_cmp_gt_u32_e64 s0, s17, v6
	v_mov_b32_e32 v1, v3
	v_and_b32_e32 v3, 0x3ff, v0
	s_delay_alu instid0(VALU_DEP_2)
	v_mad_co_u64_u32 v[0:1], null, s11, v6, v[1:2]
	s_lshl_b64 s[10:11], s[8:9], 3
	v_cmp_neq_f64_e64 s8, s[4:5], 0
	v_lshl_add_u32 v4, ttmp9, 5, v3
	s_wait_alu 0xfffe
	s_add_nc_u64 s[6:7], s[6:7], s[10:11]
	v_mov_b32_e32 v3, v0
	s_delay_alu instid0(VALU_DEP_2) | instskip(SKIP_1) | instid1(VALU_DEP_3)
	v_cmp_gt_u32_e32 vcc_lo, s16, v4
	v_lshlrev_b64_e32 v[0:1], 3, v[4:5]
	v_lshlrev_b64_e32 v[2:3], 3, v[2:3]
	s_and_b32 s9, vcc_lo, s0
	s_branch .LBB58_5
.LBB58_2:                               ;   in Loop: Header=BB58_5 Depth=1
	s_wait_alu 0xfffe
	v_add_co_u32 v4, vcc_lo, s0, v2
	s_wait_alu 0xfffd
	v_add_co_ci_u32_e64 v5, null, s1, v3, vcc_lo
	s_delay_alu instid0(VALU_DEP_2) | instskip(SKIP_1) | instid1(VALU_DEP_2)
	v_add_co_u32 v4, vcc_lo, v4, v0
	s_wait_alu 0xfffd
	v_add_co_ci_u32_e64 v5, null, v5, v1, vcc_lo
	global_load_b64 v[4:5], v[4:5], off
	s_wait_loadcnt 0x0
	v_mul_f64_e32 v[4:5], s[4:5], v[4:5]
.LBB58_3:                               ;   in Loop: Header=BB58_5 Depth=1
	s_wait_alu 0xfffe
	v_add_co_u32 v6, vcc_lo, s0, v2
	s_wait_alu 0xfffd
	v_add_co_ci_u32_e64 v7, null, s1, v3, vcc_lo
	s_delay_alu instid0(VALU_DEP_2) | instskip(SKIP_1) | instid1(VALU_DEP_2)
	v_add_co_u32 v6, vcc_lo, v6, v0
	s_wait_alu 0xfffd
	v_add_co_ci_u32_e64 v7, null, v7, v1, vcc_lo
	global_store_b64 v[6:7], v[4:5], off
.LBB58_4:                               ;   in Loop: Header=BB58_5 Depth=1
	s_wait_alu 0xfffe
	s_or_b32 exec_lo, exec_lo, s10
	s_add_co_i32 s2, s2, 0x10000
	s_wait_alu 0xfffe
	s_cmp_lt_u32 s2, s14
	s_cbranch_scc0 .LBB58_8
.LBB58_5:                               ; =>This Inner Loop Header: Depth=1
	s_and_saveexec_b32 s10, s9
	s_cbranch_execz .LBB58_4
; %bb.6:                                ;   in Loop: Header=BB58_5 Depth=1
	s_mul_u64 s[0:1], s[12:13], s[2:3]
	s_and_not1_b32 vcc_lo, exec_lo, s8
	s_wait_alu 0xfffe
	s_lshl_b64 s[0:1], s[0:1], 3
	s_wait_alu 0xfffe
	s_add_nc_u64 s[0:1], s[6:7], s[0:1]
	s_cbranch_vccz .LBB58_2
; %bb.7:                                ;   in Loop: Header=BB58_5 Depth=1
	v_mov_b32_e32 v4, 0
	v_mov_b32_e32 v5, 0
	s_branch .LBB58_3
.LBB58_8:
	s_endpgm
	.section	.rodata,"a",@progbits
	.p2align	6, 0x0
	.amdhsa_kernel _ZN12_GLOBAL__N_125rocblas_gemm_scale_kernelILi32ELi32EdPdEEviiT1_T2_llli
		.amdhsa_group_segment_fixed_size 0
		.amdhsa_private_segment_fixed_size 0
		.amdhsa_kernarg_size 52
		.amdhsa_user_sgpr_count 2
		.amdhsa_user_sgpr_dispatch_ptr 0
		.amdhsa_user_sgpr_queue_ptr 0
		.amdhsa_user_sgpr_kernarg_segment_ptr 1
		.amdhsa_user_sgpr_dispatch_id 0
		.amdhsa_user_sgpr_private_segment_size 0
		.amdhsa_wavefront_size32 1
		.amdhsa_uses_dynamic_stack 0
		.amdhsa_enable_private_segment 0
		.amdhsa_system_sgpr_workgroup_id_x 1
		.amdhsa_system_sgpr_workgroup_id_y 1
		.amdhsa_system_sgpr_workgroup_id_z 1
		.amdhsa_system_sgpr_workgroup_info 0
		.amdhsa_system_vgpr_workitem_id 1
		.amdhsa_next_free_vgpr 8
		.amdhsa_next_free_sgpr 18
		.amdhsa_reserve_vcc 1
		.amdhsa_float_round_mode_32 0
		.amdhsa_float_round_mode_16_64 0
		.amdhsa_float_denorm_mode_32 3
		.amdhsa_float_denorm_mode_16_64 3
		.amdhsa_fp16_overflow 0
		.amdhsa_workgroup_processor_mode 1
		.amdhsa_memory_ordered 1
		.amdhsa_forward_progress 1
		.amdhsa_inst_pref_size 4
		.amdhsa_round_robin_scheduling 0
		.amdhsa_exception_fp_ieee_invalid_op 0
		.amdhsa_exception_fp_denorm_src 0
		.amdhsa_exception_fp_ieee_div_zero 0
		.amdhsa_exception_fp_ieee_overflow 0
		.amdhsa_exception_fp_ieee_underflow 0
		.amdhsa_exception_fp_ieee_inexact 0
		.amdhsa_exception_int_div_zero 0
	.end_amdhsa_kernel
	.section	.text._ZN12_GLOBAL__N_125rocblas_gemm_scale_kernelILi32ELi32EdPdEEviiT1_T2_llli,"axG",@progbits,_ZN12_GLOBAL__N_125rocblas_gemm_scale_kernelILi32ELi32EdPdEEviiT1_T2_llli,comdat
.Lfunc_end58:
	.size	_ZN12_GLOBAL__N_125rocblas_gemm_scale_kernelILi32ELi32EdPdEEviiT1_T2_llli, .Lfunc_end58-_ZN12_GLOBAL__N_125rocblas_gemm_scale_kernelILi32ELi32EdPdEEviiT1_T2_llli
                                        ; -- End function
	.set _ZN12_GLOBAL__N_125rocblas_gemm_scale_kernelILi32ELi32EdPdEEviiT1_T2_llli.num_vgpr, 8
	.set _ZN12_GLOBAL__N_125rocblas_gemm_scale_kernelILi32ELi32EdPdEEviiT1_T2_llli.num_agpr, 0
	.set _ZN12_GLOBAL__N_125rocblas_gemm_scale_kernelILi32ELi32EdPdEEviiT1_T2_llli.numbered_sgpr, 18
	.set _ZN12_GLOBAL__N_125rocblas_gemm_scale_kernelILi32ELi32EdPdEEviiT1_T2_llli.num_named_barrier, 0
	.set _ZN12_GLOBAL__N_125rocblas_gemm_scale_kernelILi32ELi32EdPdEEviiT1_T2_llli.private_seg_size, 0
	.set _ZN12_GLOBAL__N_125rocblas_gemm_scale_kernelILi32ELi32EdPdEEviiT1_T2_llli.uses_vcc, 1
	.set _ZN12_GLOBAL__N_125rocblas_gemm_scale_kernelILi32ELi32EdPdEEviiT1_T2_llli.uses_flat_scratch, 0
	.set _ZN12_GLOBAL__N_125rocblas_gemm_scale_kernelILi32ELi32EdPdEEviiT1_T2_llli.has_dyn_sized_stack, 0
	.set _ZN12_GLOBAL__N_125rocblas_gemm_scale_kernelILi32ELi32EdPdEEviiT1_T2_llli.has_recursion, 0
	.set _ZN12_GLOBAL__N_125rocblas_gemm_scale_kernelILi32ELi32EdPdEEviiT1_T2_llli.has_indirect_call, 0
	.section	.AMDGPU.csdata,"",@progbits
; Kernel info:
; codeLenInByte = 396
; TotalNumSgprs: 20
; NumVgprs: 8
; ScratchSize: 0
; MemoryBound: 0
; FloatMode: 240
; IeeeMode: 1
; LDSByteSize: 0 bytes/workgroup (compile time only)
; SGPRBlocks: 0
; VGPRBlocks: 0
; NumSGPRsForWavesPerEU: 20
; NumVGPRsForWavesPerEU: 8
; Occupancy: 16
; WaveLimiterHint : 0
; COMPUTE_PGM_RSRC2:SCRATCH_EN: 0
; COMPUTE_PGM_RSRC2:USER_SGPR: 2
; COMPUTE_PGM_RSRC2:TRAP_HANDLER: 0
; COMPUTE_PGM_RSRC2:TGID_X_EN: 1
; COMPUTE_PGM_RSRC2:TGID_Y_EN: 1
; COMPUTE_PGM_RSRC2:TGID_Z_EN: 1
; COMPUTE_PGM_RSRC2:TIDIG_COMP_CNT: 1
	.section	.text._ZN12_GLOBAL__N_120gemm_ex_scale_kernelILi32ELi32EdPKdPdEEviiT1_T2_lllT3_llli,"axG",@progbits,_ZN12_GLOBAL__N_120gemm_ex_scale_kernelILi32ELi32EdPKdPdEEviiT1_T2_lllT3_llli,comdat
	.globl	_ZN12_GLOBAL__N_120gemm_ex_scale_kernelILi32ELi32EdPKdPdEEviiT1_T2_lllT3_llli ; -- Begin function _ZN12_GLOBAL__N_120gemm_ex_scale_kernelILi32ELi32EdPKdPdEEviiT1_T2_lllT3_llli
	.p2align	8
	.type	_ZN12_GLOBAL__N_120gemm_ex_scale_kernelILi32ELi32EdPKdPdEEviiT1_T2_lllT3_llli,@function
_ZN12_GLOBAL__N_120gemm_ex_scale_kernelILi32ELi32EdPKdPdEEviiT1_T2_lllT3_llli: ; @_ZN12_GLOBAL__N_120gemm_ex_scale_kernelILi32ELi32EdPKdPdEEviiT1_T2_lllT3_llli
; %bb.0:
	s_load_b32 s20, s[0:1], 0x50
	s_lshr_b32 s2, ttmp7, 16
	s_wait_kmcnt 0x0
	s_cmp_ge_u32 s2, s20
	s_cbranch_scc1 .LBB59_8
; %bb.1:
	s_load_b512 s[4:19], s[0:1], 0x8
	v_bfe_u32 v1, v0, 10, 10
	s_and_b32 s3, ttmp7, 0xffff
	s_load_b64 s[22:23], s[0:1], 0x0
	v_mov_b32_e32 v6, 0
	s_delay_alu instid0(VALU_DEP_2) | instskip(SKIP_2) | instid1(VALU_DEP_1)
	v_lshl_add_u32 v10, s3, 5, v1
	s_mov_b32 s3, 0
	s_wait_kmcnt 0x0
	v_mad_co_u64_u32 v[3:4], null, s18, v10, 0
	v_mad_co_u64_u32 v[1:2], null, s10, v10, 0
	v_and_b32_e32 v7, 0x3ff, v0
	s_lshl_b64 s[8:9], s[8:9], 3
	s_lshl_b64 s[16:17], s[16:17], 3
	s_add_nc_u64 s[6:7], s[6:7], s[8:9]
	s_delay_alu instid0(VALU_DEP_3) | instskip(SKIP_1) | instid1(VALU_DEP_3)
	v_mov_b32_e32 v0, v4
	s_add_nc_u64 s[14:15], s[14:15], s[16:17]
	v_mad_co_u64_u32 v[4:5], null, s11, v10, v[2:3]
	v_lshl_add_u32 v5, ttmp9, 5, v7
	s_delay_alu instid0(VALU_DEP_3)
	v_mad_co_u64_u32 v[7:8], null, s19, v10, v[0:1]
	s_load_b64 s[10:11], s[0:1], 0x48
	v_cmp_gt_u32_e64 s0, s23, v10
	v_lshlrev_b64_e32 v[8:9], 3, v[5:6]
	v_mov_b32_e32 v2, v4
	v_cmp_gt_u32_e32 vcc_lo, s22, v5
	v_mov_b32_e32 v4, v7
	s_delay_alu instid0(VALU_DEP_3) | instskip(SKIP_1) | instid1(VALU_DEP_2)
	v_lshlrev_b64_e32 v[0:1], 3, v[1:2]
	s_and_b32 s0, vcc_lo, s0
	v_lshlrev_b64_e32 v[2:3], 3, v[3:4]
	s_delay_alu instid0(VALU_DEP_2) | instskip(SKIP_1) | instid1(VALU_DEP_3)
	v_add_co_u32 v0, s1, s6, v0
	s_wait_alu 0xf1ff
	v_add_co_ci_u32_e64 v1, null, s7, v1, s1
	s_delay_alu instid0(VALU_DEP_3)
	v_add_co_u32 v4, s1, s14, v2
	s_wait_alu 0xf1ff
	v_add_co_ci_u32_e64 v5, null, s15, v3, s1
	v_add_co_u32 v2, s1, v0, v8
	s_wait_alu 0xf1ff
	v_add_co_ci_u32_e64 v3, null, v1, v9, s1
	;; [unrolled: 3-line block ×3, first 2 shown]
	v_cmp_neq_f64_e64 s1, s[4:5], 0
	s_branch .LBB59_5
.LBB59_2:                               ;   in Loop: Header=BB59_5 Depth=1
	s_mul_u64 s[8:9], s[12:13], s[2:3]
	s_wait_alu 0xfffe
	s_lshl_b64 s[8:9], s[8:9], 3
	s_wait_alu 0xfffe
	v_add_co_u32 v0, vcc_lo, v2, s8
	s_wait_alu 0xfffd
	v_add_co_ci_u32_e64 v1, null, s9, v3, vcc_lo
	global_load_b64 v[0:1], v[0:1], off
	s_wait_loadcnt 0x0
	v_mul_f64_e32 v[0:1], s[4:5], v[0:1]
.LBB59_3:                               ;   in Loop: Header=BB59_5 Depth=1
	s_wait_kmcnt 0x0
	s_mul_u64 s[8:9], s[10:11], s[2:3]
	s_wait_alu 0xfffe
	s_lshl_b64 s[8:9], s[8:9], 3
	s_wait_alu 0xfffe
	v_add_co_u32 v6, vcc_lo, v4, s8
	s_wait_alu 0xfffd
	v_add_co_ci_u32_e64 v7, null, s9, v5, vcc_lo
	global_store_b64 v[6:7], v[0:1], off
.LBB59_4:                               ;   in Loop: Header=BB59_5 Depth=1
	s_wait_alu 0xfffe
	s_or_b32 exec_lo, exec_lo, s6
	s_add_co_i32 s2, s2, 0x10000
	s_wait_alu 0xfffe
	s_cmp_lt_u32 s2, s20
	s_cbranch_scc0 .LBB59_8
.LBB59_5:                               ; =>This Inner Loop Header: Depth=1
	s_wait_alu 0xfffe
	s_and_saveexec_b32 s6, s0
	s_cbranch_execz .LBB59_4
; %bb.6:                                ;   in Loop: Header=BB59_5 Depth=1
	s_delay_alu instid0(VALU_DEP_1)
	s_and_not1_b32 vcc_lo, exec_lo, s1
	s_wait_alu 0xfffe
	s_cbranch_vccz .LBB59_2
; %bb.7:                                ;   in Loop: Header=BB59_5 Depth=1
	v_mov_b32_e32 v0, 0
	v_mov_b32_e32 v1, 0
	s_branch .LBB59_3
.LBB59_8:
	s_endpgm
	.section	.rodata,"a",@progbits
	.p2align	6, 0x0
	.amdhsa_kernel _ZN12_GLOBAL__N_120gemm_ex_scale_kernelILi32ELi32EdPKdPdEEviiT1_T2_lllT3_llli
		.amdhsa_group_segment_fixed_size 0
		.amdhsa_private_segment_fixed_size 0
		.amdhsa_kernarg_size 84
		.amdhsa_user_sgpr_count 2
		.amdhsa_user_sgpr_dispatch_ptr 0
		.amdhsa_user_sgpr_queue_ptr 0
		.amdhsa_user_sgpr_kernarg_segment_ptr 1
		.amdhsa_user_sgpr_dispatch_id 0
		.amdhsa_user_sgpr_private_segment_size 0
		.amdhsa_wavefront_size32 1
		.amdhsa_uses_dynamic_stack 0
		.amdhsa_enable_private_segment 0
		.amdhsa_system_sgpr_workgroup_id_x 1
		.amdhsa_system_sgpr_workgroup_id_y 1
		.amdhsa_system_sgpr_workgroup_id_z 1
		.amdhsa_system_sgpr_workgroup_info 0
		.amdhsa_system_vgpr_workitem_id 1
		.amdhsa_next_free_vgpr 11
		.amdhsa_next_free_sgpr 24
		.amdhsa_reserve_vcc 1
		.amdhsa_float_round_mode_32 0
		.amdhsa_float_round_mode_16_64 0
		.amdhsa_float_denorm_mode_32 3
		.amdhsa_float_denorm_mode_16_64 3
		.amdhsa_fp16_overflow 0
		.amdhsa_workgroup_processor_mode 1
		.amdhsa_memory_ordered 1
		.amdhsa_forward_progress 1
		.amdhsa_inst_pref_size 4
		.amdhsa_round_robin_scheduling 0
		.amdhsa_exception_fp_ieee_invalid_op 0
		.amdhsa_exception_fp_denorm_src 0
		.amdhsa_exception_fp_ieee_div_zero 0
		.amdhsa_exception_fp_ieee_overflow 0
		.amdhsa_exception_fp_ieee_underflow 0
		.amdhsa_exception_fp_ieee_inexact 0
		.amdhsa_exception_int_div_zero 0
	.end_amdhsa_kernel
	.section	.text._ZN12_GLOBAL__N_120gemm_ex_scale_kernelILi32ELi32EdPKdPdEEviiT1_T2_lllT3_llli,"axG",@progbits,_ZN12_GLOBAL__N_120gemm_ex_scale_kernelILi32ELi32EdPKdPdEEviiT1_T2_lllT3_llli,comdat
.Lfunc_end59:
	.size	_ZN12_GLOBAL__N_120gemm_ex_scale_kernelILi32ELi32EdPKdPdEEviiT1_T2_lllT3_llli, .Lfunc_end59-_ZN12_GLOBAL__N_120gemm_ex_scale_kernelILi32ELi32EdPKdPdEEviiT1_T2_lllT3_llli
                                        ; -- End function
	.set _ZN12_GLOBAL__N_120gemm_ex_scale_kernelILi32ELi32EdPKdPdEEviiT1_T2_lllT3_llli.num_vgpr, 11
	.set _ZN12_GLOBAL__N_120gemm_ex_scale_kernelILi32ELi32EdPKdPdEEviiT1_T2_lllT3_llli.num_agpr, 0
	.set _ZN12_GLOBAL__N_120gemm_ex_scale_kernelILi32ELi32EdPKdPdEEviiT1_T2_lllT3_llli.numbered_sgpr, 24
	.set _ZN12_GLOBAL__N_120gemm_ex_scale_kernelILi32ELi32EdPKdPdEEviiT1_T2_lllT3_llli.num_named_barrier, 0
	.set _ZN12_GLOBAL__N_120gemm_ex_scale_kernelILi32ELi32EdPKdPdEEviiT1_T2_lllT3_llli.private_seg_size, 0
	.set _ZN12_GLOBAL__N_120gemm_ex_scale_kernelILi32ELi32EdPKdPdEEviiT1_T2_lllT3_llli.uses_vcc, 1
	.set _ZN12_GLOBAL__N_120gemm_ex_scale_kernelILi32ELi32EdPKdPdEEviiT1_T2_lllT3_llli.uses_flat_scratch, 0
	.set _ZN12_GLOBAL__N_120gemm_ex_scale_kernelILi32ELi32EdPKdPdEEviiT1_T2_lllT3_llli.has_dyn_sized_stack, 0
	.set _ZN12_GLOBAL__N_120gemm_ex_scale_kernelILi32ELi32EdPKdPdEEviiT1_T2_lllT3_llli.has_recursion, 0
	.set _ZN12_GLOBAL__N_120gemm_ex_scale_kernelILi32ELi32EdPKdPdEEviiT1_T2_lllT3_llli.has_indirect_call, 0
	.section	.AMDGPU.csdata,"",@progbits
; Kernel info:
; codeLenInByte = 484
; TotalNumSgprs: 26
; NumVgprs: 11
; ScratchSize: 0
; MemoryBound: 0
; FloatMode: 240
; IeeeMode: 1
; LDSByteSize: 0 bytes/workgroup (compile time only)
; SGPRBlocks: 0
; VGPRBlocks: 1
; NumSGPRsForWavesPerEU: 26
; NumVGPRsForWavesPerEU: 11
; Occupancy: 16
; WaveLimiterHint : 0
; COMPUTE_PGM_RSRC2:SCRATCH_EN: 0
; COMPUTE_PGM_RSRC2:USER_SGPR: 2
; COMPUTE_PGM_RSRC2:TRAP_HANDLER: 0
; COMPUTE_PGM_RSRC2:TGID_X_EN: 1
; COMPUTE_PGM_RSRC2:TGID_Y_EN: 1
; COMPUTE_PGM_RSRC2:TGID_Z_EN: 1
; COMPUTE_PGM_RSRC2:TIDIG_COMP_CNT: 1
	.section	.text._ZN12_GLOBAL__N_127rocblas_gemm_batched_kernelIdLi16ELi16ELi64ELi64ELi4ELi64ELi4ELi4ELi64ELc78ELc78EKdS1_dEEvlllT_PT11_llS4_llS2_PT12_llPT13_lli,"axG",@progbits,_ZN12_GLOBAL__N_127rocblas_gemm_batched_kernelIdLi16ELi16ELi64ELi64ELi4ELi64ELi4ELi4ELi64ELc78ELc78EKdS1_dEEvlllT_PT11_llS4_llS2_PT12_llPT13_lli,comdat
	.globl	_ZN12_GLOBAL__N_127rocblas_gemm_batched_kernelIdLi16ELi16ELi64ELi64ELi4ELi64ELi4ELi4ELi64ELc78ELc78EKdS1_dEEvlllT_PT11_llS4_llS2_PT12_llPT13_lli ; -- Begin function _ZN12_GLOBAL__N_127rocblas_gemm_batched_kernelIdLi16ELi16ELi64ELi64ELi4ELi64ELi4ELi4ELi64ELc78ELc78EKdS1_dEEvlllT_PT11_llS4_llS2_PT12_llPT13_lli
	.p2align	8
	.type	_ZN12_GLOBAL__N_127rocblas_gemm_batched_kernelIdLi16ELi16ELi64ELi64ELi4ELi64ELi4ELi4ELi64ELc78ELc78EKdS1_dEEvlllT_PT11_llS4_llS2_PT12_llPT13_lli,@function
_ZN12_GLOBAL__N_127rocblas_gemm_batched_kernelIdLi16ELi16ELi64ELi64ELi4ELi64ELi4ELi4ELi64ELc78ELc78EKdS1_dEEvlllT_PT11_llS4_llS2_PT12_llPT13_lli: ; @_ZN12_GLOBAL__N_127rocblas_gemm_batched_kernelIdLi16ELi16ELi64ELi64ELi4ELi64ELi4ELi4ELi64ELc78ELc78EKdS1_dEEvlllT_PT11_llS4_llS2_PT12_llPT13_lli
; %bb.0:
	s_load_b32 s28, s[0:1], 0x88
	s_lshr_b32 s2, ttmp7, 16
	s_wait_kmcnt 0x0
	s_cmp_ge_i32 s2, s28
	s_cbranch_scc1 .LBB60_11
; %bb.1:
	s_load_b256 s[20:27], s[0:1], 0x50
	v_and_b32_e32 v12, 0x3ff, v0
	v_bfe_u32 v2, v0, 10, 10
	s_clause 0x1
	s_load_b512 s[4:19], s[0:1], 0x10
	s_load_b256 s[36:43], s[0:1], 0x70
	v_lshlrev_b32_e32 v0, 3, v0
	s_lshl_b32 s0, ttmp7, 6
	s_mov_b32 s30, ttmp9
	v_lshl_add_u32 v1, v2, 4, v12
	s_and_b32 s0, s0, 0x3fffc0
	v_and_b32_e32 v14, 24, v0
	v_add_nc_u32_e32 v9, s0, v2
	v_lshl_add_u32 v45, v2, 5, 0x800
	v_lshrrev_b32_e32 v3, 2, v1
	v_and_b32_e32 v13, 63, v1
	v_lshrrev_b32_e32 v15, 6, v1
	s_ashr_i32 s31, ttmp9, 31
	s_mov_b32 s3, 0
	v_add_nc_u32_e32 v11, s0, v3
	v_lshlrev_b32_e32 v4, 3, v13
	v_lshl_or_b32 v6, v3, 5, v14
	s_wait_kmcnt 0x0
	v_mad_co_u64_u32 v[0:1], null, v9, s24, 0
	v_mad_co_u64_u32 v[2:3], null, s16, v11, 0
	v_lshl_or_b32 v46, v15, 9, v4
	v_mad_co_u64_u32 v[4:5], null, v9, s38, 0
	s_lshl_b64 s[30:31], s[30:31], 6
	v_add_nc_u32_e32 v47, 0x800, v6
	v_cmp_eq_f64_e64 s1, s[20:21], 0
	v_mad_co_u64_u32 v[6:7], null, v9, s25, v[1:2]
	v_mad_co_u64_u32 v[7:8], null, s10, v15, s[30:31]
	v_dual_mov_b32 v1, v5 :: v_dual_lshlrev_b32 v44, 3, v12
	s_lshl_b64 s[24:25], s[24:25], 4
	s_delay_alu instid0(VALU_DEP_1) | instskip(NEXT) | instid1(VALU_DEP_4)
	v_mad_co_u64_u32 v[9:10], null, v9, s39, v[1:2]
	v_mov_b32_e32 v1, v6
	v_mad_co_u64_u32 v[10:11], null, s17, v11, v[3:4]
	v_mov_b32_e32 v6, v8
	v_add_co_u32 v11, s0, s30, v12
	s_delay_alu instid0(VALU_DEP_4) | instskip(SKIP_1) | instid1(VALU_DEP_4)
	v_lshlrev_b64_e32 v[0:1], 3, v[0:1]
	v_mov_b32_e32 v5, v9
	v_mad_co_u64_u32 v[8:9], null, s11, v15, v[6:7]
	v_mov_b32_e32 v3, v10
	s_wait_alu 0xf1ff
	v_add_co_ci_u32_e64 v12, null, s31, 0, s0
	v_add_co_u32 v48, vcc_lo, s22, v0
	s_delay_alu instid0(VALU_DEP_1)
	v_add_co_ci_u32_e64 v49, null, s23, v1, vcc_lo
	v_lshlrev_b64_e32 v[0:1], 3, v[2:3]
	v_add_co_u32 v2, vcc_lo, v7, v13
	s_wait_alu 0xfffd
	v_add_co_ci_u32_e64 v3, null, 0, v8, vcc_lo
	v_cmp_gt_i64_e64 s0, s[4:5], 0
	s_delay_alu instid0(VALU_DEP_4) | instskip(NEXT) | instid1(VALU_DEP_3)
	v_add_co_u32 v0, vcc_lo, v0, v14
	v_lshlrev_b64_e32 v[2:3], 3, v[2:3]
	s_wait_alu 0xfffd
	v_add_co_ci_u32_e64 v1, null, 0, v1, vcc_lo
	s_wait_alu 0xf1ff
	v_cndmask_b32_e64 v8, 0, 1, s0
	v_add_co_u32 v0, vcc_lo, s14, v0
	s_wait_alu 0xfffd
	v_add_co_ci_u32_e64 v1, null, s15, v1, vcc_lo
	v_add_co_u32 v2, vcc_lo, s8, v2
	v_lshlrev_b64_e32 v[4:5], 3, v[4:5]
	v_lshlrev_b64_e32 v[6:7], 3, v[11:12]
	s_wait_alu 0xfffd
	v_add_co_ci_u32_e64 v3, null, s9, v3, vcc_lo
	v_cmp_ne_u32_e64 s0, 1, v8
	s_lshl_b64 s[16:17], s[38:39], 4
	s_lshl_b64 s[14:15], s[18:19], 3
	;; [unrolled: 1-line block ×4, first 2 shown]
	s_wait_alu 0xfffe
	s_lshl_b64 s[12:13], s[24:25], 3
	s_lshl_b64 s[16:17], s[16:17], 3
	s_branch .LBB60_3
.LBB60_2:                               ;   in Loop: Header=BB60_3 Depth=1
	s_add_co_i32 s2, s2, 0x10000
	s_wait_alu 0xfffe
	s_cmp_lt_i32 s2, s28
	s_cbranch_scc0 .LBB60_11
.LBB60_3:                               ; =>This Loop Header: Depth=1
                                        ;     Child Loop BB60_5 Depth 2
	s_and_b32 vcc_lo, exec_lo, s0
	s_wait_alu 0xfffe
	s_cbranch_vccnz .LBB60_6
; %bb.4:                                ;   in Loop: Header=BB60_3 Depth=1
	v_mad_co_u64_u32 v[40:41], null, s14, s2, v[0:1]
	v_mad_co_u64_u32 v[42:43], null, s8, s2, v[2:3]
	v_mov_b32_e32 v16, 0
	v_mov_b32_e32 v24, 0
	v_mov_b32_e32 v8, 0
	v_mov_b32_e32 v12, 0
	v_dual_mov_b32 v22, v41 :: v_dual_mov_b32 v17, 0
	v_dual_mov_b32 v28, v43 :: v_dual_mov_b32 v25, 0
	;; [unrolled: 1-line block ×3, first 2 shown]
	s_delay_alu instid0(VALU_DEP_3) | instskip(NEXT) | instid1(VALU_DEP_3)
	v_mad_co_u64_u32 v[30:31], null, s15, s2, v[22:23]
	v_mad_co_u64_u32 v[50:51], null, s9, s2, v[28:29]
	v_dual_mov_b32 v13, 0 :: v_dual_mov_b32 v14, 0
	v_mov_b32_e32 v18, 0
	v_mov_b32_e32 v20, 0
	;; [unrolled: 1-line block ×3, first 2 shown]
	v_dual_mov_b32 v26, 0 :: v_dual_mov_b32 v41, v30
	v_mov_b32_e32 v28, 0
	v_mov_b32_e32 v30, 0
	;; [unrolled: 1-line block ×5, first 2 shown]
	v_dual_mov_b32 v38, 0 :: v_dual_mov_b32 v43, v50
	v_mov_b32_e32 v11, 0
	v_mov_b32_e32 v15, 0
	;; [unrolled: 1-line block ×12, first 2 shown]
	s_mov_b64 s[18:19], 0
.LBB60_5:                               ;   Parent Loop BB60_3 Depth=1
                                        ; =>  This Inner Loop Header: Depth=2
	global_load_b64 v[50:51], v[42:43], off
	global_load_b64 v[52:53], v[40:41], off
	s_wait_alu 0xfffe
	s_add_nc_u64 s[18:19], s[18:19], 4
	v_add_co_u32 v40, vcc_lo, v40, 32
	s_wait_alu 0xfffe
	v_cmp_lt_i64_e64 s22, s[18:19], s[4:5]
	s_wait_alu 0xfffd
	v_add_co_ci_u32_e64 v41, null, 0, v41, vcc_lo
	v_add_co_u32 v42, vcc_lo, v42, s10
	s_wait_alu 0xfffd
	v_add_co_ci_u32_e64 v43, null, s11, v43, vcc_lo
	s_and_b32 vcc_lo, exec_lo, s22
	s_wait_loadcnt 0x1
	ds_store_b64 v46, v[50:51]
	s_wait_loadcnt 0x0
	ds_store_b64 v47, v[52:53]
	s_wait_dscnt 0x0
	s_barrier_signal -1
	s_barrier_wait -1
	global_inv scope:SCOPE_SE
	ds_load_b128 v[50:53], v45
	ds_load_2addr_b64 v[54:57], v44 offset1:16
	ds_load_2addr_b64 v[58:61], v44 offset0:32 offset1:48
	ds_load_b128 v[62:65], v45 offset:512
	ds_load_b128 v[66:69], v45 offset:1024
	;; [unrolled: 1-line block ×7, first 2 shown]
	s_wait_dscnt 0x8
	v_fma_f64 v[38:39], v[54:55], v[50:51], v[38:39]
	v_fma_f64 v[36:37], v[56:57], v[50:51], v[36:37]
	s_wait_dscnt 0x7
	v_fma_f64 v[34:35], v[58:59], v[50:51], v[34:35]
	v_fma_f64 v[32:33], v[60:61], v[50:51], v[32:33]
	;; [unrolled: 3-line block ×3, first 2 shown]
	v_fma_f64 v[26:27], v[58:59], v[62:63], v[26:27]
	v_fma_f64 v[24:25], v[60:61], v[62:63], v[24:25]
	s_wait_dscnt 0x5
	v_fma_f64 v[22:23], v[54:55], v[66:67], v[22:23]
	v_fma_f64 v[20:21], v[56:57], v[66:67], v[20:21]
	;; [unrolled: 1-line block ×4, first 2 shown]
	s_wait_dscnt 0x4
	v_fma_f64 v[50:51], v[54:55], v[70:71], v[14:15]
	v_fma_f64 v[54:55], v[56:57], v[70:71], v[12:13]
	;; [unrolled: 1-line block ×4, first 2 shown]
	ds_load_2addr_b64 v[8:11], v44 offset0:64 offset1:80
	ds_load_2addr_b64 v[12:15], v44 offset0:96 offset1:112
	s_wait_dscnt 0x1
	v_fma_f64 v[38:39], v[8:9], v[52:53], v[38:39]
	v_fma_f64 v[36:37], v[10:11], v[52:53], v[36:37]
	s_wait_dscnt 0x0
	v_fma_f64 v[34:35], v[12:13], v[52:53], v[34:35]
	v_fma_f64 v[32:33], v[14:15], v[52:53], v[32:33]
	;; [unrolled: 1-line block ×14, first 2 shown]
	ds_load_2addr_b64 v[8:11], v44 offset0:128 offset1:144
	ds_load_2addr_b64 v[12:15], v44 offset0:160 offset1:176
	s_wait_dscnt 0x1
	v_fma_f64 v[38:39], v[8:9], v[74:75], v[38:39]
	v_fma_f64 v[36:37], v[10:11], v[74:75], v[36:37]
	s_wait_dscnt 0x0
	v_fma_f64 v[34:35], v[12:13], v[74:75], v[34:35]
	v_fma_f64 v[32:33], v[14:15], v[74:75], v[32:33]
	;; [unrolled: 1-line block ×14, first 2 shown]
	ds_load_2addr_b64 v[8:11], v44 offset0:192 offset1:208
	ds_load_2addr_b64 v[50:53], v44 offset0:224 offset1:240
	s_wait_loadcnt_dscnt 0x0
	s_barrier_signal -1
	s_barrier_wait -1
	global_inv scope:SCOPE_SE
	v_fma_f64 v[38:39], v[8:9], v[76:77], v[38:39]
	v_fma_f64 v[36:37], v[10:11], v[76:77], v[36:37]
	;; [unrolled: 1-line block ×16, first 2 shown]
	s_wait_alu 0xfffe
	s_cbranch_vccnz .LBB60_5
	s_branch .LBB60_7
.LBB60_6:                               ;   in Loop: Header=BB60_3 Depth=1
	v_mov_b32_e32 v38, 0
	v_mov_b32_e32 v34, 0
	;; [unrolled: 1-line block ×7, first 2 shown]
	v_dual_mov_b32 v10, 0 :: v_dual_mov_b32 v39, 0
	v_dual_mov_b32 v36, 0 :: v_dual_mov_b32 v35, 0
	;; [unrolled: 1-line block ×9, first 2 shown]
	v_mov_b32_e32 v33, 0
	v_mov_b32_e32 v29, 0
	;; [unrolled: 1-line block ×7, first 2 shown]
.LBB60_7:                               ;   in Loop: Header=BB60_3 Depth=1
	s_mul_u64 s[18:19], s[40:41], s[2:3]
	s_and_not1_b32 vcc_lo, exec_lo, s1
	s_wait_alu 0xfffe
	s_lshl_b64 s[18:19], s[18:19], 3
	s_wait_alu 0xfffe
	s_add_nc_u64 s[18:19], s[36:37], s[18:19]
	s_cbranch_vccnz .LBB60_9
; %bb.8:                                ;   in Loop: Header=BB60_3 Depth=1
	v_mul_f64_e32 v[40:41], s[6:7], v[38:39]
	v_mul_f64_e32 v[42:43], s[6:7], v[36:37]
	;; [unrolled: 1-line block ×16, first 2 shown]
	s_wait_alu 0xfffe
	v_add_co_u32 v78, vcc_lo, s18, v4
	s_wait_alu 0xfffd
	v_add_co_ci_u32_e64 v79, null, s19, v5, vcc_lo
	s_delay_alu instid0(VALU_DEP_2) | instskip(SKIP_1) | instid1(VALU_DEP_2)
	v_add_co_u32 v82, vcc_lo, v78, s16
	s_wait_alu 0xfffd
	v_add_co_ci_u32_e64 v83, null, s17, v79, vcc_lo
	v_add_co_u32 v78, vcc_lo, v78, v6
	s_wait_alu 0xfffd
	v_add_co_ci_u32_e64 v79, null, v79, v7, vcc_lo
	;; [unrolled: 3-line block ×3, first 2 shown]
	s_clause 0x3
	global_store_b64 v[78:79], v[40:41], off
	global_store_b64 v[78:79], v[42:43], off offset:128
	global_store_b64 v[78:79], v[50:51], off offset:256
	;; [unrolled: 1-line block ×3, first 2 shown]
	v_add_co_u32 v40, vcc_lo, v82, s16
	s_wait_alu 0xfffd
	v_add_co_ci_u32_e64 v41, null, s17, v83, vcc_lo
	s_clause 0x3
	global_store_b64 v[80:81], v[54:55], off
	global_store_b64 v[80:81], v[56:57], off offset:128
	global_store_b64 v[80:81], v[58:59], off offset:256
	;; [unrolled: 1-line block ×3, first 2 shown]
	v_add_co_u32 v42, vcc_lo, v40, s16
	s_wait_alu 0xfffd
	v_add_co_ci_u32_e64 v43, null, s17, v41, vcc_lo
	v_add_co_u32 v40, vcc_lo, v40, v6
	s_wait_alu 0xfffd
	v_add_co_ci_u32_e64 v41, null, v41, v7, vcc_lo
	;; [unrolled: 3-line block ×3, first 2 shown]
	s_clause 0x7
	global_store_b64 v[40:41], v[62:63], off
	global_store_b64 v[40:41], v[64:65], off offset:128
	global_store_b64 v[40:41], v[66:67], off offset:256
	global_store_b64 v[40:41], v[68:69], off offset:384
	global_store_b64 v[42:43], v[70:71], off
	global_store_b64 v[42:43], v[72:73], off offset:128
	global_store_b64 v[42:43], v[74:75], off offset:256
	;; [unrolled: 1-line block ×3, first 2 shown]
	s_cbranch_execnz .LBB60_2
	s_branch .LBB60_10
.LBB60_9:                               ;   in Loop: Header=BB60_3 Depth=1
.LBB60_10:                              ;   in Loop: Header=BB60_3 Depth=1
	s_mul_u64 s[22:23], s[26:27], s[2:3]
	s_wait_alu 0xfffe
	s_lshl_b64 s[22:23], s[22:23], 3
	s_wait_alu 0xfffe
	v_add_co_u32 v50, vcc_lo, v48, s22
	s_wait_alu 0xfffd
	v_add_co_ci_u32_e64 v51, null, s23, v49, vcc_lo
	s_delay_alu instid0(VALU_DEP_2) | instskip(SKIP_1) | instid1(VALU_DEP_2)
	v_add_co_u32 v40, vcc_lo, v50, v6
	s_wait_alu 0xfffd
	v_add_co_ci_u32_e64 v41, null, v51, v7, vcc_lo
	v_add_co_u32 v52, vcc_lo, s18, v4
	s_wait_alu 0xfffd
	v_add_co_ci_u32_e64 v53, null, s19, v5, vcc_lo
	global_load_b64 v[42:43], v[40:41], off
	s_wait_loadcnt 0x0
	v_mul_f64_e32 v[42:43], s[20:21], v[42:43]
	s_delay_alu instid0(VALU_DEP_1)
	v_fma_f64 v[38:39], s[6:7], v[38:39], v[42:43]
	v_add_co_u32 v42, vcc_lo, v52, v6
	s_wait_alu 0xfffd
	v_add_co_ci_u32_e64 v43, null, v53, v7, vcc_lo
	global_store_b64 v[42:43], v[38:39], off
	global_load_b64 v[38:39], v[40:41], off offset:128
	s_wait_loadcnt 0x0
	v_mul_f64_e32 v[38:39], s[20:21], v[38:39]
	s_delay_alu instid0(VALU_DEP_1) | instskip(SKIP_4) | instid1(VALU_DEP_1)
	v_fma_f64 v[36:37], s[6:7], v[36:37], v[38:39]
	global_store_b64 v[42:43], v[36:37], off offset:128
	global_load_b64 v[36:37], v[40:41], off offset:256
	s_wait_loadcnt 0x0
	v_mul_f64_e32 v[36:37], s[20:21], v[36:37]
	v_fma_f64 v[34:35], s[6:7], v[34:35], v[36:37]
	v_add_co_u32 v36, vcc_lo, v50, s12
	s_wait_alu 0xfffd
	v_add_co_ci_u32_e64 v37, null, s13, v51, vcc_lo
	global_store_b64 v[42:43], v[34:35], off offset:256
	global_load_b64 v[34:35], v[40:41], off offset:384
	s_wait_loadcnt 0x0
	v_mul_f64_e32 v[34:35], s[20:21], v[34:35]
	s_delay_alu instid0(VALU_DEP_1)
	v_fma_f64 v[32:33], s[6:7], v[32:33], v[34:35]
	v_add_co_u32 v34, vcc_lo, v36, v6
	s_wait_alu 0xfffd
	v_add_co_ci_u32_e64 v35, null, v37, v7, vcc_lo
	v_add_co_u32 v38, vcc_lo, v52, s16
	s_wait_alu 0xfffd
	v_add_co_ci_u32_e64 v39, null, s17, v53, vcc_lo
	global_store_b64 v[42:43], v[32:33], off offset:384
	global_load_b64 v[32:33], v[34:35], off
	s_wait_loadcnt 0x0
	v_mul_f64_e32 v[32:33], s[20:21], v[32:33]
	s_delay_alu instid0(VALU_DEP_1)
	v_fma_f64 v[30:31], s[6:7], v[30:31], v[32:33]
	v_add_co_u32 v32, vcc_lo, v38, v6
	s_wait_alu 0xfffd
	v_add_co_ci_u32_e64 v33, null, v39, v7, vcc_lo
	global_store_b64 v[32:33], v[30:31], off
	global_load_b64 v[30:31], v[34:35], off offset:128
	s_wait_loadcnt 0x0
	v_mul_f64_e32 v[30:31], s[20:21], v[30:31]
	s_delay_alu instid0(VALU_DEP_1) | instskip(SKIP_4) | instid1(VALU_DEP_1)
	v_fma_f64 v[28:29], s[6:7], v[28:29], v[30:31]
	global_store_b64 v[32:33], v[28:29], off offset:128
	global_load_b64 v[28:29], v[34:35], off offset:256
	s_wait_loadcnt 0x0
	v_mul_f64_e32 v[28:29], s[20:21], v[28:29]
	v_fma_f64 v[26:27], s[6:7], v[26:27], v[28:29]
	v_add_co_u32 v28, vcc_lo, v36, s12
	s_wait_alu 0xfffd
	v_add_co_ci_u32_e64 v29, null, s13, v37, vcc_lo
	global_store_b64 v[32:33], v[26:27], off offset:256
	global_load_b64 v[26:27], v[34:35], off offset:384
	s_wait_loadcnt 0x0
	v_mul_f64_e32 v[26:27], s[20:21], v[26:27]
	s_delay_alu instid0(VALU_DEP_1)
	v_fma_f64 v[24:25], s[6:7], v[24:25], v[26:27]
	v_add_co_u32 v26, vcc_lo, v28, v6
	s_wait_alu 0xfffd
	v_add_co_ci_u32_e64 v27, null, v29, v7, vcc_lo
	v_add_co_u32 v30, vcc_lo, v38, s16
	s_wait_alu 0xfffd
	v_add_co_ci_u32_e64 v31, null, s17, v39, vcc_lo
	global_store_b64 v[32:33], v[24:25], off offset:384
	global_load_b64 v[24:25], v[26:27], off
	s_wait_loadcnt 0x0
	v_mul_f64_e32 v[24:25], s[20:21], v[24:25]
	s_delay_alu instid0(VALU_DEP_1)
	v_fma_f64 v[22:23], s[6:7], v[22:23], v[24:25]
	v_add_co_u32 v24, vcc_lo, v30, v6
	s_wait_alu 0xfffd
	v_add_co_ci_u32_e64 v25, null, v31, v7, vcc_lo
	global_store_b64 v[24:25], v[22:23], off
	global_load_b64 v[22:23], v[26:27], off offset:128
	s_wait_loadcnt 0x0
	v_mul_f64_e32 v[22:23], s[20:21], v[22:23]
	s_delay_alu instid0(VALU_DEP_1) | instskip(SKIP_4) | instid1(VALU_DEP_1)
	v_fma_f64 v[20:21], s[6:7], v[20:21], v[22:23]
	global_store_b64 v[24:25], v[20:21], off offset:128
	global_load_b64 v[20:21], v[26:27], off offset:256
	s_wait_loadcnt 0x0
	v_mul_f64_e32 v[20:21], s[20:21], v[20:21]
	v_fma_f64 v[18:19], s[6:7], v[18:19], v[20:21]
	global_store_b64 v[24:25], v[18:19], off offset:256
	global_load_b64 v[18:19], v[26:27], off offset:384
	s_wait_loadcnt 0x0
	v_mul_f64_e32 v[18:19], s[20:21], v[18:19]
	s_delay_alu instid0(VALU_DEP_1) | instskip(SKIP_3) | instid1(VALU_DEP_2)
	v_fma_f64 v[16:17], s[6:7], v[16:17], v[18:19]
	v_add_co_u32 v18, vcc_lo, v28, s12
	s_wait_alu 0xfffd
	v_add_co_ci_u32_e64 v19, null, s13, v29, vcc_lo
	v_add_co_u32 v18, vcc_lo, v18, v6
	s_wait_alu 0xfffd
	s_delay_alu instid0(VALU_DEP_2) | instskip(SKIP_4) | instid1(VALU_DEP_1)
	v_add_co_ci_u32_e64 v19, null, v19, v7, vcc_lo
	global_store_b64 v[24:25], v[16:17], off offset:384
	global_load_b64 v[16:17], v[18:19], off
	s_wait_loadcnt 0x0
	v_mul_f64_e32 v[16:17], s[20:21], v[16:17]
	v_fma_f64 v[14:15], s[6:7], v[14:15], v[16:17]
	v_add_co_u32 v16, vcc_lo, v30, s16
	s_wait_alu 0xfffd
	v_add_co_ci_u32_e64 v17, null, s17, v31, vcc_lo
	s_delay_alu instid0(VALU_DEP_2) | instskip(SKIP_1) | instid1(VALU_DEP_2)
	v_add_co_u32 v16, vcc_lo, v16, v6
	s_wait_alu 0xfffd
	v_add_co_ci_u32_e64 v17, null, v17, v7, vcc_lo
	global_store_b64 v[16:17], v[14:15], off
	global_load_b64 v[14:15], v[18:19], off offset:128
	s_wait_loadcnt 0x0
	v_mul_f64_e32 v[14:15], s[20:21], v[14:15]
	s_delay_alu instid0(VALU_DEP_1) | instskip(SKIP_4) | instid1(VALU_DEP_1)
	v_fma_f64 v[12:13], s[6:7], v[12:13], v[14:15]
	global_store_b64 v[16:17], v[12:13], off offset:128
	global_load_b64 v[12:13], v[18:19], off offset:256
	s_wait_loadcnt 0x0
	v_mul_f64_e32 v[12:13], s[20:21], v[12:13]
	v_fma_f64 v[10:11], s[6:7], v[10:11], v[12:13]
	global_store_b64 v[16:17], v[10:11], off offset:256
	global_load_b64 v[10:11], v[18:19], off offset:384
	s_wait_loadcnt 0x0
	v_mul_f64_e32 v[10:11], s[20:21], v[10:11]
	s_delay_alu instid0(VALU_DEP_1)
	v_fma_f64 v[8:9], s[6:7], v[8:9], v[10:11]
	global_store_b64 v[16:17], v[8:9], off offset:384
	s_branch .LBB60_2
.LBB60_11:
	s_endpgm
	.section	.rodata,"a",@progbits
	.p2align	6, 0x0
	.amdhsa_kernel _ZN12_GLOBAL__N_127rocblas_gemm_batched_kernelIdLi16ELi16ELi64ELi64ELi4ELi64ELi4ELi4ELi64ELc78ELc78EKdS1_dEEvlllT_PT11_llS4_llS2_PT12_llPT13_lli
		.amdhsa_group_segment_fixed_size 4096
		.amdhsa_private_segment_fixed_size 0
		.amdhsa_kernarg_size 140
		.amdhsa_user_sgpr_count 2
		.amdhsa_user_sgpr_dispatch_ptr 0
		.amdhsa_user_sgpr_queue_ptr 0
		.amdhsa_user_sgpr_kernarg_segment_ptr 1
		.amdhsa_user_sgpr_dispatch_id 0
		.amdhsa_user_sgpr_private_segment_size 0
		.amdhsa_wavefront_size32 1
		.amdhsa_uses_dynamic_stack 0
		.amdhsa_enable_private_segment 0
		.amdhsa_system_sgpr_workgroup_id_x 1
		.amdhsa_system_sgpr_workgroup_id_y 1
		.amdhsa_system_sgpr_workgroup_id_z 1
		.amdhsa_system_sgpr_workgroup_info 0
		.amdhsa_system_vgpr_workitem_id 1
		.amdhsa_next_free_vgpr 90
		.amdhsa_next_free_sgpr 44
		.amdhsa_reserve_vcc 1
		.amdhsa_float_round_mode_32 0
		.amdhsa_float_round_mode_16_64 0
		.amdhsa_float_denorm_mode_32 3
		.amdhsa_float_denorm_mode_16_64 3
		.amdhsa_fp16_overflow 0
		.amdhsa_workgroup_processor_mode 1
		.amdhsa_memory_ordered 1
		.amdhsa_forward_progress 1
		.amdhsa_inst_pref_size 25
		.amdhsa_round_robin_scheduling 0
		.amdhsa_exception_fp_ieee_invalid_op 0
		.amdhsa_exception_fp_denorm_src 0
		.amdhsa_exception_fp_ieee_div_zero 0
		.amdhsa_exception_fp_ieee_overflow 0
		.amdhsa_exception_fp_ieee_underflow 0
		.amdhsa_exception_fp_ieee_inexact 0
		.amdhsa_exception_int_div_zero 0
	.end_amdhsa_kernel
	.section	.text._ZN12_GLOBAL__N_127rocblas_gemm_batched_kernelIdLi16ELi16ELi64ELi64ELi4ELi64ELi4ELi4ELi64ELc78ELc78EKdS1_dEEvlllT_PT11_llS4_llS2_PT12_llPT13_lli,"axG",@progbits,_ZN12_GLOBAL__N_127rocblas_gemm_batched_kernelIdLi16ELi16ELi64ELi64ELi4ELi64ELi4ELi4ELi64ELc78ELc78EKdS1_dEEvlllT_PT11_llS4_llS2_PT12_llPT13_lli,comdat
.Lfunc_end60:
	.size	_ZN12_GLOBAL__N_127rocblas_gemm_batched_kernelIdLi16ELi16ELi64ELi64ELi4ELi64ELi4ELi4ELi64ELc78ELc78EKdS1_dEEvlllT_PT11_llS4_llS2_PT12_llPT13_lli, .Lfunc_end60-_ZN12_GLOBAL__N_127rocblas_gemm_batched_kernelIdLi16ELi16ELi64ELi64ELi4ELi64ELi4ELi4ELi64ELc78ELc78EKdS1_dEEvlllT_PT11_llS4_llS2_PT12_llPT13_lli
                                        ; -- End function
	.set _ZN12_GLOBAL__N_127rocblas_gemm_batched_kernelIdLi16ELi16ELi64ELi64ELi4ELi64ELi4ELi4ELi64ELc78ELc78EKdS1_dEEvlllT_PT11_llS4_llS2_PT12_llPT13_lli.num_vgpr, 90
	.set _ZN12_GLOBAL__N_127rocblas_gemm_batched_kernelIdLi16ELi16ELi64ELi64ELi4ELi64ELi4ELi4ELi64ELc78ELc78EKdS1_dEEvlllT_PT11_llS4_llS2_PT12_llPT13_lli.num_agpr, 0
	.set _ZN12_GLOBAL__N_127rocblas_gemm_batched_kernelIdLi16ELi16ELi64ELi64ELi4ELi64ELi4ELi4ELi64ELc78ELc78EKdS1_dEEvlllT_PT11_llS4_llS2_PT12_llPT13_lli.numbered_sgpr, 44
	.set _ZN12_GLOBAL__N_127rocblas_gemm_batched_kernelIdLi16ELi16ELi64ELi64ELi4ELi64ELi4ELi4ELi64ELc78ELc78EKdS1_dEEvlllT_PT11_llS4_llS2_PT12_llPT13_lli.num_named_barrier, 0
	.set _ZN12_GLOBAL__N_127rocblas_gemm_batched_kernelIdLi16ELi16ELi64ELi64ELi4ELi64ELi4ELi4ELi64ELc78ELc78EKdS1_dEEvlllT_PT11_llS4_llS2_PT12_llPT13_lli.private_seg_size, 0
	.set _ZN12_GLOBAL__N_127rocblas_gemm_batched_kernelIdLi16ELi16ELi64ELi64ELi4ELi64ELi4ELi4ELi64ELc78ELc78EKdS1_dEEvlllT_PT11_llS4_llS2_PT12_llPT13_lli.uses_vcc, 1
	.set _ZN12_GLOBAL__N_127rocblas_gemm_batched_kernelIdLi16ELi16ELi64ELi64ELi4ELi64ELi4ELi4ELi64ELc78ELc78EKdS1_dEEvlllT_PT11_llS4_llS2_PT12_llPT13_lli.uses_flat_scratch, 0
	.set _ZN12_GLOBAL__N_127rocblas_gemm_batched_kernelIdLi16ELi16ELi64ELi64ELi4ELi64ELi4ELi4ELi64ELc78ELc78EKdS1_dEEvlllT_PT11_llS4_llS2_PT12_llPT13_lli.has_dyn_sized_stack, 0
	.set _ZN12_GLOBAL__N_127rocblas_gemm_batched_kernelIdLi16ELi16ELi64ELi64ELi4ELi64ELi4ELi4ELi64ELc78ELc78EKdS1_dEEvlllT_PT11_llS4_llS2_PT12_llPT13_lli.has_recursion, 0
	.set _ZN12_GLOBAL__N_127rocblas_gemm_batched_kernelIdLi16ELi16ELi64ELi64ELi4ELi64ELi4ELi4ELi64ELc78ELc78EKdS1_dEEvlllT_PT11_llS4_llS2_PT12_llPT13_lli.has_indirect_call, 0
	.section	.AMDGPU.csdata,"",@progbits
; Kernel info:
; codeLenInByte = 3192
; TotalNumSgprs: 46
; NumVgprs: 90
; ScratchSize: 0
; MemoryBound: 0
; FloatMode: 240
; IeeeMode: 1
; LDSByteSize: 4096 bytes/workgroup (compile time only)
; SGPRBlocks: 0
; VGPRBlocks: 11
; NumSGPRsForWavesPerEU: 46
; NumVGPRsForWavesPerEU: 90
; Occupancy: 16
; WaveLimiterHint : 1
; COMPUTE_PGM_RSRC2:SCRATCH_EN: 0
; COMPUTE_PGM_RSRC2:USER_SGPR: 2
; COMPUTE_PGM_RSRC2:TRAP_HANDLER: 0
; COMPUTE_PGM_RSRC2:TGID_X_EN: 1
; COMPUTE_PGM_RSRC2:TGID_Y_EN: 1
; COMPUTE_PGM_RSRC2:TGID_Z_EN: 1
; COMPUTE_PGM_RSRC2:TIDIG_COMP_CNT: 1
	.section	.text._ZN12_GLOBAL__N_127rocblas_gemm_batched_kernelIdLi16ELi16ELi64ELi64ELi4ELi64ELi4ELi4ELi64ELc84ELc78EKdS1_dEEvlllT_PT11_llS4_llS2_PT12_llPT13_lli,"axG",@progbits,_ZN12_GLOBAL__N_127rocblas_gemm_batched_kernelIdLi16ELi16ELi64ELi64ELi4ELi64ELi4ELi4ELi64ELc84ELc78EKdS1_dEEvlllT_PT11_llS4_llS2_PT12_llPT13_lli,comdat
	.globl	_ZN12_GLOBAL__N_127rocblas_gemm_batched_kernelIdLi16ELi16ELi64ELi64ELi4ELi64ELi4ELi4ELi64ELc84ELc78EKdS1_dEEvlllT_PT11_llS4_llS2_PT12_llPT13_lli ; -- Begin function _ZN12_GLOBAL__N_127rocblas_gemm_batched_kernelIdLi16ELi16ELi64ELi64ELi4ELi64ELi4ELi4ELi64ELc84ELc78EKdS1_dEEvlllT_PT11_llS4_llS2_PT12_llPT13_lli
	.p2align	8
	.type	_ZN12_GLOBAL__N_127rocblas_gemm_batched_kernelIdLi16ELi16ELi64ELi64ELi4ELi64ELi4ELi4ELi64ELc84ELc78EKdS1_dEEvlllT_PT11_llS4_llS2_PT12_llPT13_lli,@function
_ZN12_GLOBAL__N_127rocblas_gemm_batched_kernelIdLi16ELi16ELi64ELi64ELi4ELi64ELi4ELi4ELi64ELc84ELc78EKdS1_dEEvlllT_PT11_llS4_llS2_PT12_llPT13_lli: ; @_ZN12_GLOBAL__N_127rocblas_gemm_batched_kernelIdLi16ELi16ELi64ELi64ELi4ELi64ELi4ELi4ELi64ELc84ELc78EKdS1_dEEvlllT_PT11_llS4_llS2_PT12_llPT13_lli
; %bb.0:
	s_load_b32 s28, s[0:1], 0x88
	s_lshr_b32 s2, ttmp7, 16
	s_wait_kmcnt 0x0
	s_cmp_ge_i32 s2, s28
	s_cbranch_scc1 .LBB61_11
; %bb.1:
	s_clause 0x2
	s_load_b256 s[20:27], s[0:1], 0x50
	s_load_b256 s[36:43], s[0:1], 0x70
	s_load_b512 s[4:19], s[0:1], 0x10
	v_and_b32_e32 v10, 0x3ff, v0
	v_bfe_u32 v1, v0, 10, 10
	s_lshl_b32 s0, ttmp7, 6
	v_lshlrev_b32_e32 v0, 3, v0
	s_and_b32 s0, s0, 0x3fffc0
	s_mov_b32 s30, ttmp9
	v_lshl_add_u32 v2, v1, 4, v10
	v_add_nc_u32_e32 v8, s0, v1
	v_and_b32_e32 v11, 24, v0
	v_lshl_add_u32 v45, v1, 5, 0x800
	s_ashr_i32 s31, ttmp9, 31
	v_lshrrev_b32_e32 v6, 2, v2
	v_and_b32_e32 v12, 63, v2
	v_lshrrev_b32_e32 v13, 6, v2
	s_lshl_b64 s[30:31], s[30:31], 6
	s_mov_b32 s3, 0
	v_add_nc_u32_e32 v9, s0, v6
	s_wait_kmcnt 0x0
	v_mad_co_u64_u32 v[0:1], null, v8, s24, 0
	v_lshlrev_b32_e32 v7, 3, v12
	v_mad_co_u64_u32 v[4:5], null, v8, s38, 0
	v_mad_co_u64_u32 v[2:3], null, s16, v9, 0
	v_lshl_or_b32 v14, v6, 5, v11
	s_delay_alu instid0(VALU_DEP_4) | instskip(SKIP_1) | instid1(VALU_DEP_3)
	v_lshl_or_b32 v46, v13, 9, v7
	v_cmp_eq_f64_e64 s1, s[20:21], 0
	v_add_nc_u32_e32 v47, 0x800, v14
	v_mad_co_u64_u32 v[6:7], null, v8, s25, v[1:2]
	v_mov_b32_e32 v1, v3
	s_lshl_b64 s[24:25], s[24:25], 4
	s_delay_alu instid0(VALU_DEP_2) | instskip(NEXT) | instid1(VALU_DEP_2)
	v_mad_co_u64_u32 v[7:8], null, v8, s39, v[5:6]
	v_mad_co_u64_u32 v[8:9], null, s17, v9, v[1:2]
	v_dual_mov_b32 v1, v6 :: v_dual_lshlrev_b32 v44, 3, v10
	v_add_co_u32 v9, s0, s30, v10
	s_delay_alu instid0(VALU_DEP_4) | instskip(NEXT) | instid1(VALU_DEP_3)
	v_mov_b32_e32 v5, v7
	v_lshlrev_b64_e32 v[0:1], 3, v[0:1]
	v_mov_b32_e32 v3, v8
	v_or_b32_e32 v6, s30, v12
	s_wait_alu 0xf1ff
	v_add_co_ci_u32_e64 v10, null, s31, 0, s0
	s_mul_i32 s0, s10, s31
	v_lshlrev_b64_e32 v[2:3], 3, v[2:3]
	v_mul_lo_u32 v8, s11, v6
	v_mad_co_u64_u32 v[6:7], null, s10, v6, 0
	v_add_co_u32 v48, vcc_lo, s22, v0
	s_delay_alu instid0(VALU_DEP_1) | instskip(SKIP_2) | instid1(VALU_DEP_4)
	v_add_co_ci_u32_e64 v49, null, s23, v1, vcc_lo
	v_add_co_u32 v0, vcc_lo, v2, v11
	s_wait_alu 0xfffe
	v_add3_u32 v7, v7, s0, v8
	s_wait_alu 0xfffd
	v_add_co_ci_u32_e64 v1, null, 0, v3, vcc_lo
	v_cmp_gt_i64_e64 s0, s[4:5], 0
	v_add_co_u32 v0, vcc_lo, s14, v0
	v_lshlrev_b64_e32 v[2:3], 3, v[6:7]
	v_lshlrev_b32_e32 v6, 3, v13
	s_wait_alu 0xfffd
	v_add_co_ci_u32_e64 v1, null, s15, v1, vcc_lo
	s_wait_alu 0xf1ff
	v_cndmask_b32_e64 v8, 0, 1, s0
	v_lshlrev_b64_e32 v[4:5], 3, v[4:5]
	v_add_co_u32 v2, vcc_lo, v2, v6
	s_wait_alu 0xfffd
	v_add_co_ci_u32_e64 v3, null, 0, v3, vcc_lo
	v_lshlrev_b64_e32 v[6:7], 3, v[9:10]
	s_delay_alu instid0(VALU_DEP_3) | instskip(SKIP_1) | instid1(VALU_DEP_3)
	v_add_co_u32 v2, vcc_lo, s8, v2
	s_wait_alu 0xfffd
	v_add_co_ci_u32_e64 v3, null, s9, v3, vcc_lo
	v_cmp_ne_u32_e64 s0, 1, v8
	s_lshl_b64 s[16:17], s[38:39], 4
	s_lshl_b64 s[10:11], s[18:19], 3
	;; [unrolled: 1-line block ×4, first 2 shown]
	s_wait_alu 0xfffe
	s_lshl_b64 s[14:15], s[16:17], 3
	s_branch .LBB61_3
.LBB61_2:                               ;   in Loop: Header=BB61_3 Depth=1
	s_add_co_i32 s2, s2, 0x10000
	s_wait_alu 0xfffe
	s_cmp_lt_i32 s2, s28
	s_cbranch_scc0 .LBB61_11
.LBB61_3:                               ; =>This Loop Header: Depth=1
                                        ;     Child Loop BB61_5 Depth 2
	s_and_b32 vcc_lo, exec_lo, s0
	s_wait_alu 0xfffe
	s_cbranch_vccnz .LBB61_6
; %bb.4:                                ;   in Loop: Header=BB61_3 Depth=1
	v_mad_co_u64_u32 v[40:41], null, s10, s2, v[0:1]
	v_mad_co_u64_u32 v[42:43], null, s8, s2, v[2:3]
	v_mov_b32_e32 v16, 0
	v_mov_b32_e32 v24, 0
	;; [unrolled: 1-line block ×4, first 2 shown]
	v_dual_mov_b32 v22, v41 :: v_dual_mov_b32 v17, 0
	v_dual_mov_b32 v28, v43 :: v_dual_mov_b32 v25, 0
	v_dual_mov_b32 v9, 0 :: v_dual_mov_b32 v10, 0
	s_delay_alu instid0(VALU_DEP_3) | instskip(NEXT) | instid1(VALU_DEP_3)
	v_mad_co_u64_u32 v[30:31], null, s11, s2, v[22:23]
	v_mad_co_u64_u32 v[50:51], null, s9, s2, v[28:29]
	v_dual_mov_b32 v13, 0 :: v_dual_mov_b32 v14, 0
	v_mov_b32_e32 v18, 0
	v_mov_b32_e32 v20, 0
	v_mov_b32_e32 v22, 0
	v_dual_mov_b32 v26, 0 :: v_dual_mov_b32 v41, v30
	v_mov_b32_e32 v28, 0
	v_mov_b32_e32 v30, 0
	;; [unrolled: 1-line block ×5, first 2 shown]
	v_dual_mov_b32 v38, 0 :: v_dual_mov_b32 v43, v50
	v_mov_b32_e32 v11, 0
	v_mov_b32_e32 v15, 0
	;; [unrolled: 1-line block ×12, first 2 shown]
	s_mov_b64 s[16:17], 0
.LBB61_5:                               ;   Parent Loop BB61_3 Depth=1
                                        ; =>  This Inner Loop Header: Depth=2
	global_load_b64 v[50:51], v[42:43], off
	global_load_b64 v[52:53], v[40:41], off
	s_wait_alu 0xfffe
	s_add_nc_u64 s[16:17], s[16:17], 4
	v_add_co_u32 v40, vcc_lo, v40, 32
	s_wait_alu 0xfffe
	v_cmp_lt_i64_e64 s18, s[16:17], s[4:5]
	s_wait_alu 0xfffd
	v_add_co_ci_u32_e64 v41, null, 0, v41, vcc_lo
	v_add_co_u32 v42, vcc_lo, v42, 32
	s_wait_alu 0xfffd
	v_add_co_ci_u32_e64 v43, null, 0, v43, vcc_lo
	s_and_b32 vcc_lo, exec_lo, s18
	s_wait_loadcnt 0x1
	ds_store_b64 v46, v[50:51]
	s_wait_loadcnt 0x0
	ds_store_b64 v47, v[52:53]
	s_wait_dscnt 0x0
	s_barrier_signal -1
	s_barrier_wait -1
	global_inv scope:SCOPE_SE
	ds_load_b128 v[50:53], v45
	ds_load_2addr_b64 v[54:57], v44 offset1:16
	ds_load_2addr_b64 v[58:61], v44 offset0:32 offset1:48
	ds_load_b128 v[62:65], v45 offset:512
	ds_load_b128 v[66:69], v45 offset:1024
	;; [unrolled: 1-line block ×7, first 2 shown]
	s_wait_dscnt 0x8
	v_fma_f64 v[38:39], v[54:55], v[50:51], v[38:39]
	v_fma_f64 v[36:37], v[56:57], v[50:51], v[36:37]
	s_wait_dscnt 0x7
	v_fma_f64 v[34:35], v[58:59], v[50:51], v[34:35]
	v_fma_f64 v[32:33], v[60:61], v[50:51], v[32:33]
	;; [unrolled: 3-line block ×3, first 2 shown]
	v_fma_f64 v[26:27], v[58:59], v[62:63], v[26:27]
	v_fma_f64 v[24:25], v[60:61], v[62:63], v[24:25]
	s_wait_dscnt 0x5
	v_fma_f64 v[22:23], v[54:55], v[66:67], v[22:23]
	v_fma_f64 v[20:21], v[56:57], v[66:67], v[20:21]
	;; [unrolled: 1-line block ×4, first 2 shown]
	s_wait_dscnt 0x4
	v_fma_f64 v[50:51], v[54:55], v[70:71], v[14:15]
	v_fma_f64 v[54:55], v[56:57], v[70:71], v[12:13]
	;; [unrolled: 1-line block ×4, first 2 shown]
	ds_load_2addr_b64 v[8:11], v44 offset0:64 offset1:80
	ds_load_2addr_b64 v[12:15], v44 offset0:96 offset1:112
	s_wait_dscnt 0x1
	v_fma_f64 v[38:39], v[8:9], v[52:53], v[38:39]
	v_fma_f64 v[36:37], v[10:11], v[52:53], v[36:37]
	s_wait_dscnt 0x0
	v_fma_f64 v[34:35], v[12:13], v[52:53], v[34:35]
	v_fma_f64 v[32:33], v[14:15], v[52:53], v[32:33]
	;; [unrolled: 1-line block ×14, first 2 shown]
	ds_load_2addr_b64 v[8:11], v44 offset0:128 offset1:144
	ds_load_2addr_b64 v[12:15], v44 offset0:160 offset1:176
	s_wait_dscnt 0x1
	v_fma_f64 v[38:39], v[8:9], v[74:75], v[38:39]
	v_fma_f64 v[36:37], v[10:11], v[74:75], v[36:37]
	s_wait_dscnt 0x0
	v_fma_f64 v[34:35], v[12:13], v[74:75], v[34:35]
	v_fma_f64 v[32:33], v[14:15], v[74:75], v[32:33]
	;; [unrolled: 1-line block ×14, first 2 shown]
	ds_load_2addr_b64 v[8:11], v44 offset0:192 offset1:208
	ds_load_2addr_b64 v[50:53], v44 offset0:224 offset1:240
	s_wait_loadcnt_dscnt 0x0
	s_barrier_signal -1
	s_barrier_wait -1
	global_inv scope:SCOPE_SE
	v_fma_f64 v[38:39], v[8:9], v[76:77], v[38:39]
	v_fma_f64 v[36:37], v[10:11], v[76:77], v[36:37]
	;; [unrolled: 1-line block ×16, first 2 shown]
	s_wait_alu 0xfffe
	s_cbranch_vccnz .LBB61_5
	s_branch .LBB61_7
.LBB61_6:                               ;   in Loop: Header=BB61_3 Depth=1
	v_mov_b32_e32 v38, 0
	v_mov_b32_e32 v34, 0
	;; [unrolled: 1-line block ×7, first 2 shown]
	v_dual_mov_b32 v10, 0 :: v_dual_mov_b32 v39, 0
	v_dual_mov_b32 v36, 0 :: v_dual_mov_b32 v35, 0
	;; [unrolled: 1-line block ×9, first 2 shown]
	v_mov_b32_e32 v33, 0
	v_mov_b32_e32 v29, 0
	;; [unrolled: 1-line block ×7, first 2 shown]
.LBB61_7:                               ;   in Loop: Header=BB61_3 Depth=1
	s_mul_u64 s[16:17], s[40:41], s[2:3]
	s_and_not1_b32 vcc_lo, exec_lo, s1
	s_wait_alu 0xfffe
	s_lshl_b64 s[16:17], s[16:17], 3
	s_wait_alu 0xfffe
	s_add_nc_u64 s[16:17], s[36:37], s[16:17]
	s_cbranch_vccnz .LBB61_9
; %bb.8:                                ;   in Loop: Header=BB61_3 Depth=1
	v_mul_f64_e32 v[40:41], s[6:7], v[38:39]
	v_mul_f64_e32 v[42:43], s[6:7], v[36:37]
	;; [unrolled: 1-line block ×16, first 2 shown]
	s_wait_alu 0xfffe
	v_add_co_u32 v78, vcc_lo, s16, v4
	s_wait_alu 0xfffd
	v_add_co_ci_u32_e64 v79, null, s17, v5, vcc_lo
	s_delay_alu instid0(VALU_DEP_2) | instskip(SKIP_1) | instid1(VALU_DEP_2)
	v_add_co_u32 v82, vcc_lo, v78, s14
	s_wait_alu 0xfffd
	v_add_co_ci_u32_e64 v83, null, s15, v79, vcc_lo
	v_add_co_u32 v78, vcc_lo, v78, v6
	s_wait_alu 0xfffd
	v_add_co_ci_u32_e64 v79, null, v79, v7, vcc_lo
	;; [unrolled: 3-line block ×3, first 2 shown]
	s_clause 0x3
	global_store_b64 v[78:79], v[40:41], off
	global_store_b64 v[78:79], v[42:43], off offset:128
	global_store_b64 v[78:79], v[50:51], off offset:256
	;; [unrolled: 1-line block ×3, first 2 shown]
	v_add_co_u32 v40, vcc_lo, v82, s14
	s_wait_alu 0xfffd
	v_add_co_ci_u32_e64 v41, null, s15, v83, vcc_lo
	s_clause 0x3
	global_store_b64 v[80:81], v[54:55], off
	global_store_b64 v[80:81], v[56:57], off offset:128
	global_store_b64 v[80:81], v[58:59], off offset:256
	global_store_b64 v[80:81], v[60:61], off offset:384
	v_add_co_u32 v42, vcc_lo, v40, s14
	s_wait_alu 0xfffd
	v_add_co_ci_u32_e64 v43, null, s15, v41, vcc_lo
	v_add_co_u32 v40, vcc_lo, v40, v6
	s_wait_alu 0xfffd
	v_add_co_ci_u32_e64 v41, null, v41, v7, vcc_lo
	;; [unrolled: 3-line block ×3, first 2 shown]
	s_clause 0x7
	global_store_b64 v[40:41], v[62:63], off
	global_store_b64 v[40:41], v[64:65], off offset:128
	global_store_b64 v[40:41], v[66:67], off offset:256
	;; [unrolled: 1-line block ×3, first 2 shown]
	global_store_b64 v[42:43], v[70:71], off
	global_store_b64 v[42:43], v[72:73], off offset:128
	global_store_b64 v[42:43], v[74:75], off offset:256
	global_store_b64 v[42:43], v[76:77], off offset:384
	s_cbranch_execnz .LBB61_2
	s_branch .LBB61_10
.LBB61_9:                               ;   in Loop: Header=BB61_3 Depth=1
.LBB61_10:                              ;   in Loop: Header=BB61_3 Depth=1
	s_mul_u64 s[18:19], s[26:27], s[2:3]
	s_wait_alu 0xfffe
	s_lshl_b64 s[18:19], s[18:19], 3
	s_wait_alu 0xfffe
	v_add_co_u32 v50, vcc_lo, v48, s18
	s_wait_alu 0xfffd
	v_add_co_ci_u32_e64 v51, null, s19, v49, vcc_lo
	s_delay_alu instid0(VALU_DEP_2) | instskip(SKIP_1) | instid1(VALU_DEP_2)
	v_add_co_u32 v40, vcc_lo, v50, v6
	s_wait_alu 0xfffd
	v_add_co_ci_u32_e64 v41, null, v51, v7, vcc_lo
	v_add_co_u32 v52, vcc_lo, s16, v4
	s_wait_alu 0xfffd
	v_add_co_ci_u32_e64 v53, null, s17, v5, vcc_lo
	global_load_b64 v[42:43], v[40:41], off
	s_wait_loadcnt 0x0
	v_mul_f64_e32 v[42:43], s[20:21], v[42:43]
	s_delay_alu instid0(VALU_DEP_1)
	v_fma_f64 v[38:39], s[6:7], v[38:39], v[42:43]
	v_add_co_u32 v42, vcc_lo, v52, v6
	s_wait_alu 0xfffd
	v_add_co_ci_u32_e64 v43, null, v53, v7, vcc_lo
	global_store_b64 v[42:43], v[38:39], off
	global_load_b64 v[38:39], v[40:41], off offset:128
	s_wait_loadcnt 0x0
	v_mul_f64_e32 v[38:39], s[20:21], v[38:39]
	s_delay_alu instid0(VALU_DEP_1) | instskip(SKIP_4) | instid1(VALU_DEP_1)
	v_fma_f64 v[36:37], s[6:7], v[36:37], v[38:39]
	global_store_b64 v[42:43], v[36:37], off offset:128
	global_load_b64 v[36:37], v[40:41], off offset:256
	s_wait_loadcnt 0x0
	v_mul_f64_e32 v[36:37], s[20:21], v[36:37]
	v_fma_f64 v[34:35], s[6:7], v[34:35], v[36:37]
	v_add_co_u32 v36, vcc_lo, v50, s12
	s_wait_alu 0xfffd
	v_add_co_ci_u32_e64 v37, null, s13, v51, vcc_lo
	global_store_b64 v[42:43], v[34:35], off offset:256
	global_load_b64 v[34:35], v[40:41], off offset:384
	s_wait_loadcnt 0x0
	v_mul_f64_e32 v[34:35], s[20:21], v[34:35]
	s_delay_alu instid0(VALU_DEP_1)
	v_fma_f64 v[32:33], s[6:7], v[32:33], v[34:35]
	v_add_co_u32 v34, vcc_lo, v36, v6
	s_wait_alu 0xfffd
	v_add_co_ci_u32_e64 v35, null, v37, v7, vcc_lo
	v_add_co_u32 v38, vcc_lo, v52, s14
	s_wait_alu 0xfffd
	v_add_co_ci_u32_e64 v39, null, s15, v53, vcc_lo
	global_store_b64 v[42:43], v[32:33], off offset:384
	global_load_b64 v[32:33], v[34:35], off
	s_wait_loadcnt 0x0
	v_mul_f64_e32 v[32:33], s[20:21], v[32:33]
	s_delay_alu instid0(VALU_DEP_1)
	v_fma_f64 v[30:31], s[6:7], v[30:31], v[32:33]
	v_add_co_u32 v32, vcc_lo, v38, v6
	s_wait_alu 0xfffd
	v_add_co_ci_u32_e64 v33, null, v39, v7, vcc_lo
	global_store_b64 v[32:33], v[30:31], off
	global_load_b64 v[30:31], v[34:35], off offset:128
	s_wait_loadcnt 0x0
	v_mul_f64_e32 v[30:31], s[20:21], v[30:31]
	s_delay_alu instid0(VALU_DEP_1) | instskip(SKIP_4) | instid1(VALU_DEP_1)
	v_fma_f64 v[28:29], s[6:7], v[28:29], v[30:31]
	global_store_b64 v[32:33], v[28:29], off offset:128
	global_load_b64 v[28:29], v[34:35], off offset:256
	s_wait_loadcnt 0x0
	v_mul_f64_e32 v[28:29], s[20:21], v[28:29]
	v_fma_f64 v[26:27], s[6:7], v[26:27], v[28:29]
	v_add_co_u32 v28, vcc_lo, v36, s12
	s_wait_alu 0xfffd
	v_add_co_ci_u32_e64 v29, null, s13, v37, vcc_lo
	global_store_b64 v[32:33], v[26:27], off offset:256
	global_load_b64 v[26:27], v[34:35], off offset:384
	s_wait_loadcnt 0x0
	v_mul_f64_e32 v[26:27], s[20:21], v[26:27]
	s_delay_alu instid0(VALU_DEP_1)
	v_fma_f64 v[24:25], s[6:7], v[24:25], v[26:27]
	v_add_co_u32 v26, vcc_lo, v28, v6
	s_wait_alu 0xfffd
	v_add_co_ci_u32_e64 v27, null, v29, v7, vcc_lo
	v_add_co_u32 v30, vcc_lo, v38, s14
	s_wait_alu 0xfffd
	v_add_co_ci_u32_e64 v31, null, s15, v39, vcc_lo
	global_store_b64 v[32:33], v[24:25], off offset:384
	global_load_b64 v[24:25], v[26:27], off
	s_wait_loadcnt 0x0
	v_mul_f64_e32 v[24:25], s[20:21], v[24:25]
	s_delay_alu instid0(VALU_DEP_1)
	v_fma_f64 v[22:23], s[6:7], v[22:23], v[24:25]
	v_add_co_u32 v24, vcc_lo, v30, v6
	s_wait_alu 0xfffd
	v_add_co_ci_u32_e64 v25, null, v31, v7, vcc_lo
	global_store_b64 v[24:25], v[22:23], off
	global_load_b64 v[22:23], v[26:27], off offset:128
	s_wait_loadcnt 0x0
	v_mul_f64_e32 v[22:23], s[20:21], v[22:23]
	s_delay_alu instid0(VALU_DEP_1) | instskip(SKIP_4) | instid1(VALU_DEP_1)
	v_fma_f64 v[20:21], s[6:7], v[20:21], v[22:23]
	global_store_b64 v[24:25], v[20:21], off offset:128
	global_load_b64 v[20:21], v[26:27], off offset:256
	s_wait_loadcnt 0x0
	v_mul_f64_e32 v[20:21], s[20:21], v[20:21]
	v_fma_f64 v[18:19], s[6:7], v[18:19], v[20:21]
	global_store_b64 v[24:25], v[18:19], off offset:256
	global_load_b64 v[18:19], v[26:27], off offset:384
	s_wait_loadcnt 0x0
	v_mul_f64_e32 v[18:19], s[20:21], v[18:19]
	s_delay_alu instid0(VALU_DEP_1) | instskip(SKIP_3) | instid1(VALU_DEP_2)
	v_fma_f64 v[16:17], s[6:7], v[16:17], v[18:19]
	v_add_co_u32 v18, vcc_lo, v28, s12
	s_wait_alu 0xfffd
	v_add_co_ci_u32_e64 v19, null, s13, v29, vcc_lo
	v_add_co_u32 v18, vcc_lo, v18, v6
	s_wait_alu 0xfffd
	s_delay_alu instid0(VALU_DEP_2) | instskip(SKIP_4) | instid1(VALU_DEP_1)
	v_add_co_ci_u32_e64 v19, null, v19, v7, vcc_lo
	global_store_b64 v[24:25], v[16:17], off offset:384
	global_load_b64 v[16:17], v[18:19], off
	s_wait_loadcnt 0x0
	v_mul_f64_e32 v[16:17], s[20:21], v[16:17]
	v_fma_f64 v[14:15], s[6:7], v[14:15], v[16:17]
	v_add_co_u32 v16, vcc_lo, v30, s14
	s_wait_alu 0xfffd
	v_add_co_ci_u32_e64 v17, null, s15, v31, vcc_lo
	s_delay_alu instid0(VALU_DEP_2) | instskip(SKIP_1) | instid1(VALU_DEP_2)
	v_add_co_u32 v16, vcc_lo, v16, v6
	s_wait_alu 0xfffd
	v_add_co_ci_u32_e64 v17, null, v17, v7, vcc_lo
	global_store_b64 v[16:17], v[14:15], off
	global_load_b64 v[14:15], v[18:19], off offset:128
	s_wait_loadcnt 0x0
	v_mul_f64_e32 v[14:15], s[20:21], v[14:15]
	s_delay_alu instid0(VALU_DEP_1) | instskip(SKIP_4) | instid1(VALU_DEP_1)
	v_fma_f64 v[12:13], s[6:7], v[12:13], v[14:15]
	global_store_b64 v[16:17], v[12:13], off offset:128
	global_load_b64 v[12:13], v[18:19], off offset:256
	s_wait_loadcnt 0x0
	v_mul_f64_e32 v[12:13], s[20:21], v[12:13]
	v_fma_f64 v[10:11], s[6:7], v[10:11], v[12:13]
	global_store_b64 v[16:17], v[10:11], off offset:256
	global_load_b64 v[10:11], v[18:19], off offset:384
	s_wait_loadcnt 0x0
	v_mul_f64_e32 v[10:11], s[20:21], v[10:11]
	s_delay_alu instid0(VALU_DEP_1)
	v_fma_f64 v[8:9], s[6:7], v[8:9], v[10:11]
	global_store_b64 v[16:17], v[8:9], off offset:384
	s_branch .LBB61_2
.LBB61_11:
	s_endpgm
	.section	.rodata,"a",@progbits
	.p2align	6, 0x0
	.amdhsa_kernel _ZN12_GLOBAL__N_127rocblas_gemm_batched_kernelIdLi16ELi16ELi64ELi64ELi4ELi64ELi4ELi4ELi64ELc84ELc78EKdS1_dEEvlllT_PT11_llS4_llS2_PT12_llPT13_lli
		.amdhsa_group_segment_fixed_size 4096
		.amdhsa_private_segment_fixed_size 0
		.amdhsa_kernarg_size 140
		.amdhsa_user_sgpr_count 2
		.amdhsa_user_sgpr_dispatch_ptr 0
		.amdhsa_user_sgpr_queue_ptr 0
		.amdhsa_user_sgpr_kernarg_segment_ptr 1
		.amdhsa_user_sgpr_dispatch_id 0
		.amdhsa_user_sgpr_private_segment_size 0
		.amdhsa_wavefront_size32 1
		.amdhsa_uses_dynamic_stack 0
		.amdhsa_enable_private_segment 0
		.amdhsa_system_sgpr_workgroup_id_x 1
		.amdhsa_system_sgpr_workgroup_id_y 1
		.amdhsa_system_sgpr_workgroup_id_z 1
		.amdhsa_system_sgpr_workgroup_info 0
		.amdhsa_system_vgpr_workitem_id 1
		.amdhsa_next_free_vgpr 90
		.amdhsa_next_free_sgpr 44
		.amdhsa_reserve_vcc 1
		.amdhsa_float_round_mode_32 0
		.amdhsa_float_round_mode_16_64 0
		.amdhsa_float_denorm_mode_32 3
		.amdhsa_float_denorm_mode_16_64 3
		.amdhsa_fp16_overflow 0
		.amdhsa_workgroup_processor_mode 1
		.amdhsa_memory_ordered 1
		.amdhsa_forward_progress 1
		.amdhsa_inst_pref_size 26
		.amdhsa_round_robin_scheduling 0
		.amdhsa_exception_fp_ieee_invalid_op 0
		.amdhsa_exception_fp_denorm_src 0
		.amdhsa_exception_fp_ieee_div_zero 0
		.amdhsa_exception_fp_ieee_overflow 0
		.amdhsa_exception_fp_ieee_underflow 0
		.amdhsa_exception_fp_ieee_inexact 0
		.amdhsa_exception_int_div_zero 0
	.end_amdhsa_kernel
	.section	.text._ZN12_GLOBAL__N_127rocblas_gemm_batched_kernelIdLi16ELi16ELi64ELi64ELi4ELi64ELi4ELi4ELi64ELc84ELc78EKdS1_dEEvlllT_PT11_llS4_llS2_PT12_llPT13_lli,"axG",@progbits,_ZN12_GLOBAL__N_127rocblas_gemm_batched_kernelIdLi16ELi16ELi64ELi64ELi4ELi64ELi4ELi4ELi64ELc84ELc78EKdS1_dEEvlllT_PT11_llS4_llS2_PT12_llPT13_lli,comdat
.Lfunc_end61:
	.size	_ZN12_GLOBAL__N_127rocblas_gemm_batched_kernelIdLi16ELi16ELi64ELi64ELi4ELi64ELi4ELi4ELi64ELc84ELc78EKdS1_dEEvlllT_PT11_llS4_llS2_PT12_llPT13_lli, .Lfunc_end61-_ZN12_GLOBAL__N_127rocblas_gemm_batched_kernelIdLi16ELi16ELi64ELi64ELi4ELi64ELi4ELi4ELi64ELc84ELc78EKdS1_dEEvlllT_PT11_llS4_llS2_PT12_llPT13_lli
                                        ; -- End function
	.set _ZN12_GLOBAL__N_127rocblas_gemm_batched_kernelIdLi16ELi16ELi64ELi64ELi4ELi64ELi4ELi4ELi64ELc84ELc78EKdS1_dEEvlllT_PT11_llS4_llS2_PT12_llPT13_lli.num_vgpr, 90
	.set _ZN12_GLOBAL__N_127rocblas_gemm_batched_kernelIdLi16ELi16ELi64ELi64ELi4ELi64ELi4ELi4ELi64ELc84ELc78EKdS1_dEEvlllT_PT11_llS4_llS2_PT12_llPT13_lli.num_agpr, 0
	.set _ZN12_GLOBAL__N_127rocblas_gemm_batched_kernelIdLi16ELi16ELi64ELi64ELi4ELi64ELi4ELi4ELi64ELc84ELc78EKdS1_dEEvlllT_PT11_llS4_llS2_PT12_llPT13_lli.numbered_sgpr, 44
	.set _ZN12_GLOBAL__N_127rocblas_gemm_batched_kernelIdLi16ELi16ELi64ELi64ELi4ELi64ELi4ELi4ELi64ELc84ELc78EKdS1_dEEvlllT_PT11_llS4_llS2_PT12_llPT13_lli.num_named_barrier, 0
	.set _ZN12_GLOBAL__N_127rocblas_gemm_batched_kernelIdLi16ELi16ELi64ELi64ELi4ELi64ELi4ELi4ELi64ELc84ELc78EKdS1_dEEvlllT_PT11_llS4_llS2_PT12_llPT13_lli.private_seg_size, 0
	.set _ZN12_GLOBAL__N_127rocblas_gemm_batched_kernelIdLi16ELi16ELi64ELi64ELi4ELi64ELi4ELi4ELi64ELc84ELc78EKdS1_dEEvlllT_PT11_llS4_llS2_PT12_llPT13_lli.uses_vcc, 1
	.set _ZN12_GLOBAL__N_127rocblas_gemm_batched_kernelIdLi16ELi16ELi64ELi64ELi4ELi64ELi4ELi4ELi64ELc84ELc78EKdS1_dEEvlllT_PT11_llS4_llS2_PT12_llPT13_lli.uses_flat_scratch, 0
	.set _ZN12_GLOBAL__N_127rocblas_gemm_batched_kernelIdLi16ELi16ELi64ELi64ELi4ELi64ELi4ELi4ELi64ELc84ELc78EKdS1_dEEvlllT_PT11_llS4_llS2_PT12_llPT13_lli.has_dyn_sized_stack, 0
	.set _ZN12_GLOBAL__N_127rocblas_gemm_batched_kernelIdLi16ELi16ELi64ELi64ELi4ELi64ELi4ELi4ELi64ELc84ELc78EKdS1_dEEvlllT_PT11_llS4_llS2_PT12_llPT13_lli.has_recursion, 0
	.set _ZN12_GLOBAL__N_127rocblas_gemm_batched_kernelIdLi16ELi16ELi64ELi64ELi4ELi64ELi4ELi4ELi64ELc84ELc78EKdS1_dEEvlllT_PT11_llS4_llS2_PT12_llPT13_lli.has_indirect_call, 0
	.section	.AMDGPU.csdata,"",@progbits
; Kernel info:
; codeLenInByte = 3212
; TotalNumSgprs: 46
; NumVgprs: 90
; ScratchSize: 0
; MemoryBound: 0
; FloatMode: 240
; IeeeMode: 1
; LDSByteSize: 4096 bytes/workgroup (compile time only)
; SGPRBlocks: 0
; VGPRBlocks: 11
; NumSGPRsForWavesPerEU: 46
; NumVGPRsForWavesPerEU: 90
; Occupancy: 16
; WaveLimiterHint : 1
; COMPUTE_PGM_RSRC2:SCRATCH_EN: 0
; COMPUTE_PGM_RSRC2:USER_SGPR: 2
; COMPUTE_PGM_RSRC2:TRAP_HANDLER: 0
; COMPUTE_PGM_RSRC2:TGID_X_EN: 1
; COMPUTE_PGM_RSRC2:TGID_Y_EN: 1
; COMPUTE_PGM_RSRC2:TGID_Z_EN: 1
; COMPUTE_PGM_RSRC2:TIDIG_COMP_CNT: 1
	.section	.text._ZN12_GLOBAL__N_127rocblas_gemm_batched_kernelIdLi16ELi16ELi64ELi64ELi4ELi64ELi4ELi4ELi64ELc78ELc84EKdS1_dEEvlllT_PT11_llS4_llS2_PT12_llPT13_lli,"axG",@progbits,_ZN12_GLOBAL__N_127rocblas_gemm_batched_kernelIdLi16ELi16ELi64ELi64ELi4ELi64ELi4ELi4ELi64ELc78ELc84EKdS1_dEEvlllT_PT11_llS4_llS2_PT12_llPT13_lli,comdat
	.globl	_ZN12_GLOBAL__N_127rocblas_gemm_batched_kernelIdLi16ELi16ELi64ELi64ELi4ELi64ELi4ELi4ELi64ELc78ELc84EKdS1_dEEvlllT_PT11_llS4_llS2_PT12_llPT13_lli ; -- Begin function _ZN12_GLOBAL__N_127rocblas_gemm_batched_kernelIdLi16ELi16ELi64ELi64ELi4ELi64ELi4ELi4ELi64ELc78ELc84EKdS1_dEEvlllT_PT11_llS4_llS2_PT12_llPT13_lli
	.p2align	8
	.type	_ZN12_GLOBAL__N_127rocblas_gemm_batched_kernelIdLi16ELi16ELi64ELi64ELi4ELi64ELi4ELi4ELi64ELc78ELc84EKdS1_dEEvlllT_PT11_llS4_llS2_PT12_llPT13_lli,@function
_ZN12_GLOBAL__N_127rocblas_gemm_batched_kernelIdLi16ELi16ELi64ELi64ELi4ELi64ELi4ELi4ELi64ELc78ELc84EKdS1_dEEvlllT_PT11_llS4_llS2_PT12_llPT13_lli: ; @_ZN12_GLOBAL__N_127rocblas_gemm_batched_kernelIdLi16ELi16ELi64ELi64ELi4ELi64ELi4ELi4ELi64ELc78ELc84EKdS1_dEEvlllT_PT11_llS4_llS2_PT12_llPT13_lli
; %bb.0:
	s_load_b32 s28, s[0:1], 0x88
	s_lshr_b32 s2, ttmp7, 16
	s_wait_kmcnt 0x0
	s_cmp_ge_i32 s2, s28
	s_cbranch_scc1 .LBB62_11
; %bb.1:
	s_clause 0x1
	s_load_b256 s[20:27], s[0:1], 0x70
	s_load_b256 s[36:43], s[0:1], 0x50
	v_dual_mov_b32 v1, 0 :: v_dual_and_b32 v8, 0x3ff, v0
	v_bfe_u32 v6, v0, 10, 10
	s_load_b512 s[4:19], s[0:1], 0x10
	v_and_b32_e32 v11, 3, v0
	s_lshl_b32 s0, ttmp7, 6
	s_mov_b32 s30, ttmp9
	v_lshl_add_u32 v2, v6, 4, v8
	s_and_b32 s0, s0, 0x3fffc0
	v_lshlrev_b32_e32 v3, 3, v11
	v_add_nc_u32_e32 v7, s0, v6
	v_lshl_add_u32 v47, v6, 5, 0x800
	v_lshrrev_b32_e32 v0, 2, v2
	v_and_b32_e32 v14, 63, v2
	v_lshrrev_b32_e32 v13, 6, v2
	s_ashr_i32 s31, ttmp9, 31
	s_mov_b32 s3, 0
	v_lshl_or_b32 v10, v0, 5, v3
	s_wait_kmcnt 0x0
	v_mad_co_u64_u32 v[4:5], null, v7, s22, 0
	v_mad_co_u64_u32 v[2:3], null, v7, s40, 0
	s_lshl_b64 s[26:27], s[30:31], 6
	v_add_nc_u32_e32 v45, 0x800, v10
	v_mad_co_u64_u32 v[0:1], null, s16, v11, v[0:1]
	v_mad_co_u64_u32 v[5:6], null, v7, s23, v[5:6]
	;; [unrolled: 1-line block ×3, first 2 shown]
	v_cmp_eq_f64_e64 s1, s[36:37], 0
	v_add_co_u32 v7, s29, s26, v8
	v_mad_co_u64_u32 v[11:12], null, s17, v11, v[1:2]
	s_lshl_b64 s[22:23], s[22:23], 4
	v_mov_b32_e32 v3, v6
	v_lshlrev_b32_e32 v9, 3, v14
	s_lshl_b64 s[16:17], s[16:17], 5
	s_delay_alu instid0(VALU_DEP_2) | instskip(NEXT) | instid1(VALU_DEP_2)
	v_lshlrev_b64_e32 v[1:2], 3, v[2:3]
	v_lshl_or_b32 v44, v13, 9, v9
	v_mad_co_u64_u32 v[9:10], null, s10, v13, s[26:27]
	v_lshlrev_b32_e32 v46, 3, v8
	v_add_co_ci_u32_e64 v8, null, s27, 0, s29
	s_lshl_b64 s[26:27], s[40:41], 4
	v_mov_b32_e32 v3, v10
	v_add_co_u32 v10, vcc_lo, v0, s0
	s_delay_alu instid0(VALU_DEP_1) | instskip(NEXT) | instid1(VALU_DEP_3)
	v_add_co_ci_u32_e64 v11, null, 0, v11, vcc_lo
	v_mad_co_u64_u32 v[12:13], null, s11, v13, v[3:4]
	v_add_co_u32 v48, vcc_lo, s38, v1
	s_wait_alu 0xfffd
	v_add_co_ci_u32_e64 v49, null, s39, v2, vcc_lo
	v_add_co_u32 v2, vcc_lo, v9, v14
	s_wait_alu 0xfffd
	s_delay_alu instid0(VALU_DEP_4) | instskip(SKIP_3) | instid1(VALU_DEP_4)
	v_add_co_ci_u32_e64 v3, null, 0, v12, vcc_lo
	v_cmp_gt_i64_e64 s0, s[4:5], 0
	v_lshlrev_b64_e32 v[0:1], 3, v[10:11]
	v_lshlrev_b64_e32 v[4:5], 3, v[4:5]
	;; [unrolled: 1-line block ×4, first 2 shown]
	s_lshl_b64 s[10:11], s[10:11], 5
	v_cndmask_b32_e64 v9, 0, 1, s0
	v_add_co_u32 v0, vcc_lo, s14, v0
	s_wait_alu 0xfffd
	v_add_co_ci_u32_e64 v1, null, s15, v1, vcc_lo
	v_add_co_u32 v2, vcc_lo, s8, v2
	s_wait_alu 0xfffd
	v_add_co_ci_u32_e64 v3, null, s9, v3, vcc_lo
	v_cmp_ne_u32_e64 s0, 1, v9
	s_lshl_b64 s[14:15], s[18:19], 3
	s_lshl_b64 s[8:9], s[12:13], 3
	s_wait_alu 0xfffe
	s_lshl_b64 s[12:13], s[26:27], 3
	s_lshl_b64 s[18:19], s[22:23], 3
	s_branch .LBB62_3
.LBB62_2:                               ;   in Loop: Header=BB62_3 Depth=1
	s_add_co_i32 s2, s2, 0x10000
	s_wait_alu 0xfffe
	s_cmp_lt_i32 s2, s28
	s_cbranch_scc0 .LBB62_11
.LBB62_3:                               ; =>This Loop Header: Depth=1
                                        ;     Child Loop BB62_5 Depth 2
	s_and_b32 vcc_lo, exec_lo, s0
	s_wait_alu 0xfffe
	s_cbranch_vccnz .LBB62_6
; %bb.4:                                ;   in Loop: Header=BB62_3 Depth=1
	v_mad_co_u64_u32 v[40:41], null, s14, s2, v[0:1]
	v_mad_co_u64_u32 v[42:43], null, s8, s2, v[2:3]
	v_mov_b32_e32 v16, 0
	v_mov_b32_e32 v24, 0
	;; [unrolled: 1-line block ×4, first 2 shown]
	v_dual_mov_b32 v22, v41 :: v_dual_mov_b32 v17, 0
	v_dual_mov_b32 v28, v43 :: v_dual_mov_b32 v25, 0
	;; [unrolled: 1-line block ×3, first 2 shown]
	s_delay_alu instid0(VALU_DEP_3) | instskip(NEXT) | instid1(VALU_DEP_3)
	v_mad_co_u64_u32 v[30:31], null, s15, s2, v[22:23]
	v_mad_co_u64_u32 v[50:51], null, s9, s2, v[28:29]
	v_dual_mov_b32 v13, 0 :: v_dual_mov_b32 v14, 0
	v_mov_b32_e32 v18, 0
	v_mov_b32_e32 v20, 0
	;; [unrolled: 1-line block ×3, first 2 shown]
	v_dual_mov_b32 v26, 0 :: v_dual_mov_b32 v41, v30
	v_mov_b32_e32 v28, 0
	v_mov_b32_e32 v30, 0
	v_mov_b32_e32 v32, 0
	v_mov_b32_e32 v34, 0
	v_mov_b32_e32 v36, 0
	v_dual_mov_b32 v38, 0 :: v_dual_mov_b32 v43, v50
	v_mov_b32_e32 v11, 0
	v_mov_b32_e32 v15, 0
	;; [unrolled: 1-line block ×12, first 2 shown]
	s_mov_b64 s[22:23], 0
.LBB62_5:                               ;   Parent Loop BB62_3 Depth=1
                                        ; =>  This Inner Loop Header: Depth=2
	global_load_b64 v[50:51], v[42:43], off
	global_load_b64 v[52:53], v[40:41], off
	s_wait_alu 0xfffe
	s_add_nc_u64 s[22:23], s[22:23], 4
	v_add_co_u32 v40, vcc_lo, v40, s16
	s_wait_alu 0xfffe
	v_cmp_lt_i64_e64 s26, s[22:23], s[4:5]
	s_wait_alu 0xfffd
	v_add_co_ci_u32_e64 v41, null, s17, v41, vcc_lo
	v_add_co_u32 v42, vcc_lo, v42, s10
	s_wait_alu 0xfffd
	v_add_co_ci_u32_e64 v43, null, s11, v43, vcc_lo
	s_and_b32 vcc_lo, exec_lo, s26
	s_wait_loadcnt 0x1
	ds_store_b64 v44, v[50:51]
	s_wait_loadcnt 0x0
	ds_store_b64 v45, v[52:53]
	s_wait_dscnt 0x0
	s_barrier_signal -1
	s_barrier_wait -1
	global_inv scope:SCOPE_SE
	ds_load_b128 v[50:53], v47
	ds_load_2addr_b64 v[54:57], v46 offset1:16
	ds_load_2addr_b64 v[58:61], v46 offset0:32 offset1:48
	ds_load_b128 v[62:65], v47 offset:512
	ds_load_b128 v[66:69], v47 offset:1024
	;; [unrolled: 1-line block ×7, first 2 shown]
	s_wait_dscnt 0x8
	v_fma_f64 v[38:39], v[54:55], v[50:51], v[38:39]
	v_fma_f64 v[36:37], v[56:57], v[50:51], v[36:37]
	s_wait_dscnt 0x7
	v_fma_f64 v[34:35], v[58:59], v[50:51], v[34:35]
	v_fma_f64 v[32:33], v[60:61], v[50:51], v[32:33]
	;; [unrolled: 3-line block ×3, first 2 shown]
	v_fma_f64 v[26:27], v[58:59], v[62:63], v[26:27]
	v_fma_f64 v[24:25], v[60:61], v[62:63], v[24:25]
	s_wait_dscnt 0x5
	v_fma_f64 v[22:23], v[54:55], v[66:67], v[22:23]
	v_fma_f64 v[20:21], v[56:57], v[66:67], v[20:21]
	;; [unrolled: 1-line block ×4, first 2 shown]
	s_wait_dscnt 0x4
	v_fma_f64 v[50:51], v[54:55], v[70:71], v[14:15]
	v_fma_f64 v[54:55], v[56:57], v[70:71], v[12:13]
	;; [unrolled: 1-line block ×4, first 2 shown]
	ds_load_2addr_b64 v[8:11], v46 offset0:64 offset1:80
	ds_load_2addr_b64 v[12:15], v46 offset0:96 offset1:112
	s_wait_dscnt 0x1
	v_fma_f64 v[38:39], v[8:9], v[52:53], v[38:39]
	v_fma_f64 v[36:37], v[10:11], v[52:53], v[36:37]
	s_wait_dscnt 0x0
	v_fma_f64 v[34:35], v[12:13], v[52:53], v[34:35]
	v_fma_f64 v[32:33], v[14:15], v[52:53], v[32:33]
	;; [unrolled: 1-line block ×14, first 2 shown]
	ds_load_2addr_b64 v[8:11], v46 offset0:128 offset1:144
	ds_load_2addr_b64 v[12:15], v46 offset0:160 offset1:176
	s_wait_dscnt 0x1
	v_fma_f64 v[38:39], v[8:9], v[74:75], v[38:39]
	v_fma_f64 v[36:37], v[10:11], v[74:75], v[36:37]
	s_wait_dscnt 0x0
	v_fma_f64 v[34:35], v[12:13], v[74:75], v[34:35]
	v_fma_f64 v[32:33], v[14:15], v[74:75], v[32:33]
	;; [unrolled: 1-line block ×14, first 2 shown]
	ds_load_2addr_b64 v[8:11], v46 offset0:192 offset1:208
	ds_load_2addr_b64 v[50:53], v46 offset0:224 offset1:240
	s_wait_loadcnt_dscnt 0x0
	s_barrier_signal -1
	s_barrier_wait -1
	global_inv scope:SCOPE_SE
	v_fma_f64 v[38:39], v[8:9], v[76:77], v[38:39]
	v_fma_f64 v[36:37], v[10:11], v[76:77], v[36:37]
	;; [unrolled: 1-line block ×16, first 2 shown]
	s_wait_alu 0xfffe
	s_cbranch_vccnz .LBB62_5
	s_branch .LBB62_7
.LBB62_6:                               ;   in Loop: Header=BB62_3 Depth=1
	v_mov_b32_e32 v38, 0
	v_mov_b32_e32 v34, 0
	;; [unrolled: 1-line block ×7, first 2 shown]
	v_dual_mov_b32 v10, 0 :: v_dual_mov_b32 v39, 0
	v_dual_mov_b32 v36, 0 :: v_dual_mov_b32 v35, 0
	;; [unrolled: 1-line block ×9, first 2 shown]
	v_mov_b32_e32 v33, 0
	v_mov_b32_e32 v29, 0
	;; [unrolled: 1-line block ×7, first 2 shown]
.LBB62_7:                               ;   in Loop: Header=BB62_3 Depth=1
	s_mul_u64 s[22:23], s[24:25], s[2:3]
	s_and_not1_b32 vcc_lo, exec_lo, s1
	s_wait_alu 0xfffe
	s_lshl_b64 s[22:23], s[22:23], 3
	s_wait_alu 0xfffe
	s_add_nc_u64 s[22:23], s[20:21], s[22:23]
	s_cbranch_vccnz .LBB62_9
; %bb.8:                                ;   in Loop: Header=BB62_3 Depth=1
	v_mul_f64_e32 v[40:41], s[6:7], v[38:39]
	v_mul_f64_e32 v[42:43], s[6:7], v[36:37]
	;; [unrolled: 1-line block ×16, first 2 shown]
	s_wait_alu 0xfffe
	v_add_co_u32 v78, vcc_lo, s22, v4
	s_wait_alu 0xfffd
	v_add_co_ci_u32_e64 v79, null, s23, v5, vcc_lo
	s_delay_alu instid0(VALU_DEP_2) | instskip(SKIP_1) | instid1(VALU_DEP_2)
	v_add_co_u32 v82, vcc_lo, v78, s18
	s_wait_alu 0xfffd
	v_add_co_ci_u32_e64 v83, null, s19, v79, vcc_lo
	v_add_co_u32 v78, vcc_lo, v78, v6
	s_wait_alu 0xfffd
	v_add_co_ci_u32_e64 v79, null, v79, v7, vcc_lo
	;; [unrolled: 3-line block ×3, first 2 shown]
	s_clause 0x3
	global_store_b64 v[78:79], v[40:41], off
	global_store_b64 v[78:79], v[42:43], off offset:128
	global_store_b64 v[78:79], v[50:51], off offset:256
	;; [unrolled: 1-line block ×3, first 2 shown]
	v_add_co_u32 v40, vcc_lo, v82, s18
	s_wait_alu 0xfffd
	v_add_co_ci_u32_e64 v41, null, s19, v83, vcc_lo
	s_clause 0x3
	global_store_b64 v[80:81], v[54:55], off
	global_store_b64 v[80:81], v[56:57], off offset:128
	global_store_b64 v[80:81], v[58:59], off offset:256
	;; [unrolled: 1-line block ×3, first 2 shown]
	v_add_co_u32 v42, vcc_lo, v40, s18
	s_wait_alu 0xfffd
	v_add_co_ci_u32_e64 v43, null, s19, v41, vcc_lo
	v_add_co_u32 v40, vcc_lo, v40, v6
	s_wait_alu 0xfffd
	v_add_co_ci_u32_e64 v41, null, v41, v7, vcc_lo
	;; [unrolled: 3-line block ×3, first 2 shown]
	s_clause 0x7
	global_store_b64 v[40:41], v[62:63], off
	global_store_b64 v[40:41], v[64:65], off offset:128
	global_store_b64 v[40:41], v[66:67], off offset:256
	;; [unrolled: 1-line block ×3, first 2 shown]
	global_store_b64 v[42:43], v[70:71], off
	global_store_b64 v[42:43], v[72:73], off offset:128
	global_store_b64 v[42:43], v[74:75], off offset:256
	;; [unrolled: 1-line block ×3, first 2 shown]
	s_cbranch_execnz .LBB62_2
	s_branch .LBB62_10
.LBB62_9:                               ;   in Loop: Header=BB62_3 Depth=1
.LBB62_10:                              ;   in Loop: Header=BB62_3 Depth=1
	s_mul_u64 s[26:27], s[42:43], s[2:3]
	s_wait_alu 0xfffe
	s_lshl_b64 s[26:27], s[26:27], 3
	s_wait_alu 0xfffe
	v_add_co_u32 v50, vcc_lo, v48, s26
	s_wait_alu 0xfffd
	v_add_co_ci_u32_e64 v51, null, s27, v49, vcc_lo
	s_delay_alu instid0(VALU_DEP_2) | instskip(SKIP_1) | instid1(VALU_DEP_2)
	v_add_co_u32 v40, vcc_lo, v50, v6
	s_wait_alu 0xfffd
	v_add_co_ci_u32_e64 v41, null, v51, v7, vcc_lo
	v_add_co_u32 v52, vcc_lo, s22, v4
	s_wait_alu 0xfffd
	v_add_co_ci_u32_e64 v53, null, s23, v5, vcc_lo
	global_load_b64 v[42:43], v[40:41], off
	s_wait_loadcnt 0x0
	v_mul_f64_e32 v[42:43], s[36:37], v[42:43]
	s_delay_alu instid0(VALU_DEP_1)
	v_fma_f64 v[38:39], s[6:7], v[38:39], v[42:43]
	v_add_co_u32 v42, vcc_lo, v52, v6
	s_wait_alu 0xfffd
	v_add_co_ci_u32_e64 v43, null, v53, v7, vcc_lo
	global_store_b64 v[42:43], v[38:39], off
	global_load_b64 v[38:39], v[40:41], off offset:128
	s_wait_loadcnt 0x0
	v_mul_f64_e32 v[38:39], s[36:37], v[38:39]
	s_delay_alu instid0(VALU_DEP_1) | instskip(SKIP_4) | instid1(VALU_DEP_1)
	v_fma_f64 v[36:37], s[6:7], v[36:37], v[38:39]
	global_store_b64 v[42:43], v[36:37], off offset:128
	global_load_b64 v[36:37], v[40:41], off offset:256
	s_wait_loadcnt 0x0
	v_mul_f64_e32 v[36:37], s[36:37], v[36:37]
	v_fma_f64 v[34:35], s[6:7], v[34:35], v[36:37]
	v_add_co_u32 v36, vcc_lo, v50, s12
	s_wait_alu 0xfffd
	v_add_co_ci_u32_e64 v37, null, s13, v51, vcc_lo
	global_store_b64 v[42:43], v[34:35], off offset:256
	global_load_b64 v[34:35], v[40:41], off offset:384
	s_wait_loadcnt 0x0
	v_mul_f64_e32 v[34:35], s[36:37], v[34:35]
	s_delay_alu instid0(VALU_DEP_1)
	v_fma_f64 v[32:33], s[6:7], v[32:33], v[34:35]
	v_add_co_u32 v34, vcc_lo, v36, v6
	s_wait_alu 0xfffd
	v_add_co_ci_u32_e64 v35, null, v37, v7, vcc_lo
	v_add_co_u32 v38, vcc_lo, v52, s18
	s_wait_alu 0xfffd
	v_add_co_ci_u32_e64 v39, null, s19, v53, vcc_lo
	global_store_b64 v[42:43], v[32:33], off offset:384
	global_load_b64 v[32:33], v[34:35], off
	s_wait_loadcnt 0x0
	v_mul_f64_e32 v[32:33], s[36:37], v[32:33]
	s_delay_alu instid0(VALU_DEP_1)
	v_fma_f64 v[30:31], s[6:7], v[30:31], v[32:33]
	v_add_co_u32 v32, vcc_lo, v38, v6
	s_wait_alu 0xfffd
	v_add_co_ci_u32_e64 v33, null, v39, v7, vcc_lo
	global_store_b64 v[32:33], v[30:31], off
	global_load_b64 v[30:31], v[34:35], off offset:128
	s_wait_loadcnt 0x0
	v_mul_f64_e32 v[30:31], s[36:37], v[30:31]
	s_delay_alu instid0(VALU_DEP_1) | instskip(SKIP_4) | instid1(VALU_DEP_1)
	v_fma_f64 v[28:29], s[6:7], v[28:29], v[30:31]
	global_store_b64 v[32:33], v[28:29], off offset:128
	global_load_b64 v[28:29], v[34:35], off offset:256
	s_wait_loadcnt 0x0
	v_mul_f64_e32 v[28:29], s[36:37], v[28:29]
	v_fma_f64 v[26:27], s[6:7], v[26:27], v[28:29]
	v_add_co_u32 v28, vcc_lo, v36, s12
	s_wait_alu 0xfffd
	v_add_co_ci_u32_e64 v29, null, s13, v37, vcc_lo
	global_store_b64 v[32:33], v[26:27], off offset:256
	global_load_b64 v[26:27], v[34:35], off offset:384
	s_wait_loadcnt 0x0
	v_mul_f64_e32 v[26:27], s[36:37], v[26:27]
	s_delay_alu instid0(VALU_DEP_1)
	v_fma_f64 v[24:25], s[6:7], v[24:25], v[26:27]
	v_add_co_u32 v26, vcc_lo, v28, v6
	s_wait_alu 0xfffd
	v_add_co_ci_u32_e64 v27, null, v29, v7, vcc_lo
	v_add_co_u32 v30, vcc_lo, v38, s18
	s_wait_alu 0xfffd
	v_add_co_ci_u32_e64 v31, null, s19, v39, vcc_lo
	global_store_b64 v[32:33], v[24:25], off offset:384
	global_load_b64 v[24:25], v[26:27], off
	s_wait_loadcnt 0x0
	v_mul_f64_e32 v[24:25], s[36:37], v[24:25]
	s_delay_alu instid0(VALU_DEP_1)
	v_fma_f64 v[22:23], s[6:7], v[22:23], v[24:25]
	v_add_co_u32 v24, vcc_lo, v30, v6
	s_wait_alu 0xfffd
	v_add_co_ci_u32_e64 v25, null, v31, v7, vcc_lo
	global_store_b64 v[24:25], v[22:23], off
	global_load_b64 v[22:23], v[26:27], off offset:128
	s_wait_loadcnt 0x0
	v_mul_f64_e32 v[22:23], s[36:37], v[22:23]
	s_delay_alu instid0(VALU_DEP_1) | instskip(SKIP_4) | instid1(VALU_DEP_1)
	v_fma_f64 v[20:21], s[6:7], v[20:21], v[22:23]
	global_store_b64 v[24:25], v[20:21], off offset:128
	global_load_b64 v[20:21], v[26:27], off offset:256
	s_wait_loadcnt 0x0
	v_mul_f64_e32 v[20:21], s[36:37], v[20:21]
	v_fma_f64 v[18:19], s[6:7], v[18:19], v[20:21]
	global_store_b64 v[24:25], v[18:19], off offset:256
	global_load_b64 v[18:19], v[26:27], off offset:384
	s_wait_loadcnt 0x0
	v_mul_f64_e32 v[18:19], s[36:37], v[18:19]
	s_delay_alu instid0(VALU_DEP_1) | instskip(SKIP_3) | instid1(VALU_DEP_2)
	v_fma_f64 v[16:17], s[6:7], v[16:17], v[18:19]
	v_add_co_u32 v18, vcc_lo, v28, s12
	s_wait_alu 0xfffd
	v_add_co_ci_u32_e64 v19, null, s13, v29, vcc_lo
	v_add_co_u32 v18, vcc_lo, v18, v6
	s_wait_alu 0xfffd
	s_delay_alu instid0(VALU_DEP_2) | instskip(SKIP_4) | instid1(VALU_DEP_1)
	v_add_co_ci_u32_e64 v19, null, v19, v7, vcc_lo
	global_store_b64 v[24:25], v[16:17], off offset:384
	global_load_b64 v[16:17], v[18:19], off
	s_wait_loadcnt 0x0
	v_mul_f64_e32 v[16:17], s[36:37], v[16:17]
	v_fma_f64 v[14:15], s[6:7], v[14:15], v[16:17]
	v_add_co_u32 v16, vcc_lo, v30, s18
	s_wait_alu 0xfffd
	v_add_co_ci_u32_e64 v17, null, s19, v31, vcc_lo
	s_delay_alu instid0(VALU_DEP_2) | instskip(SKIP_1) | instid1(VALU_DEP_2)
	v_add_co_u32 v16, vcc_lo, v16, v6
	s_wait_alu 0xfffd
	v_add_co_ci_u32_e64 v17, null, v17, v7, vcc_lo
	global_store_b64 v[16:17], v[14:15], off
	global_load_b64 v[14:15], v[18:19], off offset:128
	s_wait_loadcnt 0x0
	v_mul_f64_e32 v[14:15], s[36:37], v[14:15]
	s_delay_alu instid0(VALU_DEP_1) | instskip(SKIP_4) | instid1(VALU_DEP_1)
	v_fma_f64 v[12:13], s[6:7], v[12:13], v[14:15]
	global_store_b64 v[16:17], v[12:13], off offset:128
	global_load_b64 v[12:13], v[18:19], off offset:256
	s_wait_loadcnt 0x0
	v_mul_f64_e32 v[12:13], s[36:37], v[12:13]
	v_fma_f64 v[10:11], s[6:7], v[10:11], v[12:13]
	global_store_b64 v[16:17], v[10:11], off offset:256
	global_load_b64 v[10:11], v[18:19], off offset:384
	s_wait_loadcnt 0x0
	v_mul_f64_e32 v[10:11], s[36:37], v[10:11]
	s_delay_alu instid0(VALU_DEP_1)
	v_fma_f64 v[8:9], s[6:7], v[8:9], v[10:11]
	global_store_b64 v[16:17], v[8:9], off offset:384
	s_branch .LBB62_2
.LBB62_11:
	s_endpgm
	.section	.rodata,"a",@progbits
	.p2align	6, 0x0
	.amdhsa_kernel _ZN12_GLOBAL__N_127rocblas_gemm_batched_kernelIdLi16ELi16ELi64ELi64ELi4ELi64ELi4ELi4ELi64ELc78ELc84EKdS1_dEEvlllT_PT11_llS4_llS2_PT12_llPT13_lli
		.amdhsa_group_segment_fixed_size 4096
		.amdhsa_private_segment_fixed_size 0
		.amdhsa_kernarg_size 140
		.amdhsa_user_sgpr_count 2
		.amdhsa_user_sgpr_dispatch_ptr 0
		.amdhsa_user_sgpr_queue_ptr 0
		.amdhsa_user_sgpr_kernarg_segment_ptr 1
		.amdhsa_user_sgpr_dispatch_id 0
		.amdhsa_user_sgpr_private_segment_size 0
		.amdhsa_wavefront_size32 1
		.amdhsa_uses_dynamic_stack 0
		.amdhsa_enable_private_segment 0
		.amdhsa_system_sgpr_workgroup_id_x 1
		.amdhsa_system_sgpr_workgroup_id_y 1
		.amdhsa_system_sgpr_workgroup_id_z 1
		.amdhsa_system_sgpr_workgroup_info 0
		.amdhsa_system_vgpr_workitem_id 1
		.amdhsa_next_free_vgpr 90
		.amdhsa_next_free_sgpr 44
		.amdhsa_reserve_vcc 1
		.amdhsa_float_round_mode_32 0
		.amdhsa_float_round_mode_16_64 0
		.amdhsa_float_denorm_mode_32 3
		.amdhsa_float_denorm_mode_16_64 3
		.amdhsa_fp16_overflow 0
		.amdhsa_workgroup_processor_mode 1
		.amdhsa_memory_ordered 1
		.amdhsa_forward_progress 1
		.amdhsa_inst_pref_size 25
		.amdhsa_round_robin_scheduling 0
		.amdhsa_exception_fp_ieee_invalid_op 0
		.amdhsa_exception_fp_denorm_src 0
		.amdhsa_exception_fp_ieee_div_zero 0
		.amdhsa_exception_fp_ieee_overflow 0
		.amdhsa_exception_fp_ieee_underflow 0
		.amdhsa_exception_fp_ieee_inexact 0
		.amdhsa_exception_int_div_zero 0
	.end_amdhsa_kernel
	.section	.text._ZN12_GLOBAL__N_127rocblas_gemm_batched_kernelIdLi16ELi16ELi64ELi64ELi4ELi64ELi4ELi4ELi64ELc78ELc84EKdS1_dEEvlllT_PT11_llS4_llS2_PT12_llPT13_lli,"axG",@progbits,_ZN12_GLOBAL__N_127rocblas_gemm_batched_kernelIdLi16ELi16ELi64ELi64ELi4ELi64ELi4ELi4ELi64ELc78ELc84EKdS1_dEEvlllT_PT11_llS4_llS2_PT12_llPT13_lli,comdat
.Lfunc_end62:
	.size	_ZN12_GLOBAL__N_127rocblas_gemm_batched_kernelIdLi16ELi16ELi64ELi64ELi4ELi64ELi4ELi4ELi64ELc78ELc84EKdS1_dEEvlllT_PT11_llS4_llS2_PT12_llPT13_lli, .Lfunc_end62-_ZN12_GLOBAL__N_127rocblas_gemm_batched_kernelIdLi16ELi16ELi64ELi64ELi4ELi64ELi4ELi4ELi64ELc78ELc84EKdS1_dEEvlllT_PT11_llS4_llS2_PT12_llPT13_lli
                                        ; -- End function
	.set _ZN12_GLOBAL__N_127rocblas_gemm_batched_kernelIdLi16ELi16ELi64ELi64ELi4ELi64ELi4ELi4ELi64ELc78ELc84EKdS1_dEEvlllT_PT11_llS4_llS2_PT12_llPT13_lli.num_vgpr, 90
	.set _ZN12_GLOBAL__N_127rocblas_gemm_batched_kernelIdLi16ELi16ELi64ELi64ELi4ELi64ELi4ELi4ELi64ELc78ELc84EKdS1_dEEvlllT_PT11_llS4_llS2_PT12_llPT13_lli.num_agpr, 0
	.set _ZN12_GLOBAL__N_127rocblas_gemm_batched_kernelIdLi16ELi16ELi64ELi64ELi4ELi64ELi4ELi4ELi64ELc78ELc84EKdS1_dEEvlllT_PT11_llS4_llS2_PT12_llPT13_lli.numbered_sgpr, 44
	.set _ZN12_GLOBAL__N_127rocblas_gemm_batched_kernelIdLi16ELi16ELi64ELi64ELi4ELi64ELi4ELi4ELi64ELc78ELc84EKdS1_dEEvlllT_PT11_llS4_llS2_PT12_llPT13_lli.num_named_barrier, 0
	.set _ZN12_GLOBAL__N_127rocblas_gemm_batched_kernelIdLi16ELi16ELi64ELi64ELi4ELi64ELi4ELi4ELi64ELc78ELc84EKdS1_dEEvlllT_PT11_llS4_llS2_PT12_llPT13_lli.private_seg_size, 0
	.set _ZN12_GLOBAL__N_127rocblas_gemm_batched_kernelIdLi16ELi16ELi64ELi64ELi4ELi64ELi4ELi4ELi64ELc78ELc84EKdS1_dEEvlllT_PT11_llS4_llS2_PT12_llPT13_lli.uses_vcc, 1
	.set _ZN12_GLOBAL__N_127rocblas_gemm_batched_kernelIdLi16ELi16ELi64ELi64ELi4ELi64ELi4ELi4ELi64ELc78ELc84EKdS1_dEEvlllT_PT11_llS4_llS2_PT12_llPT13_lli.uses_flat_scratch, 0
	.set _ZN12_GLOBAL__N_127rocblas_gemm_batched_kernelIdLi16ELi16ELi64ELi64ELi4ELi64ELi4ELi4ELi64ELc78ELc84EKdS1_dEEvlllT_PT11_llS4_llS2_PT12_llPT13_lli.has_dyn_sized_stack, 0
	.set _ZN12_GLOBAL__N_127rocblas_gemm_batched_kernelIdLi16ELi16ELi64ELi64ELi4ELi64ELi4ELi4ELi64ELc78ELc84EKdS1_dEEvlllT_PT11_llS4_llS2_PT12_llPT13_lli.has_recursion, 0
	.set _ZN12_GLOBAL__N_127rocblas_gemm_batched_kernelIdLi16ELi16ELi64ELi64ELi4ELi64ELi4ELi4ELi64ELc78ELc84EKdS1_dEEvlllT_PT11_llS4_llS2_PT12_llPT13_lli.has_indirect_call, 0
	.section	.AMDGPU.csdata,"",@progbits
; Kernel info:
; codeLenInByte = 3172
; TotalNumSgprs: 46
; NumVgprs: 90
; ScratchSize: 0
; MemoryBound: 0
; FloatMode: 240
; IeeeMode: 1
; LDSByteSize: 4096 bytes/workgroup (compile time only)
; SGPRBlocks: 0
; VGPRBlocks: 11
; NumSGPRsForWavesPerEU: 46
; NumVGPRsForWavesPerEU: 90
; Occupancy: 16
; WaveLimiterHint : 1
; COMPUTE_PGM_RSRC2:SCRATCH_EN: 0
; COMPUTE_PGM_RSRC2:USER_SGPR: 2
; COMPUTE_PGM_RSRC2:TRAP_HANDLER: 0
; COMPUTE_PGM_RSRC2:TGID_X_EN: 1
; COMPUTE_PGM_RSRC2:TGID_Y_EN: 1
; COMPUTE_PGM_RSRC2:TGID_Z_EN: 1
; COMPUTE_PGM_RSRC2:TIDIG_COMP_CNT: 1
	.section	.text._ZN12_GLOBAL__N_127rocblas_gemm_batched_kernelIdLi16ELi16ELi64ELi64ELi4ELi64ELi4ELi4ELi64ELc84ELc84EKdS1_dEEvlllT_PT11_llS4_llS2_PT12_llPT13_lli,"axG",@progbits,_ZN12_GLOBAL__N_127rocblas_gemm_batched_kernelIdLi16ELi16ELi64ELi64ELi4ELi64ELi4ELi4ELi64ELc84ELc84EKdS1_dEEvlllT_PT11_llS4_llS2_PT12_llPT13_lli,comdat
	.globl	_ZN12_GLOBAL__N_127rocblas_gemm_batched_kernelIdLi16ELi16ELi64ELi64ELi4ELi64ELi4ELi4ELi64ELc84ELc84EKdS1_dEEvlllT_PT11_llS4_llS2_PT12_llPT13_lli ; -- Begin function _ZN12_GLOBAL__N_127rocblas_gemm_batched_kernelIdLi16ELi16ELi64ELi64ELi4ELi64ELi4ELi4ELi64ELc84ELc84EKdS1_dEEvlllT_PT11_llS4_llS2_PT12_llPT13_lli
	.p2align	8
	.type	_ZN12_GLOBAL__N_127rocblas_gemm_batched_kernelIdLi16ELi16ELi64ELi64ELi4ELi64ELi4ELi4ELi64ELc84ELc84EKdS1_dEEvlllT_PT11_llS4_llS2_PT12_llPT13_lli,@function
_ZN12_GLOBAL__N_127rocblas_gemm_batched_kernelIdLi16ELi16ELi64ELi64ELi4ELi64ELi4ELi4ELi64ELc84ELc84EKdS1_dEEvlllT_PT11_llS4_llS2_PT12_llPT13_lli: ; @_ZN12_GLOBAL__N_127rocblas_gemm_batched_kernelIdLi16ELi16ELi64ELi64ELi4ELi64ELi4ELi4ELi64ELc84ELc84EKdS1_dEEvlllT_PT11_llS4_llS2_PT12_llPT13_lli
; %bb.0:
	s_load_b32 s28, s[0:1], 0x88
	s_lshr_b32 s2, ttmp7, 16
	s_wait_kmcnt 0x0
	s_cmp_ge_i32 s2, s28
	s_cbranch_scc1 .LBB63_11
; %bb.1:
	s_clause 0x2
	s_load_b256 s[20:27], s[0:1], 0x70
	s_load_b512 s[4:19], s[0:1], 0x10
	s_load_b256 s[36:43], s[0:1], 0x50
	v_dual_mov_b32 v1, 0 :: v_dual_and_b32 v8, 0x3ff, v0
	v_bfe_u32 v6, v0, 10, 10
	v_and_b32_e32 v9, 3, v0
	s_lshl_b32 s0, ttmp7, 6
	s_mov_b32 s30, ttmp9
	s_and_b32 s0, s0, 0x3fffc0
	v_lshl_add_u32 v2, v6, 4, v8
	v_add_nc_u32_e32 v7, s0, v6
	v_lshlrev_b32_e32 v3, 3, v9
	v_lshl_add_u32 v47, v6, 5, 0x800
	s_ashr_i32 s31, ttmp9, 31
	v_lshrrev_b32_e32 v0, 2, v2
	v_and_b32_e32 v10, 63, v2
	v_lshrrev_b32_e32 v12, 6, v2
	s_wait_kmcnt 0x0
	s_lshl_b64 s[26:27], s[30:31], 6
	v_lshlrev_b32_e32 v44, 3, v8
	v_mad_co_u64_u32 v[4:5], null, v7, s22, 0
	v_lshl_or_b32 v13, v0, 5, v3
	v_mad_co_u64_u32 v[2:3], null, v7, s40, 0
	v_mad_co_u64_u32 v[0:1], null, s16, v9, v[0:1]
	v_cmp_eq_f64_e64 s1, s[36:37], 0
	v_mad_co_u64_u32 v[5:6], null, v7, s23, v[5:6]
	v_add_nc_u32_e32 v46, 0x800, v13
	v_mad_co_u64_u32 v[6:7], null, v7, s41, v[3:4]
	v_add_co_u32 v0, vcc_lo, v0, s0
	s_mul_i32 s0, s10, s27
	v_add_co_u32 v7, s29, s26, v8
	s_delay_alu instid0(VALU_DEP_1)
	v_add_co_ci_u32_e64 v8, null, s27, 0, s29
	v_mov_b32_e32 v3, v6
	v_lshlrev_b32_e32 v11, 3, v10
	v_lshlrev_b64_e32 v[4:5], 3, v[4:5]
	s_lshl_b64 s[22:23], s[22:23], 4
	s_lshl_b64 s[30:31], s[40:41], 4
	s_mov_b32 s3, 0
	v_lshl_or_b32 v45, v12, 9, v11
	v_or_b32_e32 v11, s26, v10
	v_mad_co_u64_u32 v[9:10], null, s17, v9, v[1:2]
	v_lshlrev_b64_e32 v[2:3], 3, v[2:3]
	s_delay_alu instid0(VALU_DEP_3)
	v_mul_lo_u32 v6, s11, v11
	v_mad_co_u64_u32 v[10:11], null, s10, v11, 0
	s_lshl_b64 s[10:11], s[18:19], 3
	v_add_co_ci_u32_e64 v1, null, 0, v9, vcc_lo
	v_add_co_u32 v48, vcc_lo, s38, v2
	s_wait_alu 0xfffd
	v_add_co_ci_u32_e64 v49, null, s39, v3, vcc_lo
	s_wait_alu 0xfffe
	v_add3_u32 v11, v11, s0, v6
	v_lshlrev_b64_e32 v[0:1], 3, v[0:1]
	v_lshlrev_b32_e32 v6, 3, v12
	v_cmp_gt_i64_e64 s0, s[4:5], 0
	s_delay_alu instid0(VALU_DEP_4) | instskip(NEXT) | instid1(VALU_DEP_4)
	v_lshlrev_b64_e32 v[2:3], 3, v[10:11]
	v_add_co_u32 v0, vcc_lo, s14, v0
	s_wait_alu 0xfffd
	v_add_co_ci_u32_e64 v1, null, s15, v1, vcc_lo
	s_delay_alu instid0(VALU_DEP_3)
	v_add_co_u32 v2, vcc_lo, v2, v6
	s_wait_alu 0xfffd
	v_add_co_ci_u32_e64 v3, null, 0, v3, vcc_lo
	s_wait_alu 0xf1ff
	v_cndmask_b32_e64 v9, 0, 1, s0
	v_add_co_u32 v2, vcc_lo, s8, v2
	v_lshlrev_b64_e32 v[6:7], 3, v[7:8]
	s_wait_alu 0xfffd
	v_add_co_ci_u32_e64 v3, null, s9, v3, vcc_lo
	v_cmp_ne_u32_e64 s0, 1, v9
	s_lshl_b64 s[14:15], s[16:17], 5
	s_lshl_b64 s[8:9], s[12:13], 3
	;; [unrolled: 1-line block ×4, first 2 shown]
	s_branch .LBB63_3
.LBB63_2:                               ;   in Loop: Header=BB63_3 Depth=1
	s_add_co_i32 s2, s2, 0x10000
	s_wait_alu 0xfffe
	s_cmp_lt_i32 s2, s28
	s_cbranch_scc0 .LBB63_11
.LBB63_3:                               ; =>This Loop Header: Depth=1
                                        ;     Child Loop BB63_5 Depth 2
	s_and_b32 vcc_lo, exec_lo, s0
	s_wait_alu 0xfffe
	s_cbranch_vccnz .LBB63_6
; %bb.4:                                ;   in Loop: Header=BB63_3 Depth=1
	v_mad_co_u64_u32 v[40:41], null, s10, s2, v[0:1]
	v_mad_co_u64_u32 v[42:43], null, s8, s2, v[2:3]
	v_mov_b32_e32 v16, 0
	v_mov_b32_e32 v24, 0
	;; [unrolled: 1-line block ×4, first 2 shown]
	v_dual_mov_b32 v22, v41 :: v_dual_mov_b32 v17, 0
	v_dual_mov_b32 v28, v43 :: v_dual_mov_b32 v25, 0
	v_dual_mov_b32 v9, 0 :: v_dual_mov_b32 v10, 0
	s_delay_alu instid0(VALU_DEP_3) | instskip(NEXT) | instid1(VALU_DEP_3)
	v_mad_co_u64_u32 v[30:31], null, s11, s2, v[22:23]
	v_mad_co_u64_u32 v[50:51], null, s9, s2, v[28:29]
	v_dual_mov_b32 v13, 0 :: v_dual_mov_b32 v14, 0
	v_mov_b32_e32 v18, 0
	v_mov_b32_e32 v20, 0
	;; [unrolled: 1-line block ×3, first 2 shown]
	v_dual_mov_b32 v26, 0 :: v_dual_mov_b32 v41, v30
	v_mov_b32_e32 v28, 0
	v_mov_b32_e32 v30, 0
	;; [unrolled: 1-line block ×5, first 2 shown]
	v_dual_mov_b32 v38, 0 :: v_dual_mov_b32 v43, v50
	v_mov_b32_e32 v11, 0
	v_mov_b32_e32 v15, 0
	;; [unrolled: 1-line block ×12, first 2 shown]
	s_mov_b64 s[18:19], 0
.LBB63_5:                               ;   Parent Loop BB63_3 Depth=1
                                        ; =>  This Inner Loop Header: Depth=2
	global_load_b64 v[50:51], v[42:43], off
	global_load_b64 v[52:53], v[40:41], off
	s_wait_alu 0xfffe
	s_add_nc_u64 s[18:19], s[18:19], 4
	v_add_co_u32 v40, vcc_lo, v40, s14
	s_wait_alu 0xfffe
	v_cmp_lt_i64_e64 s22, s[18:19], s[4:5]
	s_wait_alu 0xfffd
	v_add_co_ci_u32_e64 v41, null, s15, v41, vcc_lo
	v_add_co_u32 v42, vcc_lo, v42, 32
	s_wait_alu 0xfffd
	v_add_co_ci_u32_e64 v43, null, 0, v43, vcc_lo
	s_and_b32 vcc_lo, exec_lo, s22
	s_wait_loadcnt 0x1
	ds_store_b64 v45, v[50:51]
	s_wait_loadcnt 0x0
	ds_store_b64 v46, v[52:53]
	s_wait_dscnt 0x0
	s_barrier_signal -1
	s_barrier_wait -1
	global_inv scope:SCOPE_SE
	ds_load_b128 v[50:53], v47
	ds_load_2addr_b64 v[54:57], v44 offset1:16
	ds_load_2addr_b64 v[58:61], v44 offset0:32 offset1:48
	ds_load_b128 v[62:65], v47 offset:512
	ds_load_b128 v[66:69], v47 offset:1024
	;; [unrolled: 1-line block ×7, first 2 shown]
	s_wait_dscnt 0x8
	v_fma_f64 v[38:39], v[54:55], v[50:51], v[38:39]
	v_fma_f64 v[36:37], v[56:57], v[50:51], v[36:37]
	s_wait_dscnt 0x7
	v_fma_f64 v[34:35], v[58:59], v[50:51], v[34:35]
	v_fma_f64 v[32:33], v[60:61], v[50:51], v[32:33]
	;; [unrolled: 3-line block ×3, first 2 shown]
	v_fma_f64 v[26:27], v[58:59], v[62:63], v[26:27]
	v_fma_f64 v[24:25], v[60:61], v[62:63], v[24:25]
	s_wait_dscnt 0x5
	v_fma_f64 v[22:23], v[54:55], v[66:67], v[22:23]
	v_fma_f64 v[20:21], v[56:57], v[66:67], v[20:21]
	;; [unrolled: 1-line block ×4, first 2 shown]
	s_wait_dscnt 0x4
	v_fma_f64 v[50:51], v[54:55], v[70:71], v[14:15]
	v_fma_f64 v[54:55], v[56:57], v[70:71], v[12:13]
	;; [unrolled: 1-line block ×4, first 2 shown]
	ds_load_2addr_b64 v[8:11], v44 offset0:64 offset1:80
	ds_load_2addr_b64 v[12:15], v44 offset0:96 offset1:112
	s_wait_dscnt 0x1
	v_fma_f64 v[38:39], v[8:9], v[52:53], v[38:39]
	v_fma_f64 v[36:37], v[10:11], v[52:53], v[36:37]
	s_wait_dscnt 0x0
	v_fma_f64 v[34:35], v[12:13], v[52:53], v[34:35]
	v_fma_f64 v[32:33], v[14:15], v[52:53], v[32:33]
	;; [unrolled: 1-line block ×14, first 2 shown]
	ds_load_2addr_b64 v[8:11], v44 offset0:128 offset1:144
	ds_load_2addr_b64 v[12:15], v44 offset0:160 offset1:176
	s_wait_dscnt 0x1
	v_fma_f64 v[38:39], v[8:9], v[74:75], v[38:39]
	v_fma_f64 v[36:37], v[10:11], v[74:75], v[36:37]
	s_wait_dscnt 0x0
	v_fma_f64 v[34:35], v[12:13], v[74:75], v[34:35]
	v_fma_f64 v[32:33], v[14:15], v[74:75], v[32:33]
	;; [unrolled: 1-line block ×14, first 2 shown]
	ds_load_2addr_b64 v[8:11], v44 offset0:192 offset1:208
	ds_load_2addr_b64 v[50:53], v44 offset0:224 offset1:240
	s_wait_loadcnt_dscnt 0x0
	s_barrier_signal -1
	s_barrier_wait -1
	global_inv scope:SCOPE_SE
	v_fma_f64 v[38:39], v[8:9], v[76:77], v[38:39]
	v_fma_f64 v[36:37], v[10:11], v[76:77], v[36:37]
	;; [unrolled: 1-line block ×16, first 2 shown]
	s_wait_alu 0xfffe
	s_cbranch_vccnz .LBB63_5
	s_branch .LBB63_7
.LBB63_6:                               ;   in Loop: Header=BB63_3 Depth=1
	v_mov_b32_e32 v38, 0
	v_mov_b32_e32 v34, 0
	;; [unrolled: 1-line block ×7, first 2 shown]
	v_dual_mov_b32 v10, 0 :: v_dual_mov_b32 v39, 0
	v_dual_mov_b32 v36, 0 :: v_dual_mov_b32 v35, 0
	v_dual_mov_b32 v32, 0 :: v_dual_mov_b32 v31, 0
	v_dual_mov_b32 v28, 0 :: v_dual_mov_b32 v27, 0
	v_dual_mov_b32 v24, 0 :: v_dual_mov_b32 v23, 0
	v_dual_mov_b32 v20, 0 :: v_dual_mov_b32 v19, 0
	v_dual_mov_b32 v16, 0 :: v_dual_mov_b32 v15, 0
	v_dual_mov_b32 v12, 0 :: v_dual_mov_b32 v11, 0
	v_dual_mov_b32 v8, 0 :: v_dual_mov_b32 v37, 0
	v_mov_b32_e32 v33, 0
	v_mov_b32_e32 v29, 0
	v_mov_b32_e32 v25, 0
	v_mov_b32_e32 v21, 0
	v_mov_b32_e32 v17, 0
	v_mov_b32_e32 v13, 0
	v_mov_b32_e32 v9, 0
.LBB63_7:                               ;   in Loop: Header=BB63_3 Depth=1
	s_mul_u64 s[18:19], s[24:25], s[2:3]
	s_and_not1_b32 vcc_lo, exec_lo, s1
	s_wait_alu 0xfffe
	s_lshl_b64 s[18:19], s[18:19], 3
	s_wait_alu 0xfffe
	s_add_nc_u64 s[18:19], s[20:21], s[18:19]
	s_cbranch_vccnz .LBB63_9
; %bb.8:                                ;   in Loop: Header=BB63_3 Depth=1
	v_mul_f64_e32 v[40:41], s[6:7], v[38:39]
	v_mul_f64_e32 v[42:43], s[6:7], v[36:37]
	;; [unrolled: 1-line block ×16, first 2 shown]
	s_wait_alu 0xfffe
	v_add_co_u32 v78, vcc_lo, s18, v4
	s_wait_alu 0xfffd
	v_add_co_ci_u32_e64 v79, null, s19, v5, vcc_lo
	s_delay_alu instid0(VALU_DEP_2) | instskip(SKIP_1) | instid1(VALU_DEP_2)
	v_add_co_u32 v82, vcc_lo, v78, s16
	s_wait_alu 0xfffd
	v_add_co_ci_u32_e64 v83, null, s17, v79, vcc_lo
	v_add_co_u32 v78, vcc_lo, v78, v6
	s_wait_alu 0xfffd
	v_add_co_ci_u32_e64 v79, null, v79, v7, vcc_lo
	;; [unrolled: 3-line block ×3, first 2 shown]
	s_clause 0x3
	global_store_b64 v[78:79], v[40:41], off
	global_store_b64 v[78:79], v[42:43], off offset:128
	global_store_b64 v[78:79], v[50:51], off offset:256
	;; [unrolled: 1-line block ×3, first 2 shown]
	v_add_co_u32 v40, vcc_lo, v82, s16
	s_wait_alu 0xfffd
	v_add_co_ci_u32_e64 v41, null, s17, v83, vcc_lo
	s_clause 0x3
	global_store_b64 v[80:81], v[54:55], off
	global_store_b64 v[80:81], v[56:57], off offset:128
	global_store_b64 v[80:81], v[58:59], off offset:256
	;; [unrolled: 1-line block ×3, first 2 shown]
	v_add_co_u32 v42, vcc_lo, v40, s16
	s_wait_alu 0xfffd
	v_add_co_ci_u32_e64 v43, null, s17, v41, vcc_lo
	v_add_co_u32 v40, vcc_lo, v40, v6
	s_wait_alu 0xfffd
	v_add_co_ci_u32_e64 v41, null, v41, v7, vcc_lo
	;; [unrolled: 3-line block ×3, first 2 shown]
	s_clause 0x7
	global_store_b64 v[40:41], v[62:63], off
	global_store_b64 v[40:41], v[64:65], off offset:128
	global_store_b64 v[40:41], v[66:67], off offset:256
	;; [unrolled: 1-line block ×3, first 2 shown]
	global_store_b64 v[42:43], v[70:71], off
	global_store_b64 v[42:43], v[72:73], off offset:128
	global_store_b64 v[42:43], v[74:75], off offset:256
	;; [unrolled: 1-line block ×3, first 2 shown]
	s_cbranch_execnz .LBB63_2
	s_branch .LBB63_10
.LBB63_9:                               ;   in Loop: Header=BB63_3 Depth=1
.LBB63_10:                              ;   in Loop: Header=BB63_3 Depth=1
	s_mul_u64 s[22:23], s[42:43], s[2:3]
	s_wait_alu 0xfffe
	s_lshl_b64 s[22:23], s[22:23], 3
	s_wait_alu 0xfffe
	v_add_co_u32 v50, vcc_lo, v48, s22
	s_wait_alu 0xfffd
	v_add_co_ci_u32_e64 v51, null, s23, v49, vcc_lo
	s_delay_alu instid0(VALU_DEP_2) | instskip(SKIP_1) | instid1(VALU_DEP_2)
	v_add_co_u32 v40, vcc_lo, v50, v6
	s_wait_alu 0xfffd
	v_add_co_ci_u32_e64 v41, null, v51, v7, vcc_lo
	v_add_co_u32 v52, vcc_lo, s18, v4
	s_wait_alu 0xfffd
	v_add_co_ci_u32_e64 v53, null, s19, v5, vcc_lo
	global_load_b64 v[42:43], v[40:41], off
	s_wait_loadcnt 0x0
	v_mul_f64_e32 v[42:43], s[36:37], v[42:43]
	s_delay_alu instid0(VALU_DEP_1)
	v_fma_f64 v[38:39], s[6:7], v[38:39], v[42:43]
	v_add_co_u32 v42, vcc_lo, v52, v6
	s_wait_alu 0xfffd
	v_add_co_ci_u32_e64 v43, null, v53, v7, vcc_lo
	global_store_b64 v[42:43], v[38:39], off
	global_load_b64 v[38:39], v[40:41], off offset:128
	s_wait_loadcnt 0x0
	v_mul_f64_e32 v[38:39], s[36:37], v[38:39]
	s_delay_alu instid0(VALU_DEP_1) | instskip(SKIP_4) | instid1(VALU_DEP_1)
	v_fma_f64 v[36:37], s[6:7], v[36:37], v[38:39]
	global_store_b64 v[42:43], v[36:37], off offset:128
	global_load_b64 v[36:37], v[40:41], off offset:256
	s_wait_loadcnt 0x0
	v_mul_f64_e32 v[36:37], s[36:37], v[36:37]
	v_fma_f64 v[34:35], s[6:7], v[34:35], v[36:37]
	v_add_co_u32 v36, vcc_lo, v50, s12
	s_wait_alu 0xfffd
	v_add_co_ci_u32_e64 v37, null, s13, v51, vcc_lo
	global_store_b64 v[42:43], v[34:35], off offset:256
	global_load_b64 v[34:35], v[40:41], off offset:384
	s_wait_loadcnt 0x0
	v_mul_f64_e32 v[34:35], s[36:37], v[34:35]
	s_delay_alu instid0(VALU_DEP_1)
	v_fma_f64 v[32:33], s[6:7], v[32:33], v[34:35]
	v_add_co_u32 v34, vcc_lo, v36, v6
	s_wait_alu 0xfffd
	v_add_co_ci_u32_e64 v35, null, v37, v7, vcc_lo
	v_add_co_u32 v38, vcc_lo, v52, s16
	s_wait_alu 0xfffd
	v_add_co_ci_u32_e64 v39, null, s17, v53, vcc_lo
	global_store_b64 v[42:43], v[32:33], off offset:384
	global_load_b64 v[32:33], v[34:35], off
	s_wait_loadcnt 0x0
	v_mul_f64_e32 v[32:33], s[36:37], v[32:33]
	s_delay_alu instid0(VALU_DEP_1)
	v_fma_f64 v[30:31], s[6:7], v[30:31], v[32:33]
	v_add_co_u32 v32, vcc_lo, v38, v6
	s_wait_alu 0xfffd
	v_add_co_ci_u32_e64 v33, null, v39, v7, vcc_lo
	global_store_b64 v[32:33], v[30:31], off
	global_load_b64 v[30:31], v[34:35], off offset:128
	s_wait_loadcnt 0x0
	v_mul_f64_e32 v[30:31], s[36:37], v[30:31]
	s_delay_alu instid0(VALU_DEP_1) | instskip(SKIP_4) | instid1(VALU_DEP_1)
	v_fma_f64 v[28:29], s[6:7], v[28:29], v[30:31]
	global_store_b64 v[32:33], v[28:29], off offset:128
	global_load_b64 v[28:29], v[34:35], off offset:256
	s_wait_loadcnt 0x0
	v_mul_f64_e32 v[28:29], s[36:37], v[28:29]
	v_fma_f64 v[26:27], s[6:7], v[26:27], v[28:29]
	v_add_co_u32 v28, vcc_lo, v36, s12
	s_wait_alu 0xfffd
	v_add_co_ci_u32_e64 v29, null, s13, v37, vcc_lo
	global_store_b64 v[32:33], v[26:27], off offset:256
	global_load_b64 v[26:27], v[34:35], off offset:384
	s_wait_loadcnt 0x0
	v_mul_f64_e32 v[26:27], s[36:37], v[26:27]
	s_delay_alu instid0(VALU_DEP_1)
	v_fma_f64 v[24:25], s[6:7], v[24:25], v[26:27]
	v_add_co_u32 v26, vcc_lo, v28, v6
	s_wait_alu 0xfffd
	v_add_co_ci_u32_e64 v27, null, v29, v7, vcc_lo
	v_add_co_u32 v30, vcc_lo, v38, s16
	s_wait_alu 0xfffd
	v_add_co_ci_u32_e64 v31, null, s17, v39, vcc_lo
	global_store_b64 v[32:33], v[24:25], off offset:384
	global_load_b64 v[24:25], v[26:27], off
	s_wait_loadcnt 0x0
	v_mul_f64_e32 v[24:25], s[36:37], v[24:25]
	s_delay_alu instid0(VALU_DEP_1)
	v_fma_f64 v[22:23], s[6:7], v[22:23], v[24:25]
	v_add_co_u32 v24, vcc_lo, v30, v6
	s_wait_alu 0xfffd
	v_add_co_ci_u32_e64 v25, null, v31, v7, vcc_lo
	global_store_b64 v[24:25], v[22:23], off
	global_load_b64 v[22:23], v[26:27], off offset:128
	s_wait_loadcnt 0x0
	v_mul_f64_e32 v[22:23], s[36:37], v[22:23]
	s_delay_alu instid0(VALU_DEP_1) | instskip(SKIP_4) | instid1(VALU_DEP_1)
	v_fma_f64 v[20:21], s[6:7], v[20:21], v[22:23]
	global_store_b64 v[24:25], v[20:21], off offset:128
	global_load_b64 v[20:21], v[26:27], off offset:256
	s_wait_loadcnt 0x0
	v_mul_f64_e32 v[20:21], s[36:37], v[20:21]
	v_fma_f64 v[18:19], s[6:7], v[18:19], v[20:21]
	global_store_b64 v[24:25], v[18:19], off offset:256
	global_load_b64 v[18:19], v[26:27], off offset:384
	s_wait_loadcnt 0x0
	v_mul_f64_e32 v[18:19], s[36:37], v[18:19]
	s_delay_alu instid0(VALU_DEP_1) | instskip(SKIP_3) | instid1(VALU_DEP_2)
	v_fma_f64 v[16:17], s[6:7], v[16:17], v[18:19]
	v_add_co_u32 v18, vcc_lo, v28, s12
	s_wait_alu 0xfffd
	v_add_co_ci_u32_e64 v19, null, s13, v29, vcc_lo
	v_add_co_u32 v18, vcc_lo, v18, v6
	s_wait_alu 0xfffd
	s_delay_alu instid0(VALU_DEP_2) | instskip(SKIP_4) | instid1(VALU_DEP_1)
	v_add_co_ci_u32_e64 v19, null, v19, v7, vcc_lo
	global_store_b64 v[24:25], v[16:17], off offset:384
	global_load_b64 v[16:17], v[18:19], off
	s_wait_loadcnt 0x0
	v_mul_f64_e32 v[16:17], s[36:37], v[16:17]
	v_fma_f64 v[14:15], s[6:7], v[14:15], v[16:17]
	v_add_co_u32 v16, vcc_lo, v30, s16
	s_wait_alu 0xfffd
	v_add_co_ci_u32_e64 v17, null, s17, v31, vcc_lo
	s_delay_alu instid0(VALU_DEP_2) | instskip(SKIP_1) | instid1(VALU_DEP_2)
	v_add_co_u32 v16, vcc_lo, v16, v6
	s_wait_alu 0xfffd
	v_add_co_ci_u32_e64 v17, null, v17, v7, vcc_lo
	global_store_b64 v[16:17], v[14:15], off
	global_load_b64 v[14:15], v[18:19], off offset:128
	s_wait_loadcnt 0x0
	v_mul_f64_e32 v[14:15], s[36:37], v[14:15]
	s_delay_alu instid0(VALU_DEP_1) | instskip(SKIP_4) | instid1(VALU_DEP_1)
	v_fma_f64 v[12:13], s[6:7], v[12:13], v[14:15]
	global_store_b64 v[16:17], v[12:13], off offset:128
	global_load_b64 v[12:13], v[18:19], off offset:256
	s_wait_loadcnt 0x0
	v_mul_f64_e32 v[12:13], s[36:37], v[12:13]
	v_fma_f64 v[10:11], s[6:7], v[10:11], v[12:13]
	global_store_b64 v[16:17], v[10:11], off offset:256
	global_load_b64 v[10:11], v[18:19], off offset:384
	s_wait_loadcnt 0x0
	v_mul_f64_e32 v[10:11], s[36:37], v[10:11]
	s_delay_alu instid0(VALU_DEP_1)
	v_fma_f64 v[8:9], s[6:7], v[8:9], v[10:11]
	global_store_b64 v[16:17], v[8:9], off offset:384
	s_branch .LBB63_2
.LBB63_11:
	s_endpgm
	.section	.rodata,"a",@progbits
	.p2align	6, 0x0
	.amdhsa_kernel _ZN12_GLOBAL__N_127rocblas_gemm_batched_kernelIdLi16ELi16ELi64ELi64ELi4ELi64ELi4ELi4ELi64ELc84ELc84EKdS1_dEEvlllT_PT11_llS4_llS2_PT12_llPT13_lli
		.amdhsa_group_segment_fixed_size 4096
		.amdhsa_private_segment_fixed_size 0
		.amdhsa_kernarg_size 140
		.amdhsa_user_sgpr_count 2
		.amdhsa_user_sgpr_dispatch_ptr 0
		.amdhsa_user_sgpr_queue_ptr 0
		.amdhsa_user_sgpr_kernarg_segment_ptr 1
		.amdhsa_user_sgpr_dispatch_id 0
		.amdhsa_user_sgpr_private_segment_size 0
		.amdhsa_wavefront_size32 1
		.amdhsa_uses_dynamic_stack 0
		.amdhsa_enable_private_segment 0
		.amdhsa_system_sgpr_workgroup_id_x 1
		.amdhsa_system_sgpr_workgroup_id_y 1
		.amdhsa_system_sgpr_workgroup_id_z 1
		.amdhsa_system_sgpr_workgroup_info 0
		.amdhsa_system_vgpr_workitem_id 1
		.amdhsa_next_free_vgpr 90
		.amdhsa_next_free_sgpr 44
		.amdhsa_reserve_vcc 1
		.amdhsa_float_round_mode_32 0
		.amdhsa_float_round_mode_16_64 0
		.amdhsa_float_denorm_mode_32 3
		.amdhsa_float_denorm_mode_16_64 3
		.amdhsa_fp16_overflow 0
		.amdhsa_workgroup_processor_mode 1
		.amdhsa_memory_ordered 1
		.amdhsa_forward_progress 1
		.amdhsa_inst_pref_size 25
		.amdhsa_round_robin_scheduling 0
		.amdhsa_exception_fp_ieee_invalid_op 0
		.amdhsa_exception_fp_denorm_src 0
		.amdhsa_exception_fp_ieee_div_zero 0
		.amdhsa_exception_fp_ieee_overflow 0
		.amdhsa_exception_fp_ieee_underflow 0
		.amdhsa_exception_fp_ieee_inexact 0
		.amdhsa_exception_int_div_zero 0
	.end_amdhsa_kernel
	.section	.text._ZN12_GLOBAL__N_127rocblas_gemm_batched_kernelIdLi16ELi16ELi64ELi64ELi4ELi64ELi4ELi4ELi64ELc84ELc84EKdS1_dEEvlllT_PT11_llS4_llS2_PT12_llPT13_lli,"axG",@progbits,_ZN12_GLOBAL__N_127rocblas_gemm_batched_kernelIdLi16ELi16ELi64ELi64ELi4ELi64ELi4ELi4ELi64ELc84ELc84EKdS1_dEEvlllT_PT11_llS4_llS2_PT12_llPT13_lli,comdat
.Lfunc_end63:
	.size	_ZN12_GLOBAL__N_127rocblas_gemm_batched_kernelIdLi16ELi16ELi64ELi64ELi4ELi64ELi4ELi4ELi64ELc84ELc84EKdS1_dEEvlllT_PT11_llS4_llS2_PT12_llPT13_lli, .Lfunc_end63-_ZN12_GLOBAL__N_127rocblas_gemm_batched_kernelIdLi16ELi16ELi64ELi64ELi4ELi64ELi4ELi4ELi64ELc84ELc84EKdS1_dEEvlllT_PT11_llS4_llS2_PT12_llPT13_lli
                                        ; -- End function
	.set _ZN12_GLOBAL__N_127rocblas_gemm_batched_kernelIdLi16ELi16ELi64ELi64ELi4ELi64ELi4ELi4ELi64ELc84ELc84EKdS1_dEEvlllT_PT11_llS4_llS2_PT12_llPT13_lli.num_vgpr, 90
	.set _ZN12_GLOBAL__N_127rocblas_gemm_batched_kernelIdLi16ELi16ELi64ELi64ELi4ELi64ELi4ELi4ELi64ELc84ELc84EKdS1_dEEvlllT_PT11_llS4_llS2_PT12_llPT13_lli.num_agpr, 0
	.set _ZN12_GLOBAL__N_127rocblas_gemm_batched_kernelIdLi16ELi16ELi64ELi64ELi4ELi64ELi4ELi4ELi64ELc84ELc84EKdS1_dEEvlllT_PT11_llS4_llS2_PT12_llPT13_lli.numbered_sgpr, 44
	.set _ZN12_GLOBAL__N_127rocblas_gemm_batched_kernelIdLi16ELi16ELi64ELi64ELi4ELi64ELi4ELi4ELi64ELc84ELc84EKdS1_dEEvlllT_PT11_llS4_llS2_PT12_llPT13_lli.num_named_barrier, 0
	.set _ZN12_GLOBAL__N_127rocblas_gemm_batched_kernelIdLi16ELi16ELi64ELi64ELi4ELi64ELi4ELi4ELi64ELc84ELc84EKdS1_dEEvlllT_PT11_llS4_llS2_PT12_llPT13_lli.private_seg_size, 0
	.set _ZN12_GLOBAL__N_127rocblas_gemm_batched_kernelIdLi16ELi16ELi64ELi64ELi4ELi64ELi4ELi4ELi64ELc84ELc84EKdS1_dEEvlllT_PT11_llS4_llS2_PT12_llPT13_lli.uses_vcc, 1
	.set _ZN12_GLOBAL__N_127rocblas_gemm_batched_kernelIdLi16ELi16ELi64ELi64ELi4ELi64ELi4ELi4ELi64ELc84ELc84EKdS1_dEEvlllT_PT11_llS4_llS2_PT12_llPT13_lli.uses_flat_scratch, 0
	.set _ZN12_GLOBAL__N_127rocblas_gemm_batched_kernelIdLi16ELi16ELi64ELi64ELi4ELi64ELi4ELi4ELi64ELc84ELc84EKdS1_dEEvlllT_PT11_llS4_llS2_PT12_llPT13_lli.has_dyn_sized_stack, 0
	.set _ZN12_GLOBAL__N_127rocblas_gemm_batched_kernelIdLi16ELi16ELi64ELi64ELi4ELi64ELi4ELi4ELi64ELc84ELc84EKdS1_dEEvlllT_PT11_llS4_llS2_PT12_llPT13_lli.has_recursion, 0
	.set _ZN12_GLOBAL__N_127rocblas_gemm_batched_kernelIdLi16ELi16ELi64ELi64ELi4ELi64ELi4ELi4ELi64ELc84ELc84EKdS1_dEEvlllT_PT11_llS4_llS2_PT12_llPT13_lli.has_indirect_call, 0
	.section	.AMDGPU.csdata,"",@progbits
; Kernel info:
; codeLenInByte = 3192
; TotalNumSgprs: 46
; NumVgprs: 90
; ScratchSize: 0
; MemoryBound: 0
; FloatMode: 240
; IeeeMode: 1
; LDSByteSize: 4096 bytes/workgroup (compile time only)
; SGPRBlocks: 0
; VGPRBlocks: 11
; NumSGPRsForWavesPerEU: 46
; NumVGPRsForWavesPerEU: 90
; Occupancy: 16
; WaveLimiterHint : 1
; COMPUTE_PGM_RSRC2:SCRATCH_EN: 0
; COMPUTE_PGM_RSRC2:USER_SGPR: 2
; COMPUTE_PGM_RSRC2:TRAP_HANDLER: 0
; COMPUTE_PGM_RSRC2:TGID_X_EN: 1
; COMPUTE_PGM_RSRC2:TGID_Y_EN: 1
; COMPUTE_PGM_RSRC2:TGID_Z_EN: 1
; COMPUTE_PGM_RSRC2:TIDIG_COMP_CNT: 1
	.section	.text._ZN12_GLOBAL__N_127rocblas_gemm_batched_kernelIdLi16ELi16ELi64ELi64ELi4ELi64ELi4ELi4ELi64ELc67ELc67EKdS1_dEEvlllT_PT11_llS4_llS2_PT12_llPT13_lli,"axG",@progbits,_ZN12_GLOBAL__N_127rocblas_gemm_batched_kernelIdLi16ELi16ELi64ELi64ELi4ELi64ELi4ELi4ELi64ELc67ELc67EKdS1_dEEvlllT_PT11_llS4_llS2_PT12_llPT13_lli,comdat
	.globl	_ZN12_GLOBAL__N_127rocblas_gemm_batched_kernelIdLi16ELi16ELi64ELi64ELi4ELi64ELi4ELi4ELi64ELc67ELc67EKdS1_dEEvlllT_PT11_llS4_llS2_PT12_llPT13_lli ; -- Begin function _ZN12_GLOBAL__N_127rocblas_gemm_batched_kernelIdLi16ELi16ELi64ELi64ELi4ELi64ELi4ELi4ELi64ELc67ELc67EKdS1_dEEvlllT_PT11_llS4_llS2_PT12_llPT13_lli
	.p2align	8
	.type	_ZN12_GLOBAL__N_127rocblas_gemm_batched_kernelIdLi16ELi16ELi64ELi64ELi4ELi64ELi4ELi4ELi64ELc67ELc67EKdS1_dEEvlllT_PT11_llS4_llS2_PT12_llPT13_lli,@function
_ZN12_GLOBAL__N_127rocblas_gemm_batched_kernelIdLi16ELi16ELi64ELi64ELi4ELi64ELi4ELi4ELi64ELc67ELc67EKdS1_dEEvlllT_PT11_llS4_llS2_PT12_llPT13_lli: ; @_ZN12_GLOBAL__N_127rocblas_gemm_batched_kernelIdLi16ELi16ELi64ELi64ELi4ELi64ELi4ELi4ELi64ELc67ELc67EKdS1_dEEvlllT_PT11_llS4_llS2_PT12_llPT13_lli
; %bb.0:
	s_load_b32 s28, s[0:1], 0x88
	s_lshr_b32 s2, ttmp7, 16
	s_wait_kmcnt 0x0
	s_cmp_ge_i32 s2, s28
	s_cbranch_scc1 .LBB64_11
; %bb.1:
	s_clause 0x2
	s_load_b256 s[20:27], s[0:1], 0x70
	s_load_b512 s[4:19], s[0:1], 0x10
	s_load_b256 s[36:43], s[0:1], 0x50
	v_dual_mov_b32 v1, 0 :: v_dual_and_b32 v8, 0x3ff, v0
	v_bfe_u32 v6, v0, 10, 10
	v_and_b32_e32 v9, 3, v0
	s_lshl_b32 s0, ttmp7, 6
	s_mov_b32 s30, ttmp9
	s_and_b32 s0, s0, 0x3fffc0
	v_lshl_add_u32 v2, v6, 4, v8
	v_add_nc_u32_e32 v7, s0, v6
	v_lshlrev_b32_e32 v3, 3, v9
	v_lshl_add_u32 v47, v6, 5, 0x800
	s_ashr_i32 s31, ttmp9, 31
	v_lshrrev_b32_e32 v0, 2, v2
	v_and_b32_e32 v10, 63, v2
	v_lshrrev_b32_e32 v12, 6, v2
	s_wait_kmcnt 0x0
	s_lshl_b64 s[26:27], s[30:31], 6
	v_lshlrev_b32_e32 v44, 3, v8
	v_mad_co_u64_u32 v[4:5], null, v7, s22, 0
	v_lshl_or_b32 v13, v0, 5, v3
	v_mad_co_u64_u32 v[2:3], null, v7, s40, 0
	v_mad_co_u64_u32 v[0:1], null, s16, v9, v[0:1]
	v_cmp_eq_f64_e64 s1, s[36:37], 0
	v_mad_co_u64_u32 v[5:6], null, v7, s23, v[5:6]
	v_add_nc_u32_e32 v46, 0x800, v13
	v_mad_co_u64_u32 v[6:7], null, v7, s41, v[3:4]
	v_add_co_u32 v0, vcc_lo, v0, s0
	s_mul_i32 s0, s10, s27
	v_add_co_u32 v7, s29, s26, v8
	s_delay_alu instid0(VALU_DEP_1)
	v_add_co_ci_u32_e64 v8, null, s27, 0, s29
	v_mov_b32_e32 v3, v6
	v_lshlrev_b32_e32 v11, 3, v10
	v_lshlrev_b64_e32 v[4:5], 3, v[4:5]
	s_lshl_b64 s[22:23], s[22:23], 4
	s_lshl_b64 s[30:31], s[40:41], 4
	s_mov_b32 s3, 0
	v_lshl_or_b32 v45, v12, 9, v11
	v_or_b32_e32 v11, s26, v10
	v_mad_co_u64_u32 v[9:10], null, s17, v9, v[1:2]
	v_lshlrev_b64_e32 v[2:3], 3, v[2:3]
	s_delay_alu instid0(VALU_DEP_3)
	v_mul_lo_u32 v6, s11, v11
	v_mad_co_u64_u32 v[10:11], null, s10, v11, 0
	s_lshl_b64 s[10:11], s[18:19], 3
	v_add_co_ci_u32_e64 v1, null, 0, v9, vcc_lo
	v_add_co_u32 v48, vcc_lo, s38, v2
	s_wait_alu 0xfffd
	v_add_co_ci_u32_e64 v49, null, s39, v3, vcc_lo
	s_wait_alu 0xfffe
	v_add3_u32 v11, v11, s0, v6
	v_lshlrev_b64_e32 v[0:1], 3, v[0:1]
	v_lshlrev_b32_e32 v6, 3, v12
	v_cmp_gt_i64_e64 s0, s[4:5], 0
	s_delay_alu instid0(VALU_DEP_4) | instskip(NEXT) | instid1(VALU_DEP_4)
	v_lshlrev_b64_e32 v[2:3], 3, v[10:11]
	v_add_co_u32 v0, vcc_lo, s14, v0
	s_wait_alu 0xfffd
	v_add_co_ci_u32_e64 v1, null, s15, v1, vcc_lo
	s_delay_alu instid0(VALU_DEP_3)
	v_add_co_u32 v2, vcc_lo, v2, v6
	s_wait_alu 0xfffd
	v_add_co_ci_u32_e64 v3, null, 0, v3, vcc_lo
	s_wait_alu 0xf1ff
	v_cndmask_b32_e64 v9, 0, 1, s0
	v_add_co_u32 v2, vcc_lo, s8, v2
	v_lshlrev_b64_e32 v[6:7], 3, v[7:8]
	s_wait_alu 0xfffd
	v_add_co_ci_u32_e64 v3, null, s9, v3, vcc_lo
	v_cmp_ne_u32_e64 s0, 1, v9
	s_lshl_b64 s[14:15], s[16:17], 5
	s_lshl_b64 s[8:9], s[12:13], 3
	;; [unrolled: 1-line block ×4, first 2 shown]
	s_branch .LBB64_3
.LBB64_2:                               ;   in Loop: Header=BB64_3 Depth=1
	s_add_co_i32 s2, s2, 0x10000
	s_wait_alu 0xfffe
	s_cmp_lt_i32 s2, s28
	s_cbranch_scc0 .LBB64_11
.LBB64_3:                               ; =>This Loop Header: Depth=1
                                        ;     Child Loop BB64_5 Depth 2
	s_and_b32 vcc_lo, exec_lo, s0
	s_wait_alu 0xfffe
	s_cbranch_vccnz .LBB64_6
; %bb.4:                                ;   in Loop: Header=BB64_3 Depth=1
	v_mad_co_u64_u32 v[40:41], null, s10, s2, v[0:1]
	v_mad_co_u64_u32 v[42:43], null, s8, s2, v[2:3]
	v_mov_b32_e32 v16, 0
	v_mov_b32_e32 v24, 0
	v_mov_b32_e32 v8, 0
	v_mov_b32_e32 v12, 0
	v_dual_mov_b32 v22, v41 :: v_dual_mov_b32 v17, 0
	v_dual_mov_b32 v28, v43 :: v_dual_mov_b32 v25, 0
	;; [unrolled: 1-line block ×3, first 2 shown]
	s_delay_alu instid0(VALU_DEP_3) | instskip(NEXT) | instid1(VALU_DEP_3)
	v_mad_co_u64_u32 v[30:31], null, s11, s2, v[22:23]
	v_mad_co_u64_u32 v[50:51], null, s9, s2, v[28:29]
	v_dual_mov_b32 v13, 0 :: v_dual_mov_b32 v14, 0
	v_mov_b32_e32 v18, 0
	v_mov_b32_e32 v20, 0
	;; [unrolled: 1-line block ×3, first 2 shown]
	v_dual_mov_b32 v26, 0 :: v_dual_mov_b32 v41, v30
	v_mov_b32_e32 v28, 0
	v_mov_b32_e32 v30, 0
	;; [unrolled: 1-line block ×5, first 2 shown]
	v_dual_mov_b32 v38, 0 :: v_dual_mov_b32 v43, v50
	v_mov_b32_e32 v11, 0
	v_mov_b32_e32 v15, 0
	;; [unrolled: 1-line block ×12, first 2 shown]
	s_mov_b64 s[18:19], 0
.LBB64_5:                               ;   Parent Loop BB64_3 Depth=1
                                        ; =>  This Inner Loop Header: Depth=2
	global_load_b64 v[50:51], v[42:43], off
	global_load_b64 v[52:53], v[40:41], off
	s_wait_alu 0xfffe
	s_add_nc_u64 s[18:19], s[18:19], 4
	v_add_co_u32 v40, vcc_lo, v40, s14
	s_wait_alu 0xfffe
	v_cmp_lt_i64_e64 s22, s[18:19], s[4:5]
	s_wait_alu 0xfffd
	v_add_co_ci_u32_e64 v41, null, s15, v41, vcc_lo
	v_add_co_u32 v42, vcc_lo, v42, 32
	s_wait_alu 0xfffd
	v_add_co_ci_u32_e64 v43, null, 0, v43, vcc_lo
	s_and_b32 vcc_lo, exec_lo, s22
	s_wait_loadcnt 0x1
	ds_store_b64 v45, v[50:51]
	s_wait_loadcnt 0x0
	ds_store_b64 v46, v[52:53]
	s_wait_dscnt 0x0
	s_barrier_signal -1
	s_barrier_wait -1
	global_inv scope:SCOPE_SE
	ds_load_b128 v[50:53], v47
	ds_load_2addr_b64 v[54:57], v44 offset1:16
	ds_load_2addr_b64 v[58:61], v44 offset0:32 offset1:48
	ds_load_b128 v[62:65], v47 offset:512
	ds_load_b128 v[66:69], v47 offset:1024
	;; [unrolled: 1-line block ×7, first 2 shown]
	s_wait_dscnt 0x8
	v_fma_f64 v[38:39], v[54:55], v[50:51], v[38:39]
	v_fma_f64 v[36:37], v[56:57], v[50:51], v[36:37]
	s_wait_dscnt 0x7
	v_fma_f64 v[34:35], v[58:59], v[50:51], v[34:35]
	v_fma_f64 v[32:33], v[60:61], v[50:51], v[32:33]
	;; [unrolled: 3-line block ×3, first 2 shown]
	v_fma_f64 v[26:27], v[58:59], v[62:63], v[26:27]
	v_fma_f64 v[24:25], v[60:61], v[62:63], v[24:25]
	s_wait_dscnt 0x5
	v_fma_f64 v[22:23], v[54:55], v[66:67], v[22:23]
	v_fma_f64 v[20:21], v[56:57], v[66:67], v[20:21]
	;; [unrolled: 1-line block ×4, first 2 shown]
	s_wait_dscnt 0x4
	v_fma_f64 v[50:51], v[54:55], v[70:71], v[14:15]
	v_fma_f64 v[54:55], v[56:57], v[70:71], v[12:13]
	;; [unrolled: 1-line block ×4, first 2 shown]
	ds_load_2addr_b64 v[8:11], v44 offset0:64 offset1:80
	ds_load_2addr_b64 v[12:15], v44 offset0:96 offset1:112
	s_wait_dscnt 0x1
	v_fma_f64 v[38:39], v[8:9], v[52:53], v[38:39]
	v_fma_f64 v[36:37], v[10:11], v[52:53], v[36:37]
	s_wait_dscnt 0x0
	v_fma_f64 v[34:35], v[12:13], v[52:53], v[34:35]
	v_fma_f64 v[32:33], v[14:15], v[52:53], v[32:33]
	;; [unrolled: 1-line block ×14, first 2 shown]
	ds_load_2addr_b64 v[8:11], v44 offset0:128 offset1:144
	ds_load_2addr_b64 v[12:15], v44 offset0:160 offset1:176
	s_wait_dscnt 0x1
	v_fma_f64 v[38:39], v[8:9], v[74:75], v[38:39]
	v_fma_f64 v[36:37], v[10:11], v[74:75], v[36:37]
	s_wait_dscnt 0x0
	v_fma_f64 v[34:35], v[12:13], v[74:75], v[34:35]
	v_fma_f64 v[32:33], v[14:15], v[74:75], v[32:33]
	;; [unrolled: 1-line block ×14, first 2 shown]
	ds_load_2addr_b64 v[8:11], v44 offset0:192 offset1:208
	ds_load_2addr_b64 v[50:53], v44 offset0:224 offset1:240
	s_wait_loadcnt_dscnt 0x0
	s_barrier_signal -1
	s_barrier_wait -1
	global_inv scope:SCOPE_SE
	v_fma_f64 v[38:39], v[8:9], v[76:77], v[38:39]
	v_fma_f64 v[36:37], v[10:11], v[76:77], v[36:37]
	;; [unrolled: 1-line block ×16, first 2 shown]
	s_wait_alu 0xfffe
	s_cbranch_vccnz .LBB64_5
	s_branch .LBB64_7
.LBB64_6:                               ;   in Loop: Header=BB64_3 Depth=1
	v_mov_b32_e32 v38, 0
	v_mov_b32_e32 v34, 0
	;; [unrolled: 1-line block ×7, first 2 shown]
	v_dual_mov_b32 v10, 0 :: v_dual_mov_b32 v39, 0
	v_dual_mov_b32 v36, 0 :: v_dual_mov_b32 v35, 0
	;; [unrolled: 1-line block ×9, first 2 shown]
	v_mov_b32_e32 v33, 0
	v_mov_b32_e32 v29, 0
	;; [unrolled: 1-line block ×7, first 2 shown]
.LBB64_7:                               ;   in Loop: Header=BB64_3 Depth=1
	s_mul_u64 s[18:19], s[24:25], s[2:3]
	s_and_not1_b32 vcc_lo, exec_lo, s1
	s_wait_alu 0xfffe
	s_lshl_b64 s[18:19], s[18:19], 3
	s_wait_alu 0xfffe
	s_add_nc_u64 s[18:19], s[20:21], s[18:19]
	s_cbranch_vccnz .LBB64_9
; %bb.8:                                ;   in Loop: Header=BB64_3 Depth=1
	v_mul_f64_e32 v[40:41], s[6:7], v[38:39]
	v_mul_f64_e32 v[42:43], s[6:7], v[36:37]
	v_mul_f64_e32 v[50:51], s[6:7], v[34:35]
	v_mul_f64_e32 v[52:53], s[6:7], v[32:33]
	v_mul_f64_e32 v[54:55], s[6:7], v[30:31]
	v_mul_f64_e32 v[62:63], s[6:7], v[22:23]
	v_mul_f64_e32 v[70:71], s[6:7], v[14:15]
	v_mul_f64_e32 v[56:57], s[6:7], v[28:29]
	v_mul_f64_e32 v[64:65], s[6:7], v[20:21]
	v_mul_f64_e32 v[72:73], s[6:7], v[12:13]
	v_mul_f64_e32 v[58:59], s[6:7], v[26:27]
	v_mul_f64_e32 v[66:67], s[6:7], v[18:19]
	v_mul_f64_e32 v[74:75], s[6:7], v[10:11]
	v_mul_f64_e32 v[60:61], s[6:7], v[24:25]
	v_mul_f64_e32 v[68:69], s[6:7], v[16:17]
	v_mul_f64_e32 v[76:77], s[6:7], v[8:9]
	s_wait_alu 0xfffe
	v_add_co_u32 v78, vcc_lo, s18, v4
	s_wait_alu 0xfffd
	v_add_co_ci_u32_e64 v79, null, s19, v5, vcc_lo
	s_delay_alu instid0(VALU_DEP_2) | instskip(SKIP_1) | instid1(VALU_DEP_2)
	v_add_co_u32 v82, vcc_lo, v78, s16
	s_wait_alu 0xfffd
	v_add_co_ci_u32_e64 v83, null, s17, v79, vcc_lo
	v_add_co_u32 v78, vcc_lo, v78, v6
	s_wait_alu 0xfffd
	v_add_co_ci_u32_e64 v79, null, v79, v7, vcc_lo
	;; [unrolled: 3-line block ×3, first 2 shown]
	s_clause 0x3
	global_store_b64 v[78:79], v[40:41], off
	global_store_b64 v[78:79], v[42:43], off offset:128
	global_store_b64 v[78:79], v[50:51], off offset:256
	;; [unrolled: 1-line block ×3, first 2 shown]
	v_add_co_u32 v40, vcc_lo, v82, s16
	s_wait_alu 0xfffd
	v_add_co_ci_u32_e64 v41, null, s17, v83, vcc_lo
	s_clause 0x3
	global_store_b64 v[80:81], v[54:55], off
	global_store_b64 v[80:81], v[56:57], off offset:128
	global_store_b64 v[80:81], v[58:59], off offset:256
	global_store_b64 v[80:81], v[60:61], off offset:384
	v_add_co_u32 v42, vcc_lo, v40, s16
	s_wait_alu 0xfffd
	v_add_co_ci_u32_e64 v43, null, s17, v41, vcc_lo
	v_add_co_u32 v40, vcc_lo, v40, v6
	s_wait_alu 0xfffd
	v_add_co_ci_u32_e64 v41, null, v41, v7, vcc_lo
	;; [unrolled: 3-line block ×3, first 2 shown]
	s_clause 0x7
	global_store_b64 v[40:41], v[62:63], off
	global_store_b64 v[40:41], v[64:65], off offset:128
	global_store_b64 v[40:41], v[66:67], off offset:256
	;; [unrolled: 1-line block ×3, first 2 shown]
	global_store_b64 v[42:43], v[70:71], off
	global_store_b64 v[42:43], v[72:73], off offset:128
	global_store_b64 v[42:43], v[74:75], off offset:256
	;; [unrolled: 1-line block ×3, first 2 shown]
	s_cbranch_execnz .LBB64_2
	s_branch .LBB64_10
.LBB64_9:                               ;   in Loop: Header=BB64_3 Depth=1
.LBB64_10:                              ;   in Loop: Header=BB64_3 Depth=1
	s_mul_u64 s[22:23], s[42:43], s[2:3]
	s_wait_alu 0xfffe
	s_lshl_b64 s[22:23], s[22:23], 3
	s_wait_alu 0xfffe
	v_add_co_u32 v50, vcc_lo, v48, s22
	s_wait_alu 0xfffd
	v_add_co_ci_u32_e64 v51, null, s23, v49, vcc_lo
	s_delay_alu instid0(VALU_DEP_2) | instskip(SKIP_1) | instid1(VALU_DEP_2)
	v_add_co_u32 v40, vcc_lo, v50, v6
	s_wait_alu 0xfffd
	v_add_co_ci_u32_e64 v41, null, v51, v7, vcc_lo
	v_add_co_u32 v52, vcc_lo, s18, v4
	s_wait_alu 0xfffd
	v_add_co_ci_u32_e64 v53, null, s19, v5, vcc_lo
	global_load_b64 v[42:43], v[40:41], off
	s_wait_loadcnt 0x0
	v_mul_f64_e32 v[42:43], s[36:37], v[42:43]
	s_delay_alu instid0(VALU_DEP_1)
	v_fma_f64 v[38:39], s[6:7], v[38:39], v[42:43]
	v_add_co_u32 v42, vcc_lo, v52, v6
	s_wait_alu 0xfffd
	v_add_co_ci_u32_e64 v43, null, v53, v7, vcc_lo
	global_store_b64 v[42:43], v[38:39], off
	global_load_b64 v[38:39], v[40:41], off offset:128
	s_wait_loadcnt 0x0
	v_mul_f64_e32 v[38:39], s[36:37], v[38:39]
	s_delay_alu instid0(VALU_DEP_1) | instskip(SKIP_4) | instid1(VALU_DEP_1)
	v_fma_f64 v[36:37], s[6:7], v[36:37], v[38:39]
	global_store_b64 v[42:43], v[36:37], off offset:128
	global_load_b64 v[36:37], v[40:41], off offset:256
	s_wait_loadcnt 0x0
	v_mul_f64_e32 v[36:37], s[36:37], v[36:37]
	v_fma_f64 v[34:35], s[6:7], v[34:35], v[36:37]
	v_add_co_u32 v36, vcc_lo, v50, s12
	s_wait_alu 0xfffd
	v_add_co_ci_u32_e64 v37, null, s13, v51, vcc_lo
	global_store_b64 v[42:43], v[34:35], off offset:256
	global_load_b64 v[34:35], v[40:41], off offset:384
	s_wait_loadcnt 0x0
	v_mul_f64_e32 v[34:35], s[36:37], v[34:35]
	s_delay_alu instid0(VALU_DEP_1)
	v_fma_f64 v[32:33], s[6:7], v[32:33], v[34:35]
	v_add_co_u32 v34, vcc_lo, v36, v6
	s_wait_alu 0xfffd
	v_add_co_ci_u32_e64 v35, null, v37, v7, vcc_lo
	v_add_co_u32 v38, vcc_lo, v52, s16
	s_wait_alu 0xfffd
	v_add_co_ci_u32_e64 v39, null, s17, v53, vcc_lo
	global_store_b64 v[42:43], v[32:33], off offset:384
	global_load_b64 v[32:33], v[34:35], off
	s_wait_loadcnt 0x0
	v_mul_f64_e32 v[32:33], s[36:37], v[32:33]
	s_delay_alu instid0(VALU_DEP_1)
	v_fma_f64 v[30:31], s[6:7], v[30:31], v[32:33]
	v_add_co_u32 v32, vcc_lo, v38, v6
	s_wait_alu 0xfffd
	v_add_co_ci_u32_e64 v33, null, v39, v7, vcc_lo
	global_store_b64 v[32:33], v[30:31], off
	global_load_b64 v[30:31], v[34:35], off offset:128
	s_wait_loadcnt 0x0
	v_mul_f64_e32 v[30:31], s[36:37], v[30:31]
	s_delay_alu instid0(VALU_DEP_1) | instskip(SKIP_4) | instid1(VALU_DEP_1)
	v_fma_f64 v[28:29], s[6:7], v[28:29], v[30:31]
	global_store_b64 v[32:33], v[28:29], off offset:128
	global_load_b64 v[28:29], v[34:35], off offset:256
	s_wait_loadcnt 0x0
	v_mul_f64_e32 v[28:29], s[36:37], v[28:29]
	v_fma_f64 v[26:27], s[6:7], v[26:27], v[28:29]
	v_add_co_u32 v28, vcc_lo, v36, s12
	s_wait_alu 0xfffd
	v_add_co_ci_u32_e64 v29, null, s13, v37, vcc_lo
	global_store_b64 v[32:33], v[26:27], off offset:256
	global_load_b64 v[26:27], v[34:35], off offset:384
	s_wait_loadcnt 0x0
	v_mul_f64_e32 v[26:27], s[36:37], v[26:27]
	s_delay_alu instid0(VALU_DEP_1)
	v_fma_f64 v[24:25], s[6:7], v[24:25], v[26:27]
	v_add_co_u32 v26, vcc_lo, v28, v6
	s_wait_alu 0xfffd
	v_add_co_ci_u32_e64 v27, null, v29, v7, vcc_lo
	v_add_co_u32 v30, vcc_lo, v38, s16
	s_wait_alu 0xfffd
	v_add_co_ci_u32_e64 v31, null, s17, v39, vcc_lo
	global_store_b64 v[32:33], v[24:25], off offset:384
	global_load_b64 v[24:25], v[26:27], off
	s_wait_loadcnt 0x0
	v_mul_f64_e32 v[24:25], s[36:37], v[24:25]
	s_delay_alu instid0(VALU_DEP_1)
	v_fma_f64 v[22:23], s[6:7], v[22:23], v[24:25]
	v_add_co_u32 v24, vcc_lo, v30, v6
	s_wait_alu 0xfffd
	v_add_co_ci_u32_e64 v25, null, v31, v7, vcc_lo
	global_store_b64 v[24:25], v[22:23], off
	global_load_b64 v[22:23], v[26:27], off offset:128
	s_wait_loadcnt 0x0
	v_mul_f64_e32 v[22:23], s[36:37], v[22:23]
	s_delay_alu instid0(VALU_DEP_1) | instskip(SKIP_4) | instid1(VALU_DEP_1)
	v_fma_f64 v[20:21], s[6:7], v[20:21], v[22:23]
	global_store_b64 v[24:25], v[20:21], off offset:128
	global_load_b64 v[20:21], v[26:27], off offset:256
	s_wait_loadcnt 0x0
	v_mul_f64_e32 v[20:21], s[36:37], v[20:21]
	v_fma_f64 v[18:19], s[6:7], v[18:19], v[20:21]
	global_store_b64 v[24:25], v[18:19], off offset:256
	global_load_b64 v[18:19], v[26:27], off offset:384
	s_wait_loadcnt 0x0
	v_mul_f64_e32 v[18:19], s[36:37], v[18:19]
	s_delay_alu instid0(VALU_DEP_1) | instskip(SKIP_3) | instid1(VALU_DEP_2)
	v_fma_f64 v[16:17], s[6:7], v[16:17], v[18:19]
	v_add_co_u32 v18, vcc_lo, v28, s12
	s_wait_alu 0xfffd
	v_add_co_ci_u32_e64 v19, null, s13, v29, vcc_lo
	v_add_co_u32 v18, vcc_lo, v18, v6
	s_wait_alu 0xfffd
	s_delay_alu instid0(VALU_DEP_2) | instskip(SKIP_4) | instid1(VALU_DEP_1)
	v_add_co_ci_u32_e64 v19, null, v19, v7, vcc_lo
	global_store_b64 v[24:25], v[16:17], off offset:384
	global_load_b64 v[16:17], v[18:19], off
	s_wait_loadcnt 0x0
	v_mul_f64_e32 v[16:17], s[36:37], v[16:17]
	v_fma_f64 v[14:15], s[6:7], v[14:15], v[16:17]
	v_add_co_u32 v16, vcc_lo, v30, s16
	s_wait_alu 0xfffd
	v_add_co_ci_u32_e64 v17, null, s17, v31, vcc_lo
	s_delay_alu instid0(VALU_DEP_2) | instskip(SKIP_1) | instid1(VALU_DEP_2)
	v_add_co_u32 v16, vcc_lo, v16, v6
	s_wait_alu 0xfffd
	v_add_co_ci_u32_e64 v17, null, v17, v7, vcc_lo
	global_store_b64 v[16:17], v[14:15], off
	global_load_b64 v[14:15], v[18:19], off offset:128
	s_wait_loadcnt 0x0
	v_mul_f64_e32 v[14:15], s[36:37], v[14:15]
	s_delay_alu instid0(VALU_DEP_1) | instskip(SKIP_4) | instid1(VALU_DEP_1)
	v_fma_f64 v[12:13], s[6:7], v[12:13], v[14:15]
	global_store_b64 v[16:17], v[12:13], off offset:128
	global_load_b64 v[12:13], v[18:19], off offset:256
	s_wait_loadcnt 0x0
	v_mul_f64_e32 v[12:13], s[36:37], v[12:13]
	v_fma_f64 v[10:11], s[6:7], v[10:11], v[12:13]
	global_store_b64 v[16:17], v[10:11], off offset:256
	global_load_b64 v[10:11], v[18:19], off offset:384
	s_wait_loadcnt 0x0
	v_mul_f64_e32 v[10:11], s[36:37], v[10:11]
	s_delay_alu instid0(VALU_DEP_1)
	v_fma_f64 v[8:9], s[6:7], v[8:9], v[10:11]
	global_store_b64 v[16:17], v[8:9], off offset:384
	s_branch .LBB64_2
.LBB64_11:
	s_endpgm
	.section	.rodata,"a",@progbits
	.p2align	6, 0x0
	.amdhsa_kernel _ZN12_GLOBAL__N_127rocblas_gemm_batched_kernelIdLi16ELi16ELi64ELi64ELi4ELi64ELi4ELi4ELi64ELc67ELc67EKdS1_dEEvlllT_PT11_llS4_llS2_PT12_llPT13_lli
		.amdhsa_group_segment_fixed_size 4096
		.amdhsa_private_segment_fixed_size 0
		.amdhsa_kernarg_size 140
		.amdhsa_user_sgpr_count 2
		.amdhsa_user_sgpr_dispatch_ptr 0
		.amdhsa_user_sgpr_queue_ptr 0
		.amdhsa_user_sgpr_kernarg_segment_ptr 1
		.amdhsa_user_sgpr_dispatch_id 0
		.amdhsa_user_sgpr_private_segment_size 0
		.amdhsa_wavefront_size32 1
		.amdhsa_uses_dynamic_stack 0
		.amdhsa_enable_private_segment 0
		.amdhsa_system_sgpr_workgroup_id_x 1
		.amdhsa_system_sgpr_workgroup_id_y 1
		.amdhsa_system_sgpr_workgroup_id_z 1
		.amdhsa_system_sgpr_workgroup_info 0
		.amdhsa_system_vgpr_workitem_id 1
		.amdhsa_next_free_vgpr 90
		.amdhsa_next_free_sgpr 44
		.amdhsa_reserve_vcc 1
		.amdhsa_float_round_mode_32 0
		.amdhsa_float_round_mode_16_64 0
		.amdhsa_float_denorm_mode_32 3
		.amdhsa_float_denorm_mode_16_64 3
		.amdhsa_fp16_overflow 0
		.amdhsa_workgroup_processor_mode 1
		.amdhsa_memory_ordered 1
		.amdhsa_forward_progress 1
		.amdhsa_inst_pref_size 25
		.amdhsa_round_robin_scheduling 0
		.amdhsa_exception_fp_ieee_invalid_op 0
		.amdhsa_exception_fp_denorm_src 0
		.amdhsa_exception_fp_ieee_div_zero 0
		.amdhsa_exception_fp_ieee_overflow 0
		.amdhsa_exception_fp_ieee_underflow 0
		.amdhsa_exception_fp_ieee_inexact 0
		.amdhsa_exception_int_div_zero 0
	.end_amdhsa_kernel
	.section	.text._ZN12_GLOBAL__N_127rocblas_gemm_batched_kernelIdLi16ELi16ELi64ELi64ELi4ELi64ELi4ELi4ELi64ELc67ELc67EKdS1_dEEvlllT_PT11_llS4_llS2_PT12_llPT13_lli,"axG",@progbits,_ZN12_GLOBAL__N_127rocblas_gemm_batched_kernelIdLi16ELi16ELi64ELi64ELi4ELi64ELi4ELi4ELi64ELc67ELc67EKdS1_dEEvlllT_PT11_llS4_llS2_PT12_llPT13_lli,comdat
.Lfunc_end64:
	.size	_ZN12_GLOBAL__N_127rocblas_gemm_batched_kernelIdLi16ELi16ELi64ELi64ELi4ELi64ELi4ELi4ELi64ELc67ELc67EKdS1_dEEvlllT_PT11_llS4_llS2_PT12_llPT13_lli, .Lfunc_end64-_ZN12_GLOBAL__N_127rocblas_gemm_batched_kernelIdLi16ELi16ELi64ELi64ELi4ELi64ELi4ELi4ELi64ELc67ELc67EKdS1_dEEvlllT_PT11_llS4_llS2_PT12_llPT13_lli
                                        ; -- End function
	.set _ZN12_GLOBAL__N_127rocblas_gemm_batched_kernelIdLi16ELi16ELi64ELi64ELi4ELi64ELi4ELi4ELi64ELc67ELc67EKdS1_dEEvlllT_PT11_llS4_llS2_PT12_llPT13_lli.num_vgpr, 90
	.set _ZN12_GLOBAL__N_127rocblas_gemm_batched_kernelIdLi16ELi16ELi64ELi64ELi4ELi64ELi4ELi4ELi64ELc67ELc67EKdS1_dEEvlllT_PT11_llS4_llS2_PT12_llPT13_lli.num_agpr, 0
	.set _ZN12_GLOBAL__N_127rocblas_gemm_batched_kernelIdLi16ELi16ELi64ELi64ELi4ELi64ELi4ELi4ELi64ELc67ELc67EKdS1_dEEvlllT_PT11_llS4_llS2_PT12_llPT13_lli.numbered_sgpr, 44
	.set _ZN12_GLOBAL__N_127rocblas_gemm_batched_kernelIdLi16ELi16ELi64ELi64ELi4ELi64ELi4ELi4ELi64ELc67ELc67EKdS1_dEEvlllT_PT11_llS4_llS2_PT12_llPT13_lli.num_named_barrier, 0
	.set _ZN12_GLOBAL__N_127rocblas_gemm_batched_kernelIdLi16ELi16ELi64ELi64ELi4ELi64ELi4ELi4ELi64ELc67ELc67EKdS1_dEEvlllT_PT11_llS4_llS2_PT12_llPT13_lli.private_seg_size, 0
	.set _ZN12_GLOBAL__N_127rocblas_gemm_batched_kernelIdLi16ELi16ELi64ELi64ELi4ELi64ELi4ELi4ELi64ELc67ELc67EKdS1_dEEvlllT_PT11_llS4_llS2_PT12_llPT13_lli.uses_vcc, 1
	.set _ZN12_GLOBAL__N_127rocblas_gemm_batched_kernelIdLi16ELi16ELi64ELi64ELi4ELi64ELi4ELi4ELi64ELc67ELc67EKdS1_dEEvlllT_PT11_llS4_llS2_PT12_llPT13_lli.uses_flat_scratch, 0
	.set _ZN12_GLOBAL__N_127rocblas_gemm_batched_kernelIdLi16ELi16ELi64ELi64ELi4ELi64ELi4ELi4ELi64ELc67ELc67EKdS1_dEEvlllT_PT11_llS4_llS2_PT12_llPT13_lli.has_dyn_sized_stack, 0
	.set _ZN12_GLOBAL__N_127rocblas_gemm_batched_kernelIdLi16ELi16ELi64ELi64ELi4ELi64ELi4ELi4ELi64ELc67ELc67EKdS1_dEEvlllT_PT11_llS4_llS2_PT12_llPT13_lli.has_recursion, 0
	.set _ZN12_GLOBAL__N_127rocblas_gemm_batched_kernelIdLi16ELi16ELi64ELi64ELi4ELi64ELi4ELi4ELi64ELc67ELc67EKdS1_dEEvlllT_PT11_llS4_llS2_PT12_llPT13_lli.has_indirect_call, 0
	.section	.AMDGPU.csdata,"",@progbits
; Kernel info:
; codeLenInByte = 3192
; TotalNumSgprs: 46
; NumVgprs: 90
; ScratchSize: 0
; MemoryBound: 0
; FloatMode: 240
; IeeeMode: 1
; LDSByteSize: 4096 bytes/workgroup (compile time only)
; SGPRBlocks: 0
; VGPRBlocks: 11
; NumSGPRsForWavesPerEU: 46
; NumVGPRsForWavesPerEU: 90
; Occupancy: 16
; WaveLimiterHint : 1
; COMPUTE_PGM_RSRC2:SCRATCH_EN: 0
; COMPUTE_PGM_RSRC2:USER_SGPR: 2
; COMPUTE_PGM_RSRC2:TRAP_HANDLER: 0
; COMPUTE_PGM_RSRC2:TGID_X_EN: 1
; COMPUTE_PGM_RSRC2:TGID_Y_EN: 1
; COMPUTE_PGM_RSRC2:TGID_Z_EN: 1
; COMPUTE_PGM_RSRC2:TIDIG_COMP_CNT: 1
	.section	.text._ZN12_GLOBAL__N_127rocblas_gemm_batched_kernelIdLi16ELi16ELi64ELi64ELi4ELi64ELi4ELi4ELi64ELc67ELc78EKdS1_dEEvlllT_PT11_llS4_llS2_PT12_llPT13_lli,"axG",@progbits,_ZN12_GLOBAL__N_127rocblas_gemm_batched_kernelIdLi16ELi16ELi64ELi64ELi4ELi64ELi4ELi4ELi64ELc67ELc78EKdS1_dEEvlllT_PT11_llS4_llS2_PT12_llPT13_lli,comdat
	.globl	_ZN12_GLOBAL__N_127rocblas_gemm_batched_kernelIdLi16ELi16ELi64ELi64ELi4ELi64ELi4ELi4ELi64ELc67ELc78EKdS1_dEEvlllT_PT11_llS4_llS2_PT12_llPT13_lli ; -- Begin function _ZN12_GLOBAL__N_127rocblas_gemm_batched_kernelIdLi16ELi16ELi64ELi64ELi4ELi64ELi4ELi4ELi64ELc67ELc78EKdS1_dEEvlllT_PT11_llS4_llS2_PT12_llPT13_lli
	.p2align	8
	.type	_ZN12_GLOBAL__N_127rocblas_gemm_batched_kernelIdLi16ELi16ELi64ELi64ELi4ELi64ELi4ELi4ELi64ELc67ELc78EKdS1_dEEvlllT_PT11_llS4_llS2_PT12_llPT13_lli,@function
_ZN12_GLOBAL__N_127rocblas_gemm_batched_kernelIdLi16ELi16ELi64ELi64ELi4ELi64ELi4ELi4ELi64ELc67ELc78EKdS1_dEEvlllT_PT11_llS4_llS2_PT12_llPT13_lli: ; @_ZN12_GLOBAL__N_127rocblas_gemm_batched_kernelIdLi16ELi16ELi64ELi64ELi4ELi64ELi4ELi4ELi64ELc67ELc78EKdS1_dEEvlllT_PT11_llS4_llS2_PT12_llPT13_lli
; %bb.0:
	s_load_b32 s28, s[0:1], 0x88
	s_lshr_b32 s2, ttmp7, 16
	s_wait_kmcnt 0x0
	s_cmp_ge_i32 s2, s28
	s_cbranch_scc1 .LBB65_11
; %bb.1:
	s_clause 0x2
	s_load_b256 s[20:27], s[0:1], 0x50
	s_load_b256 s[36:43], s[0:1], 0x70
	s_load_b512 s[4:19], s[0:1], 0x10
	v_and_b32_e32 v10, 0x3ff, v0
	v_bfe_u32 v1, v0, 10, 10
	s_lshl_b32 s0, ttmp7, 6
	v_lshlrev_b32_e32 v0, 3, v0
	s_and_b32 s0, s0, 0x3fffc0
	s_mov_b32 s30, ttmp9
	v_lshl_add_u32 v2, v1, 4, v10
	v_add_nc_u32_e32 v8, s0, v1
	v_and_b32_e32 v11, 24, v0
	v_lshl_add_u32 v45, v1, 5, 0x800
	s_ashr_i32 s31, ttmp9, 31
	v_lshrrev_b32_e32 v6, 2, v2
	v_and_b32_e32 v12, 63, v2
	v_lshrrev_b32_e32 v13, 6, v2
	s_lshl_b64 s[30:31], s[30:31], 6
	s_mov_b32 s3, 0
	v_add_nc_u32_e32 v9, s0, v6
	s_wait_kmcnt 0x0
	v_mad_co_u64_u32 v[0:1], null, v8, s24, 0
	v_lshlrev_b32_e32 v7, 3, v12
	v_mad_co_u64_u32 v[4:5], null, v8, s38, 0
	v_mad_co_u64_u32 v[2:3], null, s16, v9, 0
	v_lshl_or_b32 v14, v6, 5, v11
	s_delay_alu instid0(VALU_DEP_4) | instskip(SKIP_1) | instid1(VALU_DEP_3)
	v_lshl_or_b32 v46, v13, 9, v7
	v_cmp_eq_f64_e64 s1, s[20:21], 0
	v_add_nc_u32_e32 v47, 0x800, v14
	v_mad_co_u64_u32 v[6:7], null, v8, s25, v[1:2]
	v_mov_b32_e32 v1, v3
	s_lshl_b64 s[24:25], s[24:25], 4
	s_delay_alu instid0(VALU_DEP_2) | instskip(NEXT) | instid1(VALU_DEP_2)
	v_mad_co_u64_u32 v[7:8], null, v8, s39, v[5:6]
	v_mad_co_u64_u32 v[8:9], null, s17, v9, v[1:2]
	v_dual_mov_b32 v1, v6 :: v_dual_lshlrev_b32 v44, 3, v10
	v_add_co_u32 v9, s0, s30, v10
	s_delay_alu instid0(VALU_DEP_4) | instskip(NEXT) | instid1(VALU_DEP_3)
	v_mov_b32_e32 v5, v7
	v_lshlrev_b64_e32 v[0:1], 3, v[0:1]
	v_mov_b32_e32 v3, v8
	v_or_b32_e32 v6, s30, v12
	s_wait_alu 0xf1ff
	v_add_co_ci_u32_e64 v10, null, s31, 0, s0
	s_mul_i32 s0, s10, s31
	v_lshlrev_b64_e32 v[2:3], 3, v[2:3]
	v_mul_lo_u32 v8, s11, v6
	v_mad_co_u64_u32 v[6:7], null, s10, v6, 0
	v_add_co_u32 v48, vcc_lo, s22, v0
	s_delay_alu instid0(VALU_DEP_1) | instskip(SKIP_2) | instid1(VALU_DEP_4)
	v_add_co_ci_u32_e64 v49, null, s23, v1, vcc_lo
	v_add_co_u32 v0, vcc_lo, v2, v11
	s_wait_alu 0xfffe
	v_add3_u32 v7, v7, s0, v8
	s_wait_alu 0xfffd
	v_add_co_ci_u32_e64 v1, null, 0, v3, vcc_lo
	v_cmp_gt_i64_e64 s0, s[4:5], 0
	v_add_co_u32 v0, vcc_lo, s14, v0
	v_lshlrev_b64_e32 v[2:3], 3, v[6:7]
	v_lshlrev_b32_e32 v6, 3, v13
	s_wait_alu 0xfffd
	v_add_co_ci_u32_e64 v1, null, s15, v1, vcc_lo
	s_wait_alu 0xf1ff
	v_cndmask_b32_e64 v8, 0, 1, s0
	v_lshlrev_b64_e32 v[4:5], 3, v[4:5]
	v_add_co_u32 v2, vcc_lo, v2, v6
	s_wait_alu 0xfffd
	v_add_co_ci_u32_e64 v3, null, 0, v3, vcc_lo
	v_lshlrev_b64_e32 v[6:7], 3, v[9:10]
	s_delay_alu instid0(VALU_DEP_3) | instskip(SKIP_1) | instid1(VALU_DEP_3)
	v_add_co_u32 v2, vcc_lo, s8, v2
	s_wait_alu 0xfffd
	v_add_co_ci_u32_e64 v3, null, s9, v3, vcc_lo
	v_cmp_ne_u32_e64 s0, 1, v8
	s_lshl_b64 s[16:17], s[38:39], 4
	s_lshl_b64 s[10:11], s[18:19], 3
	;; [unrolled: 1-line block ×4, first 2 shown]
	s_wait_alu 0xfffe
	s_lshl_b64 s[14:15], s[16:17], 3
	s_branch .LBB65_3
.LBB65_2:                               ;   in Loop: Header=BB65_3 Depth=1
	s_add_co_i32 s2, s2, 0x10000
	s_wait_alu 0xfffe
	s_cmp_lt_i32 s2, s28
	s_cbranch_scc0 .LBB65_11
.LBB65_3:                               ; =>This Loop Header: Depth=1
                                        ;     Child Loop BB65_5 Depth 2
	s_and_b32 vcc_lo, exec_lo, s0
	s_wait_alu 0xfffe
	s_cbranch_vccnz .LBB65_6
; %bb.4:                                ;   in Loop: Header=BB65_3 Depth=1
	v_mad_co_u64_u32 v[40:41], null, s10, s2, v[0:1]
	v_mad_co_u64_u32 v[42:43], null, s8, s2, v[2:3]
	v_mov_b32_e32 v16, 0
	v_mov_b32_e32 v24, 0
	;; [unrolled: 1-line block ×4, first 2 shown]
	v_dual_mov_b32 v22, v41 :: v_dual_mov_b32 v17, 0
	v_dual_mov_b32 v28, v43 :: v_dual_mov_b32 v25, 0
	;; [unrolled: 1-line block ×3, first 2 shown]
	s_delay_alu instid0(VALU_DEP_3) | instskip(NEXT) | instid1(VALU_DEP_3)
	v_mad_co_u64_u32 v[30:31], null, s11, s2, v[22:23]
	v_mad_co_u64_u32 v[50:51], null, s9, s2, v[28:29]
	v_dual_mov_b32 v13, 0 :: v_dual_mov_b32 v14, 0
	v_mov_b32_e32 v18, 0
	v_mov_b32_e32 v20, 0
	;; [unrolled: 1-line block ×3, first 2 shown]
	v_dual_mov_b32 v26, 0 :: v_dual_mov_b32 v41, v30
	v_mov_b32_e32 v28, 0
	v_mov_b32_e32 v30, 0
	;; [unrolled: 1-line block ×5, first 2 shown]
	v_dual_mov_b32 v38, 0 :: v_dual_mov_b32 v43, v50
	v_mov_b32_e32 v11, 0
	v_mov_b32_e32 v15, 0
	;; [unrolled: 1-line block ×12, first 2 shown]
	s_mov_b64 s[16:17], 0
.LBB65_5:                               ;   Parent Loop BB65_3 Depth=1
                                        ; =>  This Inner Loop Header: Depth=2
	global_load_b64 v[50:51], v[42:43], off
	global_load_b64 v[52:53], v[40:41], off
	s_wait_alu 0xfffe
	s_add_nc_u64 s[16:17], s[16:17], 4
	v_add_co_u32 v40, vcc_lo, v40, 32
	s_wait_alu 0xfffe
	v_cmp_lt_i64_e64 s18, s[16:17], s[4:5]
	s_wait_alu 0xfffd
	v_add_co_ci_u32_e64 v41, null, 0, v41, vcc_lo
	v_add_co_u32 v42, vcc_lo, v42, 32
	s_wait_alu 0xfffd
	v_add_co_ci_u32_e64 v43, null, 0, v43, vcc_lo
	s_and_b32 vcc_lo, exec_lo, s18
	s_wait_loadcnt 0x1
	ds_store_b64 v46, v[50:51]
	s_wait_loadcnt 0x0
	ds_store_b64 v47, v[52:53]
	s_wait_dscnt 0x0
	s_barrier_signal -1
	s_barrier_wait -1
	global_inv scope:SCOPE_SE
	ds_load_b128 v[50:53], v45
	ds_load_2addr_b64 v[54:57], v44 offset1:16
	ds_load_2addr_b64 v[58:61], v44 offset0:32 offset1:48
	ds_load_b128 v[62:65], v45 offset:512
	ds_load_b128 v[66:69], v45 offset:1024
	ds_load_b128 v[70:73], v45 offset:1536
	ds_load_b128 v[74:77], v45 offset:16
	ds_load_b128 v[78:81], v45 offset:528
	ds_load_b128 v[82:85], v45 offset:1040
	ds_load_b128 v[86:89], v45 offset:1552
	s_wait_dscnt 0x8
	v_fma_f64 v[38:39], v[54:55], v[50:51], v[38:39]
	v_fma_f64 v[36:37], v[56:57], v[50:51], v[36:37]
	s_wait_dscnt 0x7
	v_fma_f64 v[34:35], v[58:59], v[50:51], v[34:35]
	v_fma_f64 v[32:33], v[60:61], v[50:51], v[32:33]
	;; [unrolled: 3-line block ×3, first 2 shown]
	v_fma_f64 v[26:27], v[58:59], v[62:63], v[26:27]
	v_fma_f64 v[24:25], v[60:61], v[62:63], v[24:25]
	s_wait_dscnt 0x5
	v_fma_f64 v[22:23], v[54:55], v[66:67], v[22:23]
	v_fma_f64 v[20:21], v[56:57], v[66:67], v[20:21]
	;; [unrolled: 1-line block ×4, first 2 shown]
	s_wait_dscnt 0x4
	v_fma_f64 v[50:51], v[54:55], v[70:71], v[14:15]
	v_fma_f64 v[54:55], v[56:57], v[70:71], v[12:13]
	;; [unrolled: 1-line block ×4, first 2 shown]
	ds_load_2addr_b64 v[8:11], v44 offset0:64 offset1:80
	ds_load_2addr_b64 v[12:15], v44 offset0:96 offset1:112
	s_wait_dscnt 0x1
	v_fma_f64 v[38:39], v[8:9], v[52:53], v[38:39]
	v_fma_f64 v[36:37], v[10:11], v[52:53], v[36:37]
	s_wait_dscnt 0x0
	v_fma_f64 v[34:35], v[12:13], v[52:53], v[34:35]
	v_fma_f64 v[32:33], v[14:15], v[52:53], v[32:33]
	;; [unrolled: 1-line block ×14, first 2 shown]
	ds_load_2addr_b64 v[8:11], v44 offset0:128 offset1:144
	ds_load_2addr_b64 v[12:15], v44 offset0:160 offset1:176
	s_wait_dscnt 0x1
	v_fma_f64 v[38:39], v[8:9], v[74:75], v[38:39]
	v_fma_f64 v[36:37], v[10:11], v[74:75], v[36:37]
	s_wait_dscnt 0x0
	v_fma_f64 v[34:35], v[12:13], v[74:75], v[34:35]
	v_fma_f64 v[32:33], v[14:15], v[74:75], v[32:33]
	v_fma_f64 v[30:31], v[8:9], v[78:79], v[30:31]
	v_fma_f64 v[28:29], v[10:11], v[78:79], v[28:29]
	v_fma_f64 v[26:27], v[12:13], v[78:79], v[26:27]
	v_fma_f64 v[24:25], v[14:15], v[78:79], v[24:25]
	v_fma_f64 v[22:23], v[8:9], v[82:83], v[22:23]
	v_fma_f64 v[20:21], v[10:11], v[82:83], v[20:21]
	v_fma_f64 v[18:19], v[12:13], v[82:83], v[18:19]
	v_fma_f64 v[16:17], v[14:15], v[82:83], v[16:17]
	v_fma_f64 v[58:59], v[8:9], v[86:87], v[50:51]
	v_fma_f64 v[60:61], v[10:11], v[86:87], v[52:53]
	v_fma_f64 v[54:55], v[12:13], v[86:87], v[54:55]
	v_fma_f64 v[56:57], v[14:15], v[86:87], v[56:57]
	ds_load_2addr_b64 v[8:11], v44 offset0:192 offset1:208
	ds_load_2addr_b64 v[50:53], v44 offset0:224 offset1:240
	s_wait_loadcnt_dscnt 0x0
	s_barrier_signal -1
	s_barrier_wait -1
	global_inv scope:SCOPE_SE
	v_fma_f64 v[38:39], v[8:9], v[76:77], v[38:39]
	v_fma_f64 v[36:37], v[10:11], v[76:77], v[36:37]
	;; [unrolled: 1-line block ×16, first 2 shown]
	s_wait_alu 0xfffe
	s_cbranch_vccnz .LBB65_5
	s_branch .LBB65_7
.LBB65_6:                               ;   in Loop: Header=BB65_3 Depth=1
	v_mov_b32_e32 v38, 0
	v_mov_b32_e32 v34, 0
	;; [unrolled: 1-line block ×7, first 2 shown]
	v_dual_mov_b32 v10, 0 :: v_dual_mov_b32 v39, 0
	v_dual_mov_b32 v36, 0 :: v_dual_mov_b32 v35, 0
	;; [unrolled: 1-line block ×9, first 2 shown]
	v_mov_b32_e32 v33, 0
	v_mov_b32_e32 v29, 0
	;; [unrolled: 1-line block ×7, first 2 shown]
.LBB65_7:                               ;   in Loop: Header=BB65_3 Depth=1
	s_mul_u64 s[16:17], s[40:41], s[2:3]
	s_and_not1_b32 vcc_lo, exec_lo, s1
	s_wait_alu 0xfffe
	s_lshl_b64 s[16:17], s[16:17], 3
	s_wait_alu 0xfffe
	s_add_nc_u64 s[16:17], s[36:37], s[16:17]
	s_cbranch_vccnz .LBB65_9
; %bb.8:                                ;   in Loop: Header=BB65_3 Depth=1
	v_mul_f64_e32 v[40:41], s[6:7], v[38:39]
	v_mul_f64_e32 v[42:43], s[6:7], v[36:37]
	;; [unrolled: 1-line block ×16, first 2 shown]
	s_wait_alu 0xfffe
	v_add_co_u32 v78, vcc_lo, s16, v4
	s_wait_alu 0xfffd
	v_add_co_ci_u32_e64 v79, null, s17, v5, vcc_lo
	s_delay_alu instid0(VALU_DEP_2) | instskip(SKIP_1) | instid1(VALU_DEP_2)
	v_add_co_u32 v82, vcc_lo, v78, s14
	s_wait_alu 0xfffd
	v_add_co_ci_u32_e64 v83, null, s15, v79, vcc_lo
	v_add_co_u32 v78, vcc_lo, v78, v6
	s_wait_alu 0xfffd
	v_add_co_ci_u32_e64 v79, null, v79, v7, vcc_lo
	;; [unrolled: 3-line block ×3, first 2 shown]
	s_clause 0x3
	global_store_b64 v[78:79], v[40:41], off
	global_store_b64 v[78:79], v[42:43], off offset:128
	global_store_b64 v[78:79], v[50:51], off offset:256
	;; [unrolled: 1-line block ×3, first 2 shown]
	v_add_co_u32 v40, vcc_lo, v82, s14
	s_wait_alu 0xfffd
	v_add_co_ci_u32_e64 v41, null, s15, v83, vcc_lo
	s_clause 0x3
	global_store_b64 v[80:81], v[54:55], off
	global_store_b64 v[80:81], v[56:57], off offset:128
	global_store_b64 v[80:81], v[58:59], off offset:256
	global_store_b64 v[80:81], v[60:61], off offset:384
	v_add_co_u32 v42, vcc_lo, v40, s14
	s_wait_alu 0xfffd
	v_add_co_ci_u32_e64 v43, null, s15, v41, vcc_lo
	v_add_co_u32 v40, vcc_lo, v40, v6
	s_wait_alu 0xfffd
	v_add_co_ci_u32_e64 v41, null, v41, v7, vcc_lo
	;; [unrolled: 3-line block ×3, first 2 shown]
	s_clause 0x7
	global_store_b64 v[40:41], v[62:63], off
	global_store_b64 v[40:41], v[64:65], off offset:128
	global_store_b64 v[40:41], v[66:67], off offset:256
	;; [unrolled: 1-line block ×3, first 2 shown]
	global_store_b64 v[42:43], v[70:71], off
	global_store_b64 v[42:43], v[72:73], off offset:128
	global_store_b64 v[42:43], v[74:75], off offset:256
	;; [unrolled: 1-line block ×3, first 2 shown]
	s_cbranch_execnz .LBB65_2
	s_branch .LBB65_10
.LBB65_9:                               ;   in Loop: Header=BB65_3 Depth=1
.LBB65_10:                              ;   in Loop: Header=BB65_3 Depth=1
	s_mul_u64 s[18:19], s[26:27], s[2:3]
	s_wait_alu 0xfffe
	s_lshl_b64 s[18:19], s[18:19], 3
	s_wait_alu 0xfffe
	v_add_co_u32 v50, vcc_lo, v48, s18
	s_wait_alu 0xfffd
	v_add_co_ci_u32_e64 v51, null, s19, v49, vcc_lo
	s_delay_alu instid0(VALU_DEP_2) | instskip(SKIP_1) | instid1(VALU_DEP_2)
	v_add_co_u32 v40, vcc_lo, v50, v6
	s_wait_alu 0xfffd
	v_add_co_ci_u32_e64 v41, null, v51, v7, vcc_lo
	v_add_co_u32 v52, vcc_lo, s16, v4
	s_wait_alu 0xfffd
	v_add_co_ci_u32_e64 v53, null, s17, v5, vcc_lo
	global_load_b64 v[42:43], v[40:41], off
	s_wait_loadcnt 0x0
	v_mul_f64_e32 v[42:43], s[20:21], v[42:43]
	s_delay_alu instid0(VALU_DEP_1)
	v_fma_f64 v[38:39], s[6:7], v[38:39], v[42:43]
	v_add_co_u32 v42, vcc_lo, v52, v6
	s_wait_alu 0xfffd
	v_add_co_ci_u32_e64 v43, null, v53, v7, vcc_lo
	global_store_b64 v[42:43], v[38:39], off
	global_load_b64 v[38:39], v[40:41], off offset:128
	s_wait_loadcnt 0x0
	v_mul_f64_e32 v[38:39], s[20:21], v[38:39]
	s_delay_alu instid0(VALU_DEP_1) | instskip(SKIP_4) | instid1(VALU_DEP_1)
	v_fma_f64 v[36:37], s[6:7], v[36:37], v[38:39]
	global_store_b64 v[42:43], v[36:37], off offset:128
	global_load_b64 v[36:37], v[40:41], off offset:256
	s_wait_loadcnt 0x0
	v_mul_f64_e32 v[36:37], s[20:21], v[36:37]
	v_fma_f64 v[34:35], s[6:7], v[34:35], v[36:37]
	v_add_co_u32 v36, vcc_lo, v50, s12
	s_wait_alu 0xfffd
	v_add_co_ci_u32_e64 v37, null, s13, v51, vcc_lo
	global_store_b64 v[42:43], v[34:35], off offset:256
	global_load_b64 v[34:35], v[40:41], off offset:384
	s_wait_loadcnt 0x0
	v_mul_f64_e32 v[34:35], s[20:21], v[34:35]
	s_delay_alu instid0(VALU_DEP_1)
	v_fma_f64 v[32:33], s[6:7], v[32:33], v[34:35]
	v_add_co_u32 v34, vcc_lo, v36, v6
	s_wait_alu 0xfffd
	v_add_co_ci_u32_e64 v35, null, v37, v7, vcc_lo
	v_add_co_u32 v38, vcc_lo, v52, s14
	s_wait_alu 0xfffd
	v_add_co_ci_u32_e64 v39, null, s15, v53, vcc_lo
	global_store_b64 v[42:43], v[32:33], off offset:384
	global_load_b64 v[32:33], v[34:35], off
	s_wait_loadcnt 0x0
	v_mul_f64_e32 v[32:33], s[20:21], v[32:33]
	s_delay_alu instid0(VALU_DEP_1)
	v_fma_f64 v[30:31], s[6:7], v[30:31], v[32:33]
	v_add_co_u32 v32, vcc_lo, v38, v6
	s_wait_alu 0xfffd
	v_add_co_ci_u32_e64 v33, null, v39, v7, vcc_lo
	global_store_b64 v[32:33], v[30:31], off
	global_load_b64 v[30:31], v[34:35], off offset:128
	s_wait_loadcnt 0x0
	v_mul_f64_e32 v[30:31], s[20:21], v[30:31]
	s_delay_alu instid0(VALU_DEP_1) | instskip(SKIP_4) | instid1(VALU_DEP_1)
	v_fma_f64 v[28:29], s[6:7], v[28:29], v[30:31]
	global_store_b64 v[32:33], v[28:29], off offset:128
	global_load_b64 v[28:29], v[34:35], off offset:256
	s_wait_loadcnt 0x0
	v_mul_f64_e32 v[28:29], s[20:21], v[28:29]
	v_fma_f64 v[26:27], s[6:7], v[26:27], v[28:29]
	v_add_co_u32 v28, vcc_lo, v36, s12
	s_wait_alu 0xfffd
	v_add_co_ci_u32_e64 v29, null, s13, v37, vcc_lo
	global_store_b64 v[32:33], v[26:27], off offset:256
	global_load_b64 v[26:27], v[34:35], off offset:384
	s_wait_loadcnt 0x0
	v_mul_f64_e32 v[26:27], s[20:21], v[26:27]
	s_delay_alu instid0(VALU_DEP_1)
	v_fma_f64 v[24:25], s[6:7], v[24:25], v[26:27]
	v_add_co_u32 v26, vcc_lo, v28, v6
	s_wait_alu 0xfffd
	v_add_co_ci_u32_e64 v27, null, v29, v7, vcc_lo
	v_add_co_u32 v30, vcc_lo, v38, s14
	s_wait_alu 0xfffd
	v_add_co_ci_u32_e64 v31, null, s15, v39, vcc_lo
	global_store_b64 v[32:33], v[24:25], off offset:384
	global_load_b64 v[24:25], v[26:27], off
	s_wait_loadcnt 0x0
	v_mul_f64_e32 v[24:25], s[20:21], v[24:25]
	s_delay_alu instid0(VALU_DEP_1)
	v_fma_f64 v[22:23], s[6:7], v[22:23], v[24:25]
	v_add_co_u32 v24, vcc_lo, v30, v6
	s_wait_alu 0xfffd
	v_add_co_ci_u32_e64 v25, null, v31, v7, vcc_lo
	global_store_b64 v[24:25], v[22:23], off
	global_load_b64 v[22:23], v[26:27], off offset:128
	s_wait_loadcnt 0x0
	v_mul_f64_e32 v[22:23], s[20:21], v[22:23]
	s_delay_alu instid0(VALU_DEP_1) | instskip(SKIP_4) | instid1(VALU_DEP_1)
	v_fma_f64 v[20:21], s[6:7], v[20:21], v[22:23]
	global_store_b64 v[24:25], v[20:21], off offset:128
	global_load_b64 v[20:21], v[26:27], off offset:256
	s_wait_loadcnt 0x0
	v_mul_f64_e32 v[20:21], s[20:21], v[20:21]
	v_fma_f64 v[18:19], s[6:7], v[18:19], v[20:21]
	global_store_b64 v[24:25], v[18:19], off offset:256
	global_load_b64 v[18:19], v[26:27], off offset:384
	s_wait_loadcnt 0x0
	v_mul_f64_e32 v[18:19], s[20:21], v[18:19]
	s_delay_alu instid0(VALU_DEP_1) | instskip(SKIP_3) | instid1(VALU_DEP_2)
	v_fma_f64 v[16:17], s[6:7], v[16:17], v[18:19]
	v_add_co_u32 v18, vcc_lo, v28, s12
	s_wait_alu 0xfffd
	v_add_co_ci_u32_e64 v19, null, s13, v29, vcc_lo
	v_add_co_u32 v18, vcc_lo, v18, v6
	s_wait_alu 0xfffd
	s_delay_alu instid0(VALU_DEP_2) | instskip(SKIP_4) | instid1(VALU_DEP_1)
	v_add_co_ci_u32_e64 v19, null, v19, v7, vcc_lo
	global_store_b64 v[24:25], v[16:17], off offset:384
	global_load_b64 v[16:17], v[18:19], off
	s_wait_loadcnt 0x0
	v_mul_f64_e32 v[16:17], s[20:21], v[16:17]
	v_fma_f64 v[14:15], s[6:7], v[14:15], v[16:17]
	v_add_co_u32 v16, vcc_lo, v30, s14
	s_wait_alu 0xfffd
	v_add_co_ci_u32_e64 v17, null, s15, v31, vcc_lo
	s_delay_alu instid0(VALU_DEP_2) | instskip(SKIP_1) | instid1(VALU_DEP_2)
	v_add_co_u32 v16, vcc_lo, v16, v6
	s_wait_alu 0xfffd
	v_add_co_ci_u32_e64 v17, null, v17, v7, vcc_lo
	global_store_b64 v[16:17], v[14:15], off
	global_load_b64 v[14:15], v[18:19], off offset:128
	s_wait_loadcnt 0x0
	v_mul_f64_e32 v[14:15], s[20:21], v[14:15]
	s_delay_alu instid0(VALU_DEP_1) | instskip(SKIP_4) | instid1(VALU_DEP_1)
	v_fma_f64 v[12:13], s[6:7], v[12:13], v[14:15]
	global_store_b64 v[16:17], v[12:13], off offset:128
	global_load_b64 v[12:13], v[18:19], off offset:256
	s_wait_loadcnt 0x0
	v_mul_f64_e32 v[12:13], s[20:21], v[12:13]
	v_fma_f64 v[10:11], s[6:7], v[10:11], v[12:13]
	global_store_b64 v[16:17], v[10:11], off offset:256
	global_load_b64 v[10:11], v[18:19], off offset:384
	s_wait_loadcnt 0x0
	v_mul_f64_e32 v[10:11], s[20:21], v[10:11]
	s_delay_alu instid0(VALU_DEP_1)
	v_fma_f64 v[8:9], s[6:7], v[8:9], v[10:11]
	global_store_b64 v[16:17], v[8:9], off offset:384
	s_branch .LBB65_2
.LBB65_11:
	s_endpgm
	.section	.rodata,"a",@progbits
	.p2align	6, 0x0
	.amdhsa_kernel _ZN12_GLOBAL__N_127rocblas_gemm_batched_kernelIdLi16ELi16ELi64ELi64ELi4ELi64ELi4ELi4ELi64ELc67ELc78EKdS1_dEEvlllT_PT11_llS4_llS2_PT12_llPT13_lli
		.amdhsa_group_segment_fixed_size 4096
		.amdhsa_private_segment_fixed_size 0
		.amdhsa_kernarg_size 140
		.amdhsa_user_sgpr_count 2
		.amdhsa_user_sgpr_dispatch_ptr 0
		.amdhsa_user_sgpr_queue_ptr 0
		.amdhsa_user_sgpr_kernarg_segment_ptr 1
		.amdhsa_user_sgpr_dispatch_id 0
		.amdhsa_user_sgpr_private_segment_size 0
		.amdhsa_wavefront_size32 1
		.amdhsa_uses_dynamic_stack 0
		.amdhsa_enable_private_segment 0
		.amdhsa_system_sgpr_workgroup_id_x 1
		.amdhsa_system_sgpr_workgroup_id_y 1
		.amdhsa_system_sgpr_workgroup_id_z 1
		.amdhsa_system_sgpr_workgroup_info 0
		.amdhsa_system_vgpr_workitem_id 1
		.amdhsa_next_free_vgpr 90
		.amdhsa_next_free_sgpr 44
		.amdhsa_reserve_vcc 1
		.amdhsa_float_round_mode_32 0
		.amdhsa_float_round_mode_16_64 0
		.amdhsa_float_denorm_mode_32 3
		.amdhsa_float_denorm_mode_16_64 3
		.amdhsa_fp16_overflow 0
		.amdhsa_workgroup_processor_mode 1
		.amdhsa_memory_ordered 1
		.amdhsa_forward_progress 1
		.amdhsa_inst_pref_size 26
		.amdhsa_round_robin_scheduling 0
		.amdhsa_exception_fp_ieee_invalid_op 0
		.amdhsa_exception_fp_denorm_src 0
		.amdhsa_exception_fp_ieee_div_zero 0
		.amdhsa_exception_fp_ieee_overflow 0
		.amdhsa_exception_fp_ieee_underflow 0
		.amdhsa_exception_fp_ieee_inexact 0
		.amdhsa_exception_int_div_zero 0
	.end_amdhsa_kernel
	.section	.text._ZN12_GLOBAL__N_127rocblas_gemm_batched_kernelIdLi16ELi16ELi64ELi64ELi4ELi64ELi4ELi4ELi64ELc67ELc78EKdS1_dEEvlllT_PT11_llS4_llS2_PT12_llPT13_lli,"axG",@progbits,_ZN12_GLOBAL__N_127rocblas_gemm_batched_kernelIdLi16ELi16ELi64ELi64ELi4ELi64ELi4ELi4ELi64ELc67ELc78EKdS1_dEEvlllT_PT11_llS4_llS2_PT12_llPT13_lli,comdat
.Lfunc_end65:
	.size	_ZN12_GLOBAL__N_127rocblas_gemm_batched_kernelIdLi16ELi16ELi64ELi64ELi4ELi64ELi4ELi4ELi64ELc67ELc78EKdS1_dEEvlllT_PT11_llS4_llS2_PT12_llPT13_lli, .Lfunc_end65-_ZN12_GLOBAL__N_127rocblas_gemm_batched_kernelIdLi16ELi16ELi64ELi64ELi4ELi64ELi4ELi4ELi64ELc67ELc78EKdS1_dEEvlllT_PT11_llS4_llS2_PT12_llPT13_lli
                                        ; -- End function
	.set _ZN12_GLOBAL__N_127rocblas_gemm_batched_kernelIdLi16ELi16ELi64ELi64ELi4ELi64ELi4ELi4ELi64ELc67ELc78EKdS1_dEEvlllT_PT11_llS4_llS2_PT12_llPT13_lli.num_vgpr, 90
	.set _ZN12_GLOBAL__N_127rocblas_gemm_batched_kernelIdLi16ELi16ELi64ELi64ELi4ELi64ELi4ELi4ELi64ELc67ELc78EKdS1_dEEvlllT_PT11_llS4_llS2_PT12_llPT13_lli.num_agpr, 0
	.set _ZN12_GLOBAL__N_127rocblas_gemm_batched_kernelIdLi16ELi16ELi64ELi64ELi4ELi64ELi4ELi4ELi64ELc67ELc78EKdS1_dEEvlllT_PT11_llS4_llS2_PT12_llPT13_lli.numbered_sgpr, 44
	.set _ZN12_GLOBAL__N_127rocblas_gemm_batched_kernelIdLi16ELi16ELi64ELi64ELi4ELi64ELi4ELi4ELi64ELc67ELc78EKdS1_dEEvlllT_PT11_llS4_llS2_PT12_llPT13_lli.num_named_barrier, 0
	.set _ZN12_GLOBAL__N_127rocblas_gemm_batched_kernelIdLi16ELi16ELi64ELi64ELi4ELi64ELi4ELi4ELi64ELc67ELc78EKdS1_dEEvlllT_PT11_llS4_llS2_PT12_llPT13_lli.private_seg_size, 0
	.set _ZN12_GLOBAL__N_127rocblas_gemm_batched_kernelIdLi16ELi16ELi64ELi64ELi4ELi64ELi4ELi4ELi64ELc67ELc78EKdS1_dEEvlllT_PT11_llS4_llS2_PT12_llPT13_lli.uses_vcc, 1
	.set _ZN12_GLOBAL__N_127rocblas_gemm_batched_kernelIdLi16ELi16ELi64ELi64ELi4ELi64ELi4ELi4ELi64ELc67ELc78EKdS1_dEEvlllT_PT11_llS4_llS2_PT12_llPT13_lli.uses_flat_scratch, 0
	.set _ZN12_GLOBAL__N_127rocblas_gemm_batched_kernelIdLi16ELi16ELi64ELi64ELi4ELi64ELi4ELi4ELi64ELc67ELc78EKdS1_dEEvlllT_PT11_llS4_llS2_PT12_llPT13_lli.has_dyn_sized_stack, 0
	.set _ZN12_GLOBAL__N_127rocblas_gemm_batched_kernelIdLi16ELi16ELi64ELi64ELi4ELi64ELi4ELi4ELi64ELc67ELc78EKdS1_dEEvlllT_PT11_llS4_llS2_PT12_llPT13_lli.has_recursion, 0
	.set _ZN12_GLOBAL__N_127rocblas_gemm_batched_kernelIdLi16ELi16ELi64ELi64ELi4ELi64ELi4ELi4ELi64ELc67ELc78EKdS1_dEEvlllT_PT11_llS4_llS2_PT12_llPT13_lli.has_indirect_call, 0
	.section	.AMDGPU.csdata,"",@progbits
; Kernel info:
; codeLenInByte = 3212
; TotalNumSgprs: 46
; NumVgprs: 90
; ScratchSize: 0
; MemoryBound: 0
; FloatMode: 240
; IeeeMode: 1
; LDSByteSize: 4096 bytes/workgroup (compile time only)
; SGPRBlocks: 0
; VGPRBlocks: 11
; NumSGPRsForWavesPerEU: 46
; NumVGPRsForWavesPerEU: 90
; Occupancy: 16
; WaveLimiterHint : 1
; COMPUTE_PGM_RSRC2:SCRATCH_EN: 0
; COMPUTE_PGM_RSRC2:USER_SGPR: 2
; COMPUTE_PGM_RSRC2:TRAP_HANDLER: 0
; COMPUTE_PGM_RSRC2:TGID_X_EN: 1
; COMPUTE_PGM_RSRC2:TGID_Y_EN: 1
; COMPUTE_PGM_RSRC2:TGID_Z_EN: 1
; COMPUTE_PGM_RSRC2:TIDIG_COMP_CNT: 1
	.section	.text._ZN12_GLOBAL__N_127rocblas_gemm_batched_kernelIdLi16ELi16ELi64ELi64ELi4ELi64ELi4ELi4ELi64ELc67ELc84EKdS1_dEEvlllT_PT11_llS4_llS2_PT12_llPT13_lli,"axG",@progbits,_ZN12_GLOBAL__N_127rocblas_gemm_batched_kernelIdLi16ELi16ELi64ELi64ELi4ELi64ELi4ELi4ELi64ELc67ELc84EKdS1_dEEvlllT_PT11_llS4_llS2_PT12_llPT13_lli,comdat
	.globl	_ZN12_GLOBAL__N_127rocblas_gemm_batched_kernelIdLi16ELi16ELi64ELi64ELi4ELi64ELi4ELi4ELi64ELc67ELc84EKdS1_dEEvlllT_PT11_llS4_llS2_PT12_llPT13_lli ; -- Begin function _ZN12_GLOBAL__N_127rocblas_gemm_batched_kernelIdLi16ELi16ELi64ELi64ELi4ELi64ELi4ELi4ELi64ELc67ELc84EKdS1_dEEvlllT_PT11_llS4_llS2_PT12_llPT13_lli
	.p2align	8
	.type	_ZN12_GLOBAL__N_127rocblas_gemm_batched_kernelIdLi16ELi16ELi64ELi64ELi4ELi64ELi4ELi4ELi64ELc67ELc84EKdS1_dEEvlllT_PT11_llS4_llS2_PT12_llPT13_lli,@function
_ZN12_GLOBAL__N_127rocblas_gemm_batched_kernelIdLi16ELi16ELi64ELi64ELi4ELi64ELi4ELi4ELi64ELc67ELc84EKdS1_dEEvlllT_PT11_llS4_llS2_PT12_llPT13_lli: ; @_ZN12_GLOBAL__N_127rocblas_gemm_batched_kernelIdLi16ELi16ELi64ELi64ELi4ELi64ELi4ELi4ELi64ELc67ELc84EKdS1_dEEvlllT_PT11_llS4_llS2_PT12_llPT13_lli
; %bb.0:
	s_load_b32 s28, s[0:1], 0x88
	s_lshr_b32 s2, ttmp7, 16
	s_wait_kmcnt 0x0
	s_cmp_ge_i32 s2, s28
	s_cbranch_scc1 .LBB66_11
; %bb.1:
	s_clause 0x2
	s_load_b256 s[20:27], s[0:1], 0x70
	s_load_b512 s[4:19], s[0:1], 0x10
	s_load_b256 s[36:43], s[0:1], 0x50
	v_dual_mov_b32 v1, 0 :: v_dual_and_b32 v8, 0x3ff, v0
	v_bfe_u32 v6, v0, 10, 10
	v_and_b32_e32 v9, 3, v0
	s_lshl_b32 s0, ttmp7, 6
	s_mov_b32 s30, ttmp9
	s_and_b32 s0, s0, 0x3fffc0
	v_lshl_add_u32 v2, v6, 4, v8
	v_add_nc_u32_e32 v7, s0, v6
	v_lshlrev_b32_e32 v3, 3, v9
	v_lshl_add_u32 v47, v6, 5, 0x800
	s_ashr_i32 s31, ttmp9, 31
	v_lshrrev_b32_e32 v0, 2, v2
	v_and_b32_e32 v10, 63, v2
	v_lshrrev_b32_e32 v12, 6, v2
	s_wait_kmcnt 0x0
	s_lshl_b64 s[26:27], s[30:31], 6
	v_lshlrev_b32_e32 v44, 3, v8
	v_mad_co_u64_u32 v[4:5], null, v7, s22, 0
	v_lshl_or_b32 v13, v0, 5, v3
	v_mad_co_u64_u32 v[2:3], null, v7, s40, 0
	v_mad_co_u64_u32 v[0:1], null, s16, v9, v[0:1]
	v_cmp_eq_f64_e64 s1, s[36:37], 0
	v_mad_co_u64_u32 v[5:6], null, v7, s23, v[5:6]
	v_add_nc_u32_e32 v46, 0x800, v13
	v_mad_co_u64_u32 v[6:7], null, v7, s41, v[3:4]
	v_add_co_u32 v0, vcc_lo, v0, s0
	s_mul_i32 s0, s10, s27
	v_add_co_u32 v7, s29, s26, v8
	s_delay_alu instid0(VALU_DEP_1)
	v_add_co_ci_u32_e64 v8, null, s27, 0, s29
	v_mov_b32_e32 v3, v6
	v_lshlrev_b32_e32 v11, 3, v10
	v_lshlrev_b64_e32 v[4:5], 3, v[4:5]
	s_lshl_b64 s[22:23], s[22:23], 4
	s_lshl_b64 s[30:31], s[40:41], 4
	s_mov_b32 s3, 0
	v_lshl_or_b32 v45, v12, 9, v11
	v_or_b32_e32 v11, s26, v10
	v_mad_co_u64_u32 v[9:10], null, s17, v9, v[1:2]
	v_lshlrev_b64_e32 v[2:3], 3, v[2:3]
	s_delay_alu instid0(VALU_DEP_3)
	v_mul_lo_u32 v6, s11, v11
	v_mad_co_u64_u32 v[10:11], null, s10, v11, 0
	s_lshl_b64 s[10:11], s[18:19], 3
	v_add_co_ci_u32_e64 v1, null, 0, v9, vcc_lo
	v_add_co_u32 v48, vcc_lo, s38, v2
	s_wait_alu 0xfffd
	v_add_co_ci_u32_e64 v49, null, s39, v3, vcc_lo
	s_wait_alu 0xfffe
	v_add3_u32 v11, v11, s0, v6
	v_lshlrev_b64_e32 v[0:1], 3, v[0:1]
	v_lshlrev_b32_e32 v6, 3, v12
	v_cmp_gt_i64_e64 s0, s[4:5], 0
	s_delay_alu instid0(VALU_DEP_4) | instskip(NEXT) | instid1(VALU_DEP_4)
	v_lshlrev_b64_e32 v[2:3], 3, v[10:11]
	v_add_co_u32 v0, vcc_lo, s14, v0
	s_wait_alu 0xfffd
	v_add_co_ci_u32_e64 v1, null, s15, v1, vcc_lo
	s_delay_alu instid0(VALU_DEP_3)
	v_add_co_u32 v2, vcc_lo, v2, v6
	s_wait_alu 0xfffd
	v_add_co_ci_u32_e64 v3, null, 0, v3, vcc_lo
	s_wait_alu 0xf1ff
	v_cndmask_b32_e64 v9, 0, 1, s0
	v_add_co_u32 v2, vcc_lo, s8, v2
	v_lshlrev_b64_e32 v[6:7], 3, v[7:8]
	s_wait_alu 0xfffd
	v_add_co_ci_u32_e64 v3, null, s9, v3, vcc_lo
	v_cmp_ne_u32_e64 s0, 1, v9
	s_lshl_b64 s[14:15], s[16:17], 5
	s_lshl_b64 s[8:9], s[12:13], 3
	;; [unrolled: 1-line block ×4, first 2 shown]
	s_branch .LBB66_3
.LBB66_2:                               ;   in Loop: Header=BB66_3 Depth=1
	s_add_co_i32 s2, s2, 0x10000
	s_wait_alu 0xfffe
	s_cmp_lt_i32 s2, s28
	s_cbranch_scc0 .LBB66_11
.LBB66_3:                               ; =>This Loop Header: Depth=1
                                        ;     Child Loop BB66_5 Depth 2
	s_and_b32 vcc_lo, exec_lo, s0
	s_wait_alu 0xfffe
	s_cbranch_vccnz .LBB66_6
; %bb.4:                                ;   in Loop: Header=BB66_3 Depth=1
	v_mad_co_u64_u32 v[40:41], null, s10, s2, v[0:1]
	v_mad_co_u64_u32 v[42:43], null, s8, s2, v[2:3]
	v_mov_b32_e32 v16, 0
	v_mov_b32_e32 v24, 0
	;; [unrolled: 1-line block ×4, first 2 shown]
	v_dual_mov_b32 v22, v41 :: v_dual_mov_b32 v17, 0
	v_dual_mov_b32 v28, v43 :: v_dual_mov_b32 v25, 0
	;; [unrolled: 1-line block ×3, first 2 shown]
	s_delay_alu instid0(VALU_DEP_3) | instskip(NEXT) | instid1(VALU_DEP_3)
	v_mad_co_u64_u32 v[30:31], null, s11, s2, v[22:23]
	v_mad_co_u64_u32 v[50:51], null, s9, s2, v[28:29]
	v_dual_mov_b32 v13, 0 :: v_dual_mov_b32 v14, 0
	v_mov_b32_e32 v18, 0
	v_mov_b32_e32 v20, 0
	;; [unrolled: 1-line block ×3, first 2 shown]
	v_dual_mov_b32 v26, 0 :: v_dual_mov_b32 v41, v30
	v_mov_b32_e32 v28, 0
	v_mov_b32_e32 v30, 0
	;; [unrolled: 1-line block ×5, first 2 shown]
	v_dual_mov_b32 v38, 0 :: v_dual_mov_b32 v43, v50
	v_mov_b32_e32 v11, 0
	v_mov_b32_e32 v15, 0
	;; [unrolled: 1-line block ×12, first 2 shown]
	s_mov_b64 s[18:19], 0
.LBB66_5:                               ;   Parent Loop BB66_3 Depth=1
                                        ; =>  This Inner Loop Header: Depth=2
	global_load_b64 v[50:51], v[42:43], off
	global_load_b64 v[52:53], v[40:41], off
	s_wait_alu 0xfffe
	s_add_nc_u64 s[18:19], s[18:19], 4
	v_add_co_u32 v40, vcc_lo, v40, s14
	s_wait_alu 0xfffe
	v_cmp_lt_i64_e64 s22, s[18:19], s[4:5]
	s_wait_alu 0xfffd
	v_add_co_ci_u32_e64 v41, null, s15, v41, vcc_lo
	v_add_co_u32 v42, vcc_lo, v42, 32
	s_wait_alu 0xfffd
	v_add_co_ci_u32_e64 v43, null, 0, v43, vcc_lo
	s_and_b32 vcc_lo, exec_lo, s22
	s_wait_loadcnt 0x1
	ds_store_b64 v45, v[50:51]
	s_wait_loadcnt 0x0
	ds_store_b64 v46, v[52:53]
	s_wait_dscnt 0x0
	s_barrier_signal -1
	s_barrier_wait -1
	global_inv scope:SCOPE_SE
	ds_load_b128 v[50:53], v47
	ds_load_2addr_b64 v[54:57], v44 offset1:16
	ds_load_2addr_b64 v[58:61], v44 offset0:32 offset1:48
	ds_load_b128 v[62:65], v47 offset:512
	ds_load_b128 v[66:69], v47 offset:1024
	;; [unrolled: 1-line block ×7, first 2 shown]
	s_wait_dscnt 0x8
	v_fma_f64 v[38:39], v[54:55], v[50:51], v[38:39]
	v_fma_f64 v[36:37], v[56:57], v[50:51], v[36:37]
	s_wait_dscnt 0x7
	v_fma_f64 v[34:35], v[58:59], v[50:51], v[34:35]
	v_fma_f64 v[32:33], v[60:61], v[50:51], v[32:33]
	;; [unrolled: 3-line block ×3, first 2 shown]
	v_fma_f64 v[26:27], v[58:59], v[62:63], v[26:27]
	v_fma_f64 v[24:25], v[60:61], v[62:63], v[24:25]
	s_wait_dscnt 0x5
	v_fma_f64 v[22:23], v[54:55], v[66:67], v[22:23]
	v_fma_f64 v[20:21], v[56:57], v[66:67], v[20:21]
	;; [unrolled: 1-line block ×4, first 2 shown]
	s_wait_dscnt 0x4
	v_fma_f64 v[50:51], v[54:55], v[70:71], v[14:15]
	v_fma_f64 v[54:55], v[56:57], v[70:71], v[12:13]
	;; [unrolled: 1-line block ×4, first 2 shown]
	ds_load_2addr_b64 v[8:11], v44 offset0:64 offset1:80
	ds_load_2addr_b64 v[12:15], v44 offset0:96 offset1:112
	s_wait_dscnt 0x1
	v_fma_f64 v[38:39], v[8:9], v[52:53], v[38:39]
	v_fma_f64 v[36:37], v[10:11], v[52:53], v[36:37]
	s_wait_dscnt 0x0
	v_fma_f64 v[34:35], v[12:13], v[52:53], v[34:35]
	v_fma_f64 v[32:33], v[14:15], v[52:53], v[32:33]
	;; [unrolled: 1-line block ×14, first 2 shown]
	ds_load_2addr_b64 v[8:11], v44 offset0:128 offset1:144
	ds_load_2addr_b64 v[12:15], v44 offset0:160 offset1:176
	s_wait_dscnt 0x1
	v_fma_f64 v[38:39], v[8:9], v[74:75], v[38:39]
	v_fma_f64 v[36:37], v[10:11], v[74:75], v[36:37]
	s_wait_dscnt 0x0
	v_fma_f64 v[34:35], v[12:13], v[74:75], v[34:35]
	v_fma_f64 v[32:33], v[14:15], v[74:75], v[32:33]
	;; [unrolled: 1-line block ×14, first 2 shown]
	ds_load_2addr_b64 v[8:11], v44 offset0:192 offset1:208
	ds_load_2addr_b64 v[50:53], v44 offset0:224 offset1:240
	s_wait_loadcnt_dscnt 0x0
	s_barrier_signal -1
	s_barrier_wait -1
	global_inv scope:SCOPE_SE
	v_fma_f64 v[38:39], v[8:9], v[76:77], v[38:39]
	v_fma_f64 v[36:37], v[10:11], v[76:77], v[36:37]
	;; [unrolled: 1-line block ×16, first 2 shown]
	s_wait_alu 0xfffe
	s_cbranch_vccnz .LBB66_5
	s_branch .LBB66_7
.LBB66_6:                               ;   in Loop: Header=BB66_3 Depth=1
	v_mov_b32_e32 v38, 0
	v_mov_b32_e32 v34, 0
	;; [unrolled: 1-line block ×7, first 2 shown]
	v_dual_mov_b32 v10, 0 :: v_dual_mov_b32 v39, 0
	v_dual_mov_b32 v36, 0 :: v_dual_mov_b32 v35, 0
	;; [unrolled: 1-line block ×9, first 2 shown]
	v_mov_b32_e32 v33, 0
	v_mov_b32_e32 v29, 0
	;; [unrolled: 1-line block ×7, first 2 shown]
.LBB66_7:                               ;   in Loop: Header=BB66_3 Depth=1
	s_mul_u64 s[18:19], s[24:25], s[2:3]
	s_and_not1_b32 vcc_lo, exec_lo, s1
	s_wait_alu 0xfffe
	s_lshl_b64 s[18:19], s[18:19], 3
	s_wait_alu 0xfffe
	s_add_nc_u64 s[18:19], s[20:21], s[18:19]
	s_cbranch_vccnz .LBB66_9
; %bb.8:                                ;   in Loop: Header=BB66_3 Depth=1
	v_mul_f64_e32 v[40:41], s[6:7], v[38:39]
	v_mul_f64_e32 v[42:43], s[6:7], v[36:37]
	;; [unrolled: 1-line block ×16, first 2 shown]
	s_wait_alu 0xfffe
	v_add_co_u32 v78, vcc_lo, s18, v4
	s_wait_alu 0xfffd
	v_add_co_ci_u32_e64 v79, null, s19, v5, vcc_lo
	s_delay_alu instid0(VALU_DEP_2) | instskip(SKIP_1) | instid1(VALU_DEP_2)
	v_add_co_u32 v82, vcc_lo, v78, s16
	s_wait_alu 0xfffd
	v_add_co_ci_u32_e64 v83, null, s17, v79, vcc_lo
	v_add_co_u32 v78, vcc_lo, v78, v6
	s_wait_alu 0xfffd
	v_add_co_ci_u32_e64 v79, null, v79, v7, vcc_lo
	;; [unrolled: 3-line block ×3, first 2 shown]
	s_clause 0x3
	global_store_b64 v[78:79], v[40:41], off
	global_store_b64 v[78:79], v[42:43], off offset:128
	global_store_b64 v[78:79], v[50:51], off offset:256
	;; [unrolled: 1-line block ×3, first 2 shown]
	v_add_co_u32 v40, vcc_lo, v82, s16
	s_wait_alu 0xfffd
	v_add_co_ci_u32_e64 v41, null, s17, v83, vcc_lo
	s_clause 0x3
	global_store_b64 v[80:81], v[54:55], off
	global_store_b64 v[80:81], v[56:57], off offset:128
	global_store_b64 v[80:81], v[58:59], off offset:256
	;; [unrolled: 1-line block ×3, first 2 shown]
	v_add_co_u32 v42, vcc_lo, v40, s16
	s_wait_alu 0xfffd
	v_add_co_ci_u32_e64 v43, null, s17, v41, vcc_lo
	v_add_co_u32 v40, vcc_lo, v40, v6
	s_wait_alu 0xfffd
	v_add_co_ci_u32_e64 v41, null, v41, v7, vcc_lo
	;; [unrolled: 3-line block ×3, first 2 shown]
	s_clause 0x7
	global_store_b64 v[40:41], v[62:63], off
	global_store_b64 v[40:41], v[64:65], off offset:128
	global_store_b64 v[40:41], v[66:67], off offset:256
	;; [unrolled: 1-line block ×3, first 2 shown]
	global_store_b64 v[42:43], v[70:71], off
	global_store_b64 v[42:43], v[72:73], off offset:128
	global_store_b64 v[42:43], v[74:75], off offset:256
	;; [unrolled: 1-line block ×3, first 2 shown]
	s_cbranch_execnz .LBB66_2
	s_branch .LBB66_10
.LBB66_9:                               ;   in Loop: Header=BB66_3 Depth=1
.LBB66_10:                              ;   in Loop: Header=BB66_3 Depth=1
	s_mul_u64 s[22:23], s[42:43], s[2:3]
	s_wait_alu 0xfffe
	s_lshl_b64 s[22:23], s[22:23], 3
	s_wait_alu 0xfffe
	v_add_co_u32 v50, vcc_lo, v48, s22
	s_wait_alu 0xfffd
	v_add_co_ci_u32_e64 v51, null, s23, v49, vcc_lo
	s_delay_alu instid0(VALU_DEP_2) | instskip(SKIP_1) | instid1(VALU_DEP_2)
	v_add_co_u32 v40, vcc_lo, v50, v6
	s_wait_alu 0xfffd
	v_add_co_ci_u32_e64 v41, null, v51, v7, vcc_lo
	v_add_co_u32 v52, vcc_lo, s18, v4
	s_wait_alu 0xfffd
	v_add_co_ci_u32_e64 v53, null, s19, v5, vcc_lo
	global_load_b64 v[42:43], v[40:41], off
	s_wait_loadcnt 0x0
	v_mul_f64_e32 v[42:43], s[36:37], v[42:43]
	s_delay_alu instid0(VALU_DEP_1)
	v_fma_f64 v[38:39], s[6:7], v[38:39], v[42:43]
	v_add_co_u32 v42, vcc_lo, v52, v6
	s_wait_alu 0xfffd
	v_add_co_ci_u32_e64 v43, null, v53, v7, vcc_lo
	global_store_b64 v[42:43], v[38:39], off
	global_load_b64 v[38:39], v[40:41], off offset:128
	s_wait_loadcnt 0x0
	v_mul_f64_e32 v[38:39], s[36:37], v[38:39]
	s_delay_alu instid0(VALU_DEP_1) | instskip(SKIP_4) | instid1(VALU_DEP_1)
	v_fma_f64 v[36:37], s[6:7], v[36:37], v[38:39]
	global_store_b64 v[42:43], v[36:37], off offset:128
	global_load_b64 v[36:37], v[40:41], off offset:256
	s_wait_loadcnt 0x0
	v_mul_f64_e32 v[36:37], s[36:37], v[36:37]
	v_fma_f64 v[34:35], s[6:7], v[34:35], v[36:37]
	v_add_co_u32 v36, vcc_lo, v50, s12
	s_wait_alu 0xfffd
	v_add_co_ci_u32_e64 v37, null, s13, v51, vcc_lo
	global_store_b64 v[42:43], v[34:35], off offset:256
	global_load_b64 v[34:35], v[40:41], off offset:384
	s_wait_loadcnt 0x0
	v_mul_f64_e32 v[34:35], s[36:37], v[34:35]
	s_delay_alu instid0(VALU_DEP_1)
	v_fma_f64 v[32:33], s[6:7], v[32:33], v[34:35]
	v_add_co_u32 v34, vcc_lo, v36, v6
	s_wait_alu 0xfffd
	v_add_co_ci_u32_e64 v35, null, v37, v7, vcc_lo
	v_add_co_u32 v38, vcc_lo, v52, s16
	s_wait_alu 0xfffd
	v_add_co_ci_u32_e64 v39, null, s17, v53, vcc_lo
	global_store_b64 v[42:43], v[32:33], off offset:384
	global_load_b64 v[32:33], v[34:35], off
	s_wait_loadcnt 0x0
	v_mul_f64_e32 v[32:33], s[36:37], v[32:33]
	s_delay_alu instid0(VALU_DEP_1)
	v_fma_f64 v[30:31], s[6:7], v[30:31], v[32:33]
	v_add_co_u32 v32, vcc_lo, v38, v6
	s_wait_alu 0xfffd
	v_add_co_ci_u32_e64 v33, null, v39, v7, vcc_lo
	global_store_b64 v[32:33], v[30:31], off
	global_load_b64 v[30:31], v[34:35], off offset:128
	s_wait_loadcnt 0x0
	v_mul_f64_e32 v[30:31], s[36:37], v[30:31]
	s_delay_alu instid0(VALU_DEP_1) | instskip(SKIP_4) | instid1(VALU_DEP_1)
	v_fma_f64 v[28:29], s[6:7], v[28:29], v[30:31]
	global_store_b64 v[32:33], v[28:29], off offset:128
	global_load_b64 v[28:29], v[34:35], off offset:256
	s_wait_loadcnt 0x0
	v_mul_f64_e32 v[28:29], s[36:37], v[28:29]
	v_fma_f64 v[26:27], s[6:7], v[26:27], v[28:29]
	v_add_co_u32 v28, vcc_lo, v36, s12
	s_wait_alu 0xfffd
	v_add_co_ci_u32_e64 v29, null, s13, v37, vcc_lo
	global_store_b64 v[32:33], v[26:27], off offset:256
	global_load_b64 v[26:27], v[34:35], off offset:384
	s_wait_loadcnt 0x0
	v_mul_f64_e32 v[26:27], s[36:37], v[26:27]
	s_delay_alu instid0(VALU_DEP_1)
	v_fma_f64 v[24:25], s[6:7], v[24:25], v[26:27]
	v_add_co_u32 v26, vcc_lo, v28, v6
	s_wait_alu 0xfffd
	v_add_co_ci_u32_e64 v27, null, v29, v7, vcc_lo
	v_add_co_u32 v30, vcc_lo, v38, s16
	s_wait_alu 0xfffd
	v_add_co_ci_u32_e64 v31, null, s17, v39, vcc_lo
	global_store_b64 v[32:33], v[24:25], off offset:384
	global_load_b64 v[24:25], v[26:27], off
	s_wait_loadcnt 0x0
	v_mul_f64_e32 v[24:25], s[36:37], v[24:25]
	s_delay_alu instid0(VALU_DEP_1)
	v_fma_f64 v[22:23], s[6:7], v[22:23], v[24:25]
	v_add_co_u32 v24, vcc_lo, v30, v6
	s_wait_alu 0xfffd
	v_add_co_ci_u32_e64 v25, null, v31, v7, vcc_lo
	global_store_b64 v[24:25], v[22:23], off
	global_load_b64 v[22:23], v[26:27], off offset:128
	s_wait_loadcnt 0x0
	v_mul_f64_e32 v[22:23], s[36:37], v[22:23]
	s_delay_alu instid0(VALU_DEP_1) | instskip(SKIP_4) | instid1(VALU_DEP_1)
	v_fma_f64 v[20:21], s[6:7], v[20:21], v[22:23]
	global_store_b64 v[24:25], v[20:21], off offset:128
	global_load_b64 v[20:21], v[26:27], off offset:256
	s_wait_loadcnt 0x0
	v_mul_f64_e32 v[20:21], s[36:37], v[20:21]
	v_fma_f64 v[18:19], s[6:7], v[18:19], v[20:21]
	global_store_b64 v[24:25], v[18:19], off offset:256
	global_load_b64 v[18:19], v[26:27], off offset:384
	s_wait_loadcnt 0x0
	v_mul_f64_e32 v[18:19], s[36:37], v[18:19]
	s_delay_alu instid0(VALU_DEP_1) | instskip(SKIP_3) | instid1(VALU_DEP_2)
	v_fma_f64 v[16:17], s[6:7], v[16:17], v[18:19]
	v_add_co_u32 v18, vcc_lo, v28, s12
	s_wait_alu 0xfffd
	v_add_co_ci_u32_e64 v19, null, s13, v29, vcc_lo
	v_add_co_u32 v18, vcc_lo, v18, v6
	s_wait_alu 0xfffd
	s_delay_alu instid0(VALU_DEP_2) | instskip(SKIP_4) | instid1(VALU_DEP_1)
	v_add_co_ci_u32_e64 v19, null, v19, v7, vcc_lo
	global_store_b64 v[24:25], v[16:17], off offset:384
	global_load_b64 v[16:17], v[18:19], off
	s_wait_loadcnt 0x0
	v_mul_f64_e32 v[16:17], s[36:37], v[16:17]
	v_fma_f64 v[14:15], s[6:7], v[14:15], v[16:17]
	v_add_co_u32 v16, vcc_lo, v30, s16
	s_wait_alu 0xfffd
	v_add_co_ci_u32_e64 v17, null, s17, v31, vcc_lo
	s_delay_alu instid0(VALU_DEP_2) | instskip(SKIP_1) | instid1(VALU_DEP_2)
	v_add_co_u32 v16, vcc_lo, v16, v6
	s_wait_alu 0xfffd
	v_add_co_ci_u32_e64 v17, null, v17, v7, vcc_lo
	global_store_b64 v[16:17], v[14:15], off
	global_load_b64 v[14:15], v[18:19], off offset:128
	s_wait_loadcnt 0x0
	v_mul_f64_e32 v[14:15], s[36:37], v[14:15]
	s_delay_alu instid0(VALU_DEP_1) | instskip(SKIP_4) | instid1(VALU_DEP_1)
	v_fma_f64 v[12:13], s[6:7], v[12:13], v[14:15]
	global_store_b64 v[16:17], v[12:13], off offset:128
	global_load_b64 v[12:13], v[18:19], off offset:256
	s_wait_loadcnt 0x0
	v_mul_f64_e32 v[12:13], s[36:37], v[12:13]
	v_fma_f64 v[10:11], s[6:7], v[10:11], v[12:13]
	global_store_b64 v[16:17], v[10:11], off offset:256
	global_load_b64 v[10:11], v[18:19], off offset:384
	s_wait_loadcnt 0x0
	v_mul_f64_e32 v[10:11], s[36:37], v[10:11]
	s_delay_alu instid0(VALU_DEP_1)
	v_fma_f64 v[8:9], s[6:7], v[8:9], v[10:11]
	global_store_b64 v[16:17], v[8:9], off offset:384
	s_branch .LBB66_2
.LBB66_11:
	s_endpgm
	.section	.rodata,"a",@progbits
	.p2align	6, 0x0
	.amdhsa_kernel _ZN12_GLOBAL__N_127rocblas_gemm_batched_kernelIdLi16ELi16ELi64ELi64ELi4ELi64ELi4ELi4ELi64ELc67ELc84EKdS1_dEEvlllT_PT11_llS4_llS2_PT12_llPT13_lli
		.amdhsa_group_segment_fixed_size 4096
		.amdhsa_private_segment_fixed_size 0
		.amdhsa_kernarg_size 140
		.amdhsa_user_sgpr_count 2
		.amdhsa_user_sgpr_dispatch_ptr 0
		.amdhsa_user_sgpr_queue_ptr 0
		.amdhsa_user_sgpr_kernarg_segment_ptr 1
		.amdhsa_user_sgpr_dispatch_id 0
		.amdhsa_user_sgpr_private_segment_size 0
		.amdhsa_wavefront_size32 1
		.amdhsa_uses_dynamic_stack 0
		.amdhsa_enable_private_segment 0
		.amdhsa_system_sgpr_workgroup_id_x 1
		.amdhsa_system_sgpr_workgroup_id_y 1
		.amdhsa_system_sgpr_workgroup_id_z 1
		.amdhsa_system_sgpr_workgroup_info 0
		.amdhsa_system_vgpr_workitem_id 1
		.amdhsa_next_free_vgpr 90
		.amdhsa_next_free_sgpr 44
		.amdhsa_reserve_vcc 1
		.amdhsa_float_round_mode_32 0
		.amdhsa_float_round_mode_16_64 0
		.amdhsa_float_denorm_mode_32 3
		.amdhsa_float_denorm_mode_16_64 3
		.amdhsa_fp16_overflow 0
		.amdhsa_workgroup_processor_mode 1
		.amdhsa_memory_ordered 1
		.amdhsa_forward_progress 1
		.amdhsa_inst_pref_size 25
		.amdhsa_round_robin_scheduling 0
		.amdhsa_exception_fp_ieee_invalid_op 0
		.amdhsa_exception_fp_denorm_src 0
		.amdhsa_exception_fp_ieee_div_zero 0
		.amdhsa_exception_fp_ieee_overflow 0
		.amdhsa_exception_fp_ieee_underflow 0
		.amdhsa_exception_fp_ieee_inexact 0
		.amdhsa_exception_int_div_zero 0
	.end_amdhsa_kernel
	.section	.text._ZN12_GLOBAL__N_127rocblas_gemm_batched_kernelIdLi16ELi16ELi64ELi64ELi4ELi64ELi4ELi4ELi64ELc67ELc84EKdS1_dEEvlllT_PT11_llS4_llS2_PT12_llPT13_lli,"axG",@progbits,_ZN12_GLOBAL__N_127rocblas_gemm_batched_kernelIdLi16ELi16ELi64ELi64ELi4ELi64ELi4ELi4ELi64ELc67ELc84EKdS1_dEEvlllT_PT11_llS4_llS2_PT12_llPT13_lli,comdat
.Lfunc_end66:
	.size	_ZN12_GLOBAL__N_127rocblas_gemm_batched_kernelIdLi16ELi16ELi64ELi64ELi4ELi64ELi4ELi4ELi64ELc67ELc84EKdS1_dEEvlllT_PT11_llS4_llS2_PT12_llPT13_lli, .Lfunc_end66-_ZN12_GLOBAL__N_127rocblas_gemm_batched_kernelIdLi16ELi16ELi64ELi64ELi4ELi64ELi4ELi4ELi64ELc67ELc84EKdS1_dEEvlllT_PT11_llS4_llS2_PT12_llPT13_lli
                                        ; -- End function
	.set _ZN12_GLOBAL__N_127rocblas_gemm_batched_kernelIdLi16ELi16ELi64ELi64ELi4ELi64ELi4ELi4ELi64ELc67ELc84EKdS1_dEEvlllT_PT11_llS4_llS2_PT12_llPT13_lli.num_vgpr, 90
	.set _ZN12_GLOBAL__N_127rocblas_gemm_batched_kernelIdLi16ELi16ELi64ELi64ELi4ELi64ELi4ELi4ELi64ELc67ELc84EKdS1_dEEvlllT_PT11_llS4_llS2_PT12_llPT13_lli.num_agpr, 0
	.set _ZN12_GLOBAL__N_127rocblas_gemm_batched_kernelIdLi16ELi16ELi64ELi64ELi4ELi64ELi4ELi4ELi64ELc67ELc84EKdS1_dEEvlllT_PT11_llS4_llS2_PT12_llPT13_lli.numbered_sgpr, 44
	.set _ZN12_GLOBAL__N_127rocblas_gemm_batched_kernelIdLi16ELi16ELi64ELi64ELi4ELi64ELi4ELi4ELi64ELc67ELc84EKdS1_dEEvlllT_PT11_llS4_llS2_PT12_llPT13_lli.num_named_barrier, 0
	.set _ZN12_GLOBAL__N_127rocblas_gemm_batched_kernelIdLi16ELi16ELi64ELi64ELi4ELi64ELi4ELi4ELi64ELc67ELc84EKdS1_dEEvlllT_PT11_llS4_llS2_PT12_llPT13_lli.private_seg_size, 0
	.set _ZN12_GLOBAL__N_127rocblas_gemm_batched_kernelIdLi16ELi16ELi64ELi64ELi4ELi64ELi4ELi4ELi64ELc67ELc84EKdS1_dEEvlllT_PT11_llS4_llS2_PT12_llPT13_lli.uses_vcc, 1
	.set _ZN12_GLOBAL__N_127rocblas_gemm_batched_kernelIdLi16ELi16ELi64ELi64ELi4ELi64ELi4ELi4ELi64ELc67ELc84EKdS1_dEEvlllT_PT11_llS4_llS2_PT12_llPT13_lli.uses_flat_scratch, 0
	.set _ZN12_GLOBAL__N_127rocblas_gemm_batched_kernelIdLi16ELi16ELi64ELi64ELi4ELi64ELi4ELi4ELi64ELc67ELc84EKdS1_dEEvlllT_PT11_llS4_llS2_PT12_llPT13_lli.has_dyn_sized_stack, 0
	.set _ZN12_GLOBAL__N_127rocblas_gemm_batched_kernelIdLi16ELi16ELi64ELi64ELi4ELi64ELi4ELi4ELi64ELc67ELc84EKdS1_dEEvlllT_PT11_llS4_llS2_PT12_llPT13_lli.has_recursion, 0
	.set _ZN12_GLOBAL__N_127rocblas_gemm_batched_kernelIdLi16ELi16ELi64ELi64ELi4ELi64ELi4ELi4ELi64ELc67ELc84EKdS1_dEEvlllT_PT11_llS4_llS2_PT12_llPT13_lli.has_indirect_call, 0
	.section	.AMDGPU.csdata,"",@progbits
; Kernel info:
; codeLenInByte = 3192
; TotalNumSgprs: 46
; NumVgprs: 90
; ScratchSize: 0
; MemoryBound: 0
; FloatMode: 240
; IeeeMode: 1
; LDSByteSize: 4096 bytes/workgroup (compile time only)
; SGPRBlocks: 0
; VGPRBlocks: 11
; NumSGPRsForWavesPerEU: 46
; NumVGPRsForWavesPerEU: 90
; Occupancy: 16
; WaveLimiterHint : 1
; COMPUTE_PGM_RSRC2:SCRATCH_EN: 0
; COMPUTE_PGM_RSRC2:USER_SGPR: 2
; COMPUTE_PGM_RSRC2:TRAP_HANDLER: 0
; COMPUTE_PGM_RSRC2:TGID_X_EN: 1
; COMPUTE_PGM_RSRC2:TGID_Y_EN: 1
; COMPUTE_PGM_RSRC2:TGID_Z_EN: 1
; COMPUTE_PGM_RSRC2:TIDIG_COMP_CNT: 1
	.section	.text._ZN12_GLOBAL__N_127rocblas_gemm_batched_kernelIdLi16ELi16ELi64ELi64ELi4ELi64ELi4ELi4ELi64ELc78ELc67EKdS1_dEEvlllT_PT11_llS4_llS2_PT12_llPT13_lli,"axG",@progbits,_ZN12_GLOBAL__N_127rocblas_gemm_batched_kernelIdLi16ELi16ELi64ELi64ELi4ELi64ELi4ELi4ELi64ELc78ELc67EKdS1_dEEvlllT_PT11_llS4_llS2_PT12_llPT13_lli,comdat
	.globl	_ZN12_GLOBAL__N_127rocblas_gemm_batched_kernelIdLi16ELi16ELi64ELi64ELi4ELi64ELi4ELi4ELi64ELc78ELc67EKdS1_dEEvlllT_PT11_llS4_llS2_PT12_llPT13_lli ; -- Begin function _ZN12_GLOBAL__N_127rocblas_gemm_batched_kernelIdLi16ELi16ELi64ELi64ELi4ELi64ELi4ELi4ELi64ELc78ELc67EKdS1_dEEvlllT_PT11_llS4_llS2_PT12_llPT13_lli
	.p2align	8
	.type	_ZN12_GLOBAL__N_127rocblas_gemm_batched_kernelIdLi16ELi16ELi64ELi64ELi4ELi64ELi4ELi4ELi64ELc78ELc67EKdS1_dEEvlllT_PT11_llS4_llS2_PT12_llPT13_lli,@function
_ZN12_GLOBAL__N_127rocblas_gemm_batched_kernelIdLi16ELi16ELi64ELi64ELi4ELi64ELi4ELi4ELi64ELc78ELc67EKdS1_dEEvlllT_PT11_llS4_llS2_PT12_llPT13_lli: ; @_ZN12_GLOBAL__N_127rocblas_gemm_batched_kernelIdLi16ELi16ELi64ELi64ELi4ELi64ELi4ELi4ELi64ELc78ELc67EKdS1_dEEvlllT_PT11_llS4_llS2_PT12_llPT13_lli
; %bb.0:
	s_load_b32 s28, s[0:1], 0x88
	s_lshr_b32 s2, ttmp7, 16
	s_wait_kmcnt 0x0
	s_cmp_ge_i32 s2, s28
	s_cbranch_scc1 .LBB67_11
; %bb.1:
	s_clause 0x1
	s_load_b256 s[20:27], s[0:1], 0x70
	s_load_b256 s[36:43], s[0:1], 0x50
	v_dual_mov_b32 v1, 0 :: v_dual_and_b32 v8, 0x3ff, v0
	v_bfe_u32 v6, v0, 10, 10
	s_load_b512 s[4:19], s[0:1], 0x10
	v_and_b32_e32 v11, 3, v0
	s_lshl_b32 s0, ttmp7, 6
	s_mov_b32 s30, ttmp9
	v_lshl_add_u32 v2, v6, 4, v8
	s_and_b32 s0, s0, 0x3fffc0
	v_lshlrev_b32_e32 v3, 3, v11
	v_add_nc_u32_e32 v7, s0, v6
	v_lshl_add_u32 v47, v6, 5, 0x800
	v_lshrrev_b32_e32 v0, 2, v2
	v_and_b32_e32 v14, 63, v2
	v_lshrrev_b32_e32 v13, 6, v2
	s_ashr_i32 s31, ttmp9, 31
	s_mov_b32 s3, 0
	v_lshl_or_b32 v10, v0, 5, v3
	s_wait_kmcnt 0x0
	v_mad_co_u64_u32 v[4:5], null, v7, s22, 0
	v_mad_co_u64_u32 v[2:3], null, v7, s40, 0
	s_lshl_b64 s[26:27], s[30:31], 6
	v_add_nc_u32_e32 v45, 0x800, v10
	v_mad_co_u64_u32 v[0:1], null, s16, v11, v[0:1]
	v_mad_co_u64_u32 v[5:6], null, v7, s23, v[5:6]
	;; [unrolled: 1-line block ×3, first 2 shown]
	v_cmp_eq_f64_e64 s1, s[36:37], 0
	v_add_co_u32 v7, s29, s26, v8
	v_mad_co_u64_u32 v[11:12], null, s17, v11, v[1:2]
	s_lshl_b64 s[22:23], s[22:23], 4
	v_mov_b32_e32 v3, v6
	v_lshlrev_b32_e32 v9, 3, v14
	s_lshl_b64 s[16:17], s[16:17], 5
	s_delay_alu instid0(VALU_DEP_2) | instskip(NEXT) | instid1(VALU_DEP_2)
	v_lshlrev_b64_e32 v[1:2], 3, v[2:3]
	v_lshl_or_b32 v44, v13, 9, v9
	v_mad_co_u64_u32 v[9:10], null, s10, v13, s[26:27]
	v_lshlrev_b32_e32 v46, 3, v8
	v_add_co_ci_u32_e64 v8, null, s27, 0, s29
	s_lshl_b64 s[26:27], s[40:41], 4
	v_mov_b32_e32 v3, v10
	v_add_co_u32 v10, vcc_lo, v0, s0
	s_delay_alu instid0(VALU_DEP_1) | instskip(NEXT) | instid1(VALU_DEP_3)
	v_add_co_ci_u32_e64 v11, null, 0, v11, vcc_lo
	v_mad_co_u64_u32 v[12:13], null, s11, v13, v[3:4]
	v_add_co_u32 v48, vcc_lo, s38, v1
	s_wait_alu 0xfffd
	v_add_co_ci_u32_e64 v49, null, s39, v2, vcc_lo
	v_add_co_u32 v2, vcc_lo, v9, v14
	s_wait_alu 0xfffd
	s_delay_alu instid0(VALU_DEP_4) | instskip(SKIP_3) | instid1(VALU_DEP_4)
	v_add_co_ci_u32_e64 v3, null, 0, v12, vcc_lo
	v_cmp_gt_i64_e64 s0, s[4:5], 0
	v_lshlrev_b64_e32 v[0:1], 3, v[10:11]
	v_lshlrev_b64_e32 v[4:5], 3, v[4:5]
	;; [unrolled: 1-line block ×4, first 2 shown]
	s_lshl_b64 s[10:11], s[10:11], 5
	v_cndmask_b32_e64 v9, 0, 1, s0
	v_add_co_u32 v0, vcc_lo, s14, v0
	s_wait_alu 0xfffd
	v_add_co_ci_u32_e64 v1, null, s15, v1, vcc_lo
	v_add_co_u32 v2, vcc_lo, s8, v2
	s_wait_alu 0xfffd
	v_add_co_ci_u32_e64 v3, null, s9, v3, vcc_lo
	v_cmp_ne_u32_e64 s0, 1, v9
	s_lshl_b64 s[14:15], s[18:19], 3
	s_lshl_b64 s[8:9], s[12:13], 3
	s_wait_alu 0xfffe
	s_lshl_b64 s[12:13], s[26:27], 3
	s_lshl_b64 s[18:19], s[22:23], 3
	s_branch .LBB67_3
.LBB67_2:                               ;   in Loop: Header=BB67_3 Depth=1
	s_add_co_i32 s2, s2, 0x10000
	s_wait_alu 0xfffe
	s_cmp_lt_i32 s2, s28
	s_cbranch_scc0 .LBB67_11
.LBB67_3:                               ; =>This Loop Header: Depth=1
                                        ;     Child Loop BB67_5 Depth 2
	s_and_b32 vcc_lo, exec_lo, s0
	s_wait_alu 0xfffe
	s_cbranch_vccnz .LBB67_6
; %bb.4:                                ;   in Loop: Header=BB67_3 Depth=1
	v_mad_co_u64_u32 v[40:41], null, s14, s2, v[0:1]
	v_mad_co_u64_u32 v[42:43], null, s8, s2, v[2:3]
	v_mov_b32_e32 v16, 0
	v_mov_b32_e32 v24, 0
	;; [unrolled: 1-line block ×4, first 2 shown]
	v_dual_mov_b32 v22, v41 :: v_dual_mov_b32 v17, 0
	v_dual_mov_b32 v28, v43 :: v_dual_mov_b32 v25, 0
	;; [unrolled: 1-line block ×3, first 2 shown]
	s_delay_alu instid0(VALU_DEP_3) | instskip(NEXT) | instid1(VALU_DEP_3)
	v_mad_co_u64_u32 v[30:31], null, s15, s2, v[22:23]
	v_mad_co_u64_u32 v[50:51], null, s9, s2, v[28:29]
	v_dual_mov_b32 v13, 0 :: v_dual_mov_b32 v14, 0
	v_mov_b32_e32 v18, 0
	v_mov_b32_e32 v20, 0
	;; [unrolled: 1-line block ×3, first 2 shown]
	v_dual_mov_b32 v26, 0 :: v_dual_mov_b32 v41, v30
	v_mov_b32_e32 v28, 0
	v_mov_b32_e32 v30, 0
	;; [unrolled: 1-line block ×5, first 2 shown]
	v_dual_mov_b32 v38, 0 :: v_dual_mov_b32 v43, v50
	v_mov_b32_e32 v11, 0
	v_mov_b32_e32 v15, 0
	;; [unrolled: 1-line block ×12, first 2 shown]
	s_mov_b64 s[22:23], 0
.LBB67_5:                               ;   Parent Loop BB67_3 Depth=1
                                        ; =>  This Inner Loop Header: Depth=2
	global_load_b64 v[50:51], v[42:43], off
	global_load_b64 v[52:53], v[40:41], off
	s_wait_alu 0xfffe
	s_add_nc_u64 s[22:23], s[22:23], 4
	v_add_co_u32 v40, vcc_lo, v40, s16
	s_wait_alu 0xfffe
	v_cmp_lt_i64_e64 s26, s[22:23], s[4:5]
	s_wait_alu 0xfffd
	v_add_co_ci_u32_e64 v41, null, s17, v41, vcc_lo
	v_add_co_u32 v42, vcc_lo, v42, s10
	s_wait_alu 0xfffd
	v_add_co_ci_u32_e64 v43, null, s11, v43, vcc_lo
	s_and_b32 vcc_lo, exec_lo, s26
	s_wait_loadcnt 0x1
	ds_store_b64 v44, v[50:51]
	s_wait_loadcnt 0x0
	ds_store_b64 v45, v[52:53]
	s_wait_dscnt 0x0
	s_barrier_signal -1
	s_barrier_wait -1
	global_inv scope:SCOPE_SE
	ds_load_b128 v[50:53], v47
	ds_load_2addr_b64 v[54:57], v46 offset1:16
	ds_load_2addr_b64 v[58:61], v46 offset0:32 offset1:48
	ds_load_b128 v[62:65], v47 offset:512
	ds_load_b128 v[66:69], v47 offset:1024
	;; [unrolled: 1-line block ×7, first 2 shown]
	s_wait_dscnt 0x8
	v_fma_f64 v[38:39], v[54:55], v[50:51], v[38:39]
	v_fma_f64 v[36:37], v[56:57], v[50:51], v[36:37]
	s_wait_dscnt 0x7
	v_fma_f64 v[34:35], v[58:59], v[50:51], v[34:35]
	v_fma_f64 v[32:33], v[60:61], v[50:51], v[32:33]
	;; [unrolled: 3-line block ×3, first 2 shown]
	v_fma_f64 v[26:27], v[58:59], v[62:63], v[26:27]
	v_fma_f64 v[24:25], v[60:61], v[62:63], v[24:25]
	s_wait_dscnt 0x5
	v_fma_f64 v[22:23], v[54:55], v[66:67], v[22:23]
	v_fma_f64 v[20:21], v[56:57], v[66:67], v[20:21]
	;; [unrolled: 1-line block ×4, first 2 shown]
	s_wait_dscnt 0x4
	v_fma_f64 v[50:51], v[54:55], v[70:71], v[14:15]
	v_fma_f64 v[54:55], v[56:57], v[70:71], v[12:13]
	;; [unrolled: 1-line block ×4, first 2 shown]
	ds_load_2addr_b64 v[8:11], v46 offset0:64 offset1:80
	ds_load_2addr_b64 v[12:15], v46 offset0:96 offset1:112
	s_wait_dscnt 0x1
	v_fma_f64 v[38:39], v[8:9], v[52:53], v[38:39]
	v_fma_f64 v[36:37], v[10:11], v[52:53], v[36:37]
	s_wait_dscnt 0x0
	v_fma_f64 v[34:35], v[12:13], v[52:53], v[34:35]
	v_fma_f64 v[32:33], v[14:15], v[52:53], v[32:33]
	;; [unrolled: 1-line block ×14, first 2 shown]
	ds_load_2addr_b64 v[8:11], v46 offset0:128 offset1:144
	ds_load_2addr_b64 v[12:15], v46 offset0:160 offset1:176
	s_wait_dscnt 0x1
	v_fma_f64 v[38:39], v[8:9], v[74:75], v[38:39]
	v_fma_f64 v[36:37], v[10:11], v[74:75], v[36:37]
	s_wait_dscnt 0x0
	v_fma_f64 v[34:35], v[12:13], v[74:75], v[34:35]
	v_fma_f64 v[32:33], v[14:15], v[74:75], v[32:33]
	;; [unrolled: 1-line block ×14, first 2 shown]
	ds_load_2addr_b64 v[8:11], v46 offset0:192 offset1:208
	ds_load_2addr_b64 v[50:53], v46 offset0:224 offset1:240
	s_wait_loadcnt_dscnt 0x0
	s_barrier_signal -1
	s_barrier_wait -1
	global_inv scope:SCOPE_SE
	v_fma_f64 v[38:39], v[8:9], v[76:77], v[38:39]
	v_fma_f64 v[36:37], v[10:11], v[76:77], v[36:37]
	;; [unrolled: 1-line block ×16, first 2 shown]
	s_wait_alu 0xfffe
	s_cbranch_vccnz .LBB67_5
	s_branch .LBB67_7
.LBB67_6:                               ;   in Loop: Header=BB67_3 Depth=1
	v_mov_b32_e32 v38, 0
	v_mov_b32_e32 v34, 0
	;; [unrolled: 1-line block ×7, first 2 shown]
	v_dual_mov_b32 v10, 0 :: v_dual_mov_b32 v39, 0
	v_dual_mov_b32 v36, 0 :: v_dual_mov_b32 v35, 0
	v_dual_mov_b32 v32, 0 :: v_dual_mov_b32 v31, 0
	v_dual_mov_b32 v28, 0 :: v_dual_mov_b32 v27, 0
	v_dual_mov_b32 v24, 0 :: v_dual_mov_b32 v23, 0
	v_dual_mov_b32 v20, 0 :: v_dual_mov_b32 v19, 0
	v_dual_mov_b32 v16, 0 :: v_dual_mov_b32 v15, 0
	v_dual_mov_b32 v12, 0 :: v_dual_mov_b32 v11, 0
	v_dual_mov_b32 v8, 0 :: v_dual_mov_b32 v37, 0
	v_mov_b32_e32 v33, 0
	v_mov_b32_e32 v29, 0
	;; [unrolled: 1-line block ×7, first 2 shown]
.LBB67_7:                               ;   in Loop: Header=BB67_3 Depth=1
	s_mul_u64 s[22:23], s[24:25], s[2:3]
	s_and_not1_b32 vcc_lo, exec_lo, s1
	s_wait_alu 0xfffe
	s_lshl_b64 s[22:23], s[22:23], 3
	s_wait_alu 0xfffe
	s_add_nc_u64 s[22:23], s[20:21], s[22:23]
	s_cbranch_vccnz .LBB67_9
; %bb.8:                                ;   in Loop: Header=BB67_3 Depth=1
	v_mul_f64_e32 v[40:41], s[6:7], v[38:39]
	v_mul_f64_e32 v[42:43], s[6:7], v[36:37]
	;; [unrolled: 1-line block ×16, first 2 shown]
	s_wait_alu 0xfffe
	v_add_co_u32 v78, vcc_lo, s22, v4
	s_wait_alu 0xfffd
	v_add_co_ci_u32_e64 v79, null, s23, v5, vcc_lo
	s_delay_alu instid0(VALU_DEP_2) | instskip(SKIP_1) | instid1(VALU_DEP_2)
	v_add_co_u32 v82, vcc_lo, v78, s18
	s_wait_alu 0xfffd
	v_add_co_ci_u32_e64 v83, null, s19, v79, vcc_lo
	v_add_co_u32 v78, vcc_lo, v78, v6
	s_wait_alu 0xfffd
	v_add_co_ci_u32_e64 v79, null, v79, v7, vcc_lo
	;; [unrolled: 3-line block ×3, first 2 shown]
	s_clause 0x3
	global_store_b64 v[78:79], v[40:41], off
	global_store_b64 v[78:79], v[42:43], off offset:128
	global_store_b64 v[78:79], v[50:51], off offset:256
	;; [unrolled: 1-line block ×3, first 2 shown]
	v_add_co_u32 v40, vcc_lo, v82, s18
	s_wait_alu 0xfffd
	v_add_co_ci_u32_e64 v41, null, s19, v83, vcc_lo
	s_clause 0x3
	global_store_b64 v[80:81], v[54:55], off
	global_store_b64 v[80:81], v[56:57], off offset:128
	global_store_b64 v[80:81], v[58:59], off offset:256
	global_store_b64 v[80:81], v[60:61], off offset:384
	v_add_co_u32 v42, vcc_lo, v40, s18
	s_wait_alu 0xfffd
	v_add_co_ci_u32_e64 v43, null, s19, v41, vcc_lo
	v_add_co_u32 v40, vcc_lo, v40, v6
	s_wait_alu 0xfffd
	v_add_co_ci_u32_e64 v41, null, v41, v7, vcc_lo
	v_add_co_u32 v42, vcc_lo, v42, v6
	s_wait_alu 0xfffd
	v_add_co_ci_u32_e64 v43, null, v43, v7, vcc_lo
	s_clause 0x7
	global_store_b64 v[40:41], v[62:63], off
	global_store_b64 v[40:41], v[64:65], off offset:128
	global_store_b64 v[40:41], v[66:67], off offset:256
	;; [unrolled: 1-line block ×3, first 2 shown]
	global_store_b64 v[42:43], v[70:71], off
	global_store_b64 v[42:43], v[72:73], off offset:128
	global_store_b64 v[42:43], v[74:75], off offset:256
	global_store_b64 v[42:43], v[76:77], off offset:384
	s_cbranch_execnz .LBB67_2
	s_branch .LBB67_10
.LBB67_9:                               ;   in Loop: Header=BB67_3 Depth=1
.LBB67_10:                              ;   in Loop: Header=BB67_3 Depth=1
	s_mul_u64 s[26:27], s[42:43], s[2:3]
	s_wait_alu 0xfffe
	s_lshl_b64 s[26:27], s[26:27], 3
	s_wait_alu 0xfffe
	v_add_co_u32 v50, vcc_lo, v48, s26
	s_wait_alu 0xfffd
	v_add_co_ci_u32_e64 v51, null, s27, v49, vcc_lo
	s_delay_alu instid0(VALU_DEP_2) | instskip(SKIP_1) | instid1(VALU_DEP_2)
	v_add_co_u32 v40, vcc_lo, v50, v6
	s_wait_alu 0xfffd
	v_add_co_ci_u32_e64 v41, null, v51, v7, vcc_lo
	v_add_co_u32 v52, vcc_lo, s22, v4
	s_wait_alu 0xfffd
	v_add_co_ci_u32_e64 v53, null, s23, v5, vcc_lo
	global_load_b64 v[42:43], v[40:41], off
	s_wait_loadcnt 0x0
	v_mul_f64_e32 v[42:43], s[36:37], v[42:43]
	s_delay_alu instid0(VALU_DEP_1)
	v_fma_f64 v[38:39], s[6:7], v[38:39], v[42:43]
	v_add_co_u32 v42, vcc_lo, v52, v6
	s_wait_alu 0xfffd
	v_add_co_ci_u32_e64 v43, null, v53, v7, vcc_lo
	global_store_b64 v[42:43], v[38:39], off
	global_load_b64 v[38:39], v[40:41], off offset:128
	s_wait_loadcnt 0x0
	v_mul_f64_e32 v[38:39], s[36:37], v[38:39]
	s_delay_alu instid0(VALU_DEP_1) | instskip(SKIP_4) | instid1(VALU_DEP_1)
	v_fma_f64 v[36:37], s[6:7], v[36:37], v[38:39]
	global_store_b64 v[42:43], v[36:37], off offset:128
	global_load_b64 v[36:37], v[40:41], off offset:256
	s_wait_loadcnt 0x0
	v_mul_f64_e32 v[36:37], s[36:37], v[36:37]
	v_fma_f64 v[34:35], s[6:7], v[34:35], v[36:37]
	v_add_co_u32 v36, vcc_lo, v50, s12
	s_wait_alu 0xfffd
	v_add_co_ci_u32_e64 v37, null, s13, v51, vcc_lo
	global_store_b64 v[42:43], v[34:35], off offset:256
	global_load_b64 v[34:35], v[40:41], off offset:384
	s_wait_loadcnt 0x0
	v_mul_f64_e32 v[34:35], s[36:37], v[34:35]
	s_delay_alu instid0(VALU_DEP_1)
	v_fma_f64 v[32:33], s[6:7], v[32:33], v[34:35]
	v_add_co_u32 v34, vcc_lo, v36, v6
	s_wait_alu 0xfffd
	v_add_co_ci_u32_e64 v35, null, v37, v7, vcc_lo
	v_add_co_u32 v38, vcc_lo, v52, s18
	s_wait_alu 0xfffd
	v_add_co_ci_u32_e64 v39, null, s19, v53, vcc_lo
	global_store_b64 v[42:43], v[32:33], off offset:384
	global_load_b64 v[32:33], v[34:35], off
	s_wait_loadcnt 0x0
	v_mul_f64_e32 v[32:33], s[36:37], v[32:33]
	s_delay_alu instid0(VALU_DEP_1)
	v_fma_f64 v[30:31], s[6:7], v[30:31], v[32:33]
	v_add_co_u32 v32, vcc_lo, v38, v6
	s_wait_alu 0xfffd
	v_add_co_ci_u32_e64 v33, null, v39, v7, vcc_lo
	global_store_b64 v[32:33], v[30:31], off
	global_load_b64 v[30:31], v[34:35], off offset:128
	s_wait_loadcnt 0x0
	v_mul_f64_e32 v[30:31], s[36:37], v[30:31]
	s_delay_alu instid0(VALU_DEP_1) | instskip(SKIP_4) | instid1(VALU_DEP_1)
	v_fma_f64 v[28:29], s[6:7], v[28:29], v[30:31]
	global_store_b64 v[32:33], v[28:29], off offset:128
	global_load_b64 v[28:29], v[34:35], off offset:256
	s_wait_loadcnt 0x0
	v_mul_f64_e32 v[28:29], s[36:37], v[28:29]
	v_fma_f64 v[26:27], s[6:7], v[26:27], v[28:29]
	v_add_co_u32 v28, vcc_lo, v36, s12
	s_wait_alu 0xfffd
	v_add_co_ci_u32_e64 v29, null, s13, v37, vcc_lo
	global_store_b64 v[32:33], v[26:27], off offset:256
	global_load_b64 v[26:27], v[34:35], off offset:384
	s_wait_loadcnt 0x0
	v_mul_f64_e32 v[26:27], s[36:37], v[26:27]
	s_delay_alu instid0(VALU_DEP_1)
	v_fma_f64 v[24:25], s[6:7], v[24:25], v[26:27]
	v_add_co_u32 v26, vcc_lo, v28, v6
	s_wait_alu 0xfffd
	v_add_co_ci_u32_e64 v27, null, v29, v7, vcc_lo
	v_add_co_u32 v30, vcc_lo, v38, s18
	s_wait_alu 0xfffd
	v_add_co_ci_u32_e64 v31, null, s19, v39, vcc_lo
	global_store_b64 v[32:33], v[24:25], off offset:384
	global_load_b64 v[24:25], v[26:27], off
	s_wait_loadcnt 0x0
	v_mul_f64_e32 v[24:25], s[36:37], v[24:25]
	s_delay_alu instid0(VALU_DEP_1)
	v_fma_f64 v[22:23], s[6:7], v[22:23], v[24:25]
	v_add_co_u32 v24, vcc_lo, v30, v6
	s_wait_alu 0xfffd
	v_add_co_ci_u32_e64 v25, null, v31, v7, vcc_lo
	global_store_b64 v[24:25], v[22:23], off
	global_load_b64 v[22:23], v[26:27], off offset:128
	s_wait_loadcnt 0x0
	v_mul_f64_e32 v[22:23], s[36:37], v[22:23]
	s_delay_alu instid0(VALU_DEP_1) | instskip(SKIP_4) | instid1(VALU_DEP_1)
	v_fma_f64 v[20:21], s[6:7], v[20:21], v[22:23]
	global_store_b64 v[24:25], v[20:21], off offset:128
	global_load_b64 v[20:21], v[26:27], off offset:256
	s_wait_loadcnt 0x0
	v_mul_f64_e32 v[20:21], s[36:37], v[20:21]
	v_fma_f64 v[18:19], s[6:7], v[18:19], v[20:21]
	global_store_b64 v[24:25], v[18:19], off offset:256
	global_load_b64 v[18:19], v[26:27], off offset:384
	s_wait_loadcnt 0x0
	v_mul_f64_e32 v[18:19], s[36:37], v[18:19]
	s_delay_alu instid0(VALU_DEP_1) | instskip(SKIP_3) | instid1(VALU_DEP_2)
	v_fma_f64 v[16:17], s[6:7], v[16:17], v[18:19]
	v_add_co_u32 v18, vcc_lo, v28, s12
	s_wait_alu 0xfffd
	v_add_co_ci_u32_e64 v19, null, s13, v29, vcc_lo
	v_add_co_u32 v18, vcc_lo, v18, v6
	s_wait_alu 0xfffd
	s_delay_alu instid0(VALU_DEP_2) | instskip(SKIP_4) | instid1(VALU_DEP_1)
	v_add_co_ci_u32_e64 v19, null, v19, v7, vcc_lo
	global_store_b64 v[24:25], v[16:17], off offset:384
	global_load_b64 v[16:17], v[18:19], off
	s_wait_loadcnt 0x0
	v_mul_f64_e32 v[16:17], s[36:37], v[16:17]
	v_fma_f64 v[14:15], s[6:7], v[14:15], v[16:17]
	v_add_co_u32 v16, vcc_lo, v30, s18
	s_wait_alu 0xfffd
	v_add_co_ci_u32_e64 v17, null, s19, v31, vcc_lo
	s_delay_alu instid0(VALU_DEP_2) | instskip(SKIP_1) | instid1(VALU_DEP_2)
	v_add_co_u32 v16, vcc_lo, v16, v6
	s_wait_alu 0xfffd
	v_add_co_ci_u32_e64 v17, null, v17, v7, vcc_lo
	global_store_b64 v[16:17], v[14:15], off
	global_load_b64 v[14:15], v[18:19], off offset:128
	s_wait_loadcnt 0x0
	v_mul_f64_e32 v[14:15], s[36:37], v[14:15]
	s_delay_alu instid0(VALU_DEP_1) | instskip(SKIP_4) | instid1(VALU_DEP_1)
	v_fma_f64 v[12:13], s[6:7], v[12:13], v[14:15]
	global_store_b64 v[16:17], v[12:13], off offset:128
	global_load_b64 v[12:13], v[18:19], off offset:256
	s_wait_loadcnt 0x0
	v_mul_f64_e32 v[12:13], s[36:37], v[12:13]
	v_fma_f64 v[10:11], s[6:7], v[10:11], v[12:13]
	global_store_b64 v[16:17], v[10:11], off offset:256
	global_load_b64 v[10:11], v[18:19], off offset:384
	s_wait_loadcnt 0x0
	v_mul_f64_e32 v[10:11], s[36:37], v[10:11]
	s_delay_alu instid0(VALU_DEP_1)
	v_fma_f64 v[8:9], s[6:7], v[8:9], v[10:11]
	global_store_b64 v[16:17], v[8:9], off offset:384
	s_branch .LBB67_2
.LBB67_11:
	s_endpgm
	.section	.rodata,"a",@progbits
	.p2align	6, 0x0
	.amdhsa_kernel _ZN12_GLOBAL__N_127rocblas_gemm_batched_kernelIdLi16ELi16ELi64ELi64ELi4ELi64ELi4ELi4ELi64ELc78ELc67EKdS1_dEEvlllT_PT11_llS4_llS2_PT12_llPT13_lli
		.amdhsa_group_segment_fixed_size 4096
		.amdhsa_private_segment_fixed_size 0
		.amdhsa_kernarg_size 140
		.amdhsa_user_sgpr_count 2
		.amdhsa_user_sgpr_dispatch_ptr 0
		.amdhsa_user_sgpr_queue_ptr 0
		.amdhsa_user_sgpr_kernarg_segment_ptr 1
		.amdhsa_user_sgpr_dispatch_id 0
		.amdhsa_user_sgpr_private_segment_size 0
		.amdhsa_wavefront_size32 1
		.amdhsa_uses_dynamic_stack 0
		.amdhsa_enable_private_segment 0
		.amdhsa_system_sgpr_workgroup_id_x 1
		.amdhsa_system_sgpr_workgroup_id_y 1
		.amdhsa_system_sgpr_workgroup_id_z 1
		.amdhsa_system_sgpr_workgroup_info 0
		.amdhsa_system_vgpr_workitem_id 1
		.amdhsa_next_free_vgpr 90
		.amdhsa_next_free_sgpr 44
		.amdhsa_reserve_vcc 1
		.amdhsa_float_round_mode_32 0
		.amdhsa_float_round_mode_16_64 0
		.amdhsa_float_denorm_mode_32 3
		.amdhsa_float_denorm_mode_16_64 3
		.amdhsa_fp16_overflow 0
		.amdhsa_workgroup_processor_mode 1
		.amdhsa_memory_ordered 1
		.amdhsa_forward_progress 1
		.amdhsa_inst_pref_size 25
		.amdhsa_round_robin_scheduling 0
		.amdhsa_exception_fp_ieee_invalid_op 0
		.amdhsa_exception_fp_denorm_src 0
		.amdhsa_exception_fp_ieee_div_zero 0
		.amdhsa_exception_fp_ieee_overflow 0
		.amdhsa_exception_fp_ieee_underflow 0
		.amdhsa_exception_fp_ieee_inexact 0
		.amdhsa_exception_int_div_zero 0
	.end_amdhsa_kernel
	.section	.text._ZN12_GLOBAL__N_127rocblas_gemm_batched_kernelIdLi16ELi16ELi64ELi64ELi4ELi64ELi4ELi4ELi64ELc78ELc67EKdS1_dEEvlllT_PT11_llS4_llS2_PT12_llPT13_lli,"axG",@progbits,_ZN12_GLOBAL__N_127rocblas_gemm_batched_kernelIdLi16ELi16ELi64ELi64ELi4ELi64ELi4ELi4ELi64ELc78ELc67EKdS1_dEEvlllT_PT11_llS4_llS2_PT12_llPT13_lli,comdat
.Lfunc_end67:
	.size	_ZN12_GLOBAL__N_127rocblas_gemm_batched_kernelIdLi16ELi16ELi64ELi64ELi4ELi64ELi4ELi4ELi64ELc78ELc67EKdS1_dEEvlllT_PT11_llS4_llS2_PT12_llPT13_lli, .Lfunc_end67-_ZN12_GLOBAL__N_127rocblas_gemm_batched_kernelIdLi16ELi16ELi64ELi64ELi4ELi64ELi4ELi4ELi64ELc78ELc67EKdS1_dEEvlllT_PT11_llS4_llS2_PT12_llPT13_lli
                                        ; -- End function
	.set _ZN12_GLOBAL__N_127rocblas_gemm_batched_kernelIdLi16ELi16ELi64ELi64ELi4ELi64ELi4ELi4ELi64ELc78ELc67EKdS1_dEEvlllT_PT11_llS4_llS2_PT12_llPT13_lli.num_vgpr, 90
	.set _ZN12_GLOBAL__N_127rocblas_gemm_batched_kernelIdLi16ELi16ELi64ELi64ELi4ELi64ELi4ELi4ELi64ELc78ELc67EKdS1_dEEvlllT_PT11_llS4_llS2_PT12_llPT13_lli.num_agpr, 0
	.set _ZN12_GLOBAL__N_127rocblas_gemm_batched_kernelIdLi16ELi16ELi64ELi64ELi4ELi64ELi4ELi4ELi64ELc78ELc67EKdS1_dEEvlllT_PT11_llS4_llS2_PT12_llPT13_lli.numbered_sgpr, 44
	.set _ZN12_GLOBAL__N_127rocblas_gemm_batched_kernelIdLi16ELi16ELi64ELi64ELi4ELi64ELi4ELi4ELi64ELc78ELc67EKdS1_dEEvlllT_PT11_llS4_llS2_PT12_llPT13_lli.num_named_barrier, 0
	.set _ZN12_GLOBAL__N_127rocblas_gemm_batched_kernelIdLi16ELi16ELi64ELi64ELi4ELi64ELi4ELi4ELi64ELc78ELc67EKdS1_dEEvlllT_PT11_llS4_llS2_PT12_llPT13_lli.private_seg_size, 0
	.set _ZN12_GLOBAL__N_127rocblas_gemm_batched_kernelIdLi16ELi16ELi64ELi64ELi4ELi64ELi4ELi4ELi64ELc78ELc67EKdS1_dEEvlllT_PT11_llS4_llS2_PT12_llPT13_lli.uses_vcc, 1
	.set _ZN12_GLOBAL__N_127rocblas_gemm_batched_kernelIdLi16ELi16ELi64ELi64ELi4ELi64ELi4ELi4ELi64ELc78ELc67EKdS1_dEEvlllT_PT11_llS4_llS2_PT12_llPT13_lli.uses_flat_scratch, 0
	.set _ZN12_GLOBAL__N_127rocblas_gemm_batched_kernelIdLi16ELi16ELi64ELi64ELi4ELi64ELi4ELi4ELi64ELc78ELc67EKdS1_dEEvlllT_PT11_llS4_llS2_PT12_llPT13_lli.has_dyn_sized_stack, 0
	.set _ZN12_GLOBAL__N_127rocblas_gemm_batched_kernelIdLi16ELi16ELi64ELi64ELi4ELi64ELi4ELi4ELi64ELc78ELc67EKdS1_dEEvlllT_PT11_llS4_llS2_PT12_llPT13_lli.has_recursion, 0
	.set _ZN12_GLOBAL__N_127rocblas_gemm_batched_kernelIdLi16ELi16ELi64ELi64ELi4ELi64ELi4ELi4ELi64ELc78ELc67EKdS1_dEEvlllT_PT11_llS4_llS2_PT12_llPT13_lli.has_indirect_call, 0
	.section	.AMDGPU.csdata,"",@progbits
; Kernel info:
; codeLenInByte = 3172
; TotalNumSgprs: 46
; NumVgprs: 90
; ScratchSize: 0
; MemoryBound: 0
; FloatMode: 240
; IeeeMode: 1
; LDSByteSize: 4096 bytes/workgroup (compile time only)
; SGPRBlocks: 0
; VGPRBlocks: 11
; NumSGPRsForWavesPerEU: 46
; NumVGPRsForWavesPerEU: 90
; Occupancy: 16
; WaveLimiterHint : 1
; COMPUTE_PGM_RSRC2:SCRATCH_EN: 0
; COMPUTE_PGM_RSRC2:USER_SGPR: 2
; COMPUTE_PGM_RSRC2:TRAP_HANDLER: 0
; COMPUTE_PGM_RSRC2:TGID_X_EN: 1
; COMPUTE_PGM_RSRC2:TGID_Y_EN: 1
; COMPUTE_PGM_RSRC2:TGID_Z_EN: 1
; COMPUTE_PGM_RSRC2:TIDIG_COMP_CNT: 1
	.section	.text._ZN12_GLOBAL__N_127rocblas_gemm_batched_kernelIdLi16ELi16ELi64ELi64ELi4ELi64ELi4ELi4ELi64ELc84ELc67EKdS1_dEEvlllT_PT11_llS4_llS2_PT12_llPT13_lli,"axG",@progbits,_ZN12_GLOBAL__N_127rocblas_gemm_batched_kernelIdLi16ELi16ELi64ELi64ELi4ELi64ELi4ELi4ELi64ELc84ELc67EKdS1_dEEvlllT_PT11_llS4_llS2_PT12_llPT13_lli,comdat
	.globl	_ZN12_GLOBAL__N_127rocblas_gemm_batched_kernelIdLi16ELi16ELi64ELi64ELi4ELi64ELi4ELi4ELi64ELc84ELc67EKdS1_dEEvlllT_PT11_llS4_llS2_PT12_llPT13_lli ; -- Begin function _ZN12_GLOBAL__N_127rocblas_gemm_batched_kernelIdLi16ELi16ELi64ELi64ELi4ELi64ELi4ELi4ELi64ELc84ELc67EKdS1_dEEvlllT_PT11_llS4_llS2_PT12_llPT13_lli
	.p2align	8
	.type	_ZN12_GLOBAL__N_127rocblas_gemm_batched_kernelIdLi16ELi16ELi64ELi64ELi4ELi64ELi4ELi4ELi64ELc84ELc67EKdS1_dEEvlllT_PT11_llS4_llS2_PT12_llPT13_lli,@function
_ZN12_GLOBAL__N_127rocblas_gemm_batched_kernelIdLi16ELi16ELi64ELi64ELi4ELi64ELi4ELi4ELi64ELc84ELc67EKdS1_dEEvlllT_PT11_llS4_llS2_PT12_llPT13_lli: ; @_ZN12_GLOBAL__N_127rocblas_gemm_batched_kernelIdLi16ELi16ELi64ELi64ELi4ELi64ELi4ELi4ELi64ELc84ELc67EKdS1_dEEvlllT_PT11_llS4_llS2_PT12_llPT13_lli
; %bb.0:
	s_load_b32 s28, s[0:1], 0x88
	s_lshr_b32 s2, ttmp7, 16
	s_wait_kmcnt 0x0
	s_cmp_ge_i32 s2, s28
	s_cbranch_scc1 .LBB68_11
; %bb.1:
	s_clause 0x2
	s_load_b256 s[20:27], s[0:1], 0x70
	s_load_b512 s[4:19], s[0:1], 0x10
	s_load_b256 s[36:43], s[0:1], 0x50
	v_dual_mov_b32 v1, 0 :: v_dual_and_b32 v8, 0x3ff, v0
	v_bfe_u32 v6, v0, 10, 10
	v_and_b32_e32 v9, 3, v0
	s_lshl_b32 s0, ttmp7, 6
	s_mov_b32 s30, ttmp9
	s_and_b32 s0, s0, 0x3fffc0
	v_lshl_add_u32 v2, v6, 4, v8
	v_add_nc_u32_e32 v7, s0, v6
	v_lshlrev_b32_e32 v3, 3, v9
	v_lshl_add_u32 v47, v6, 5, 0x800
	s_ashr_i32 s31, ttmp9, 31
	v_lshrrev_b32_e32 v0, 2, v2
	v_and_b32_e32 v10, 63, v2
	v_lshrrev_b32_e32 v12, 6, v2
	s_wait_kmcnt 0x0
	s_lshl_b64 s[26:27], s[30:31], 6
	v_lshlrev_b32_e32 v44, 3, v8
	v_mad_co_u64_u32 v[4:5], null, v7, s22, 0
	v_lshl_or_b32 v13, v0, 5, v3
	v_mad_co_u64_u32 v[2:3], null, v7, s40, 0
	v_mad_co_u64_u32 v[0:1], null, s16, v9, v[0:1]
	v_cmp_eq_f64_e64 s1, s[36:37], 0
	v_mad_co_u64_u32 v[5:6], null, v7, s23, v[5:6]
	v_add_nc_u32_e32 v46, 0x800, v13
	v_mad_co_u64_u32 v[6:7], null, v7, s41, v[3:4]
	v_add_co_u32 v0, vcc_lo, v0, s0
	s_mul_i32 s0, s10, s27
	v_add_co_u32 v7, s29, s26, v8
	s_delay_alu instid0(VALU_DEP_1)
	v_add_co_ci_u32_e64 v8, null, s27, 0, s29
	v_mov_b32_e32 v3, v6
	v_lshlrev_b32_e32 v11, 3, v10
	v_lshlrev_b64_e32 v[4:5], 3, v[4:5]
	s_lshl_b64 s[22:23], s[22:23], 4
	s_lshl_b64 s[30:31], s[40:41], 4
	s_mov_b32 s3, 0
	v_lshl_or_b32 v45, v12, 9, v11
	v_or_b32_e32 v11, s26, v10
	v_mad_co_u64_u32 v[9:10], null, s17, v9, v[1:2]
	v_lshlrev_b64_e32 v[2:3], 3, v[2:3]
	s_delay_alu instid0(VALU_DEP_3)
	v_mul_lo_u32 v6, s11, v11
	v_mad_co_u64_u32 v[10:11], null, s10, v11, 0
	s_lshl_b64 s[10:11], s[18:19], 3
	v_add_co_ci_u32_e64 v1, null, 0, v9, vcc_lo
	v_add_co_u32 v48, vcc_lo, s38, v2
	s_wait_alu 0xfffd
	v_add_co_ci_u32_e64 v49, null, s39, v3, vcc_lo
	s_wait_alu 0xfffe
	v_add3_u32 v11, v11, s0, v6
	v_lshlrev_b64_e32 v[0:1], 3, v[0:1]
	v_lshlrev_b32_e32 v6, 3, v12
	v_cmp_gt_i64_e64 s0, s[4:5], 0
	s_delay_alu instid0(VALU_DEP_4) | instskip(NEXT) | instid1(VALU_DEP_4)
	v_lshlrev_b64_e32 v[2:3], 3, v[10:11]
	v_add_co_u32 v0, vcc_lo, s14, v0
	s_wait_alu 0xfffd
	v_add_co_ci_u32_e64 v1, null, s15, v1, vcc_lo
	s_delay_alu instid0(VALU_DEP_3)
	v_add_co_u32 v2, vcc_lo, v2, v6
	s_wait_alu 0xfffd
	v_add_co_ci_u32_e64 v3, null, 0, v3, vcc_lo
	s_wait_alu 0xf1ff
	v_cndmask_b32_e64 v9, 0, 1, s0
	v_add_co_u32 v2, vcc_lo, s8, v2
	v_lshlrev_b64_e32 v[6:7], 3, v[7:8]
	s_wait_alu 0xfffd
	v_add_co_ci_u32_e64 v3, null, s9, v3, vcc_lo
	v_cmp_ne_u32_e64 s0, 1, v9
	s_lshl_b64 s[14:15], s[16:17], 5
	s_lshl_b64 s[8:9], s[12:13], 3
	;; [unrolled: 1-line block ×4, first 2 shown]
	s_branch .LBB68_3
.LBB68_2:                               ;   in Loop: Header=BB68_3 Depth=1
	s_add_co_i32 s2, s2, 0x10000
	s_wait_alu 0xfffe
	s_cmp_lt_i32 s2, s28
	s_cbranch_scc0 .LBB68_11
.LBB68_3:                               ; =>This Loop Header: Depth=1
                                        ;     Child Loop BB68_5 Depth 2
	s_and_b32 vcc_lo, exec_lo, s0
	s_wait_alu 0xfffe
	s_cbranch_vccnz .LBB68_6
; %bb.4:                                ;   in Loop: Header=BB68_3 Depth=1
	v_mad_co_u64_u32 v[40:41], null, s10, s2, v[0:1]
	v_mad_co_u64_u32 v[42:43], null, s8, s2, v[2:3]
	v_mov_b32_e32 v16, 0
	v_mov_b32_e32 v24, 0
	;; [unrolled: 1-line block ×4, first 2 shown]
	v_dual_mov_b32 v22, v41 :: v_dual_mov_b32 v17, 0
	v_dual_mov_b32 v28, v43 :: v_dual_mov_b32 v25, 0
	;; [unrolled: 1-line block ×3, first 2 shown]
	s_delay_alu instid0(VALU_DEP_3) | instskip(NEXT) | instid1(VALU_DEP_3)
	v_mad_co_u64_u32 v[30:31], null, s11, s2, v[22:23]
	v_mad_co_u64_u32 v[50:51], null, s9, s2, v[28:29]
	v_dual_mov_b32 v13, 0 :: v_dual_mov_b32 v14, 0
	v_mov_b32_e32 v18, 0
	v_mov_b32_e32 v20, 0
	;; [unrolled: 1-line block ×3, first 2 shown]
	v_dual_mov_b32 v26, 0 :: v_dual_mov_b32 v41, v30
	v_mov_b32_e32 v28, 0
	v_mov_b32_e32 v30, 0
	;; [unrolled: 1-line block ×5, first 2 shown]
	v_dual_mov_b32 v38, 0 :: v_dual_mov_b32 v43, v50
	v_mov_b32_e32 v11, 0
	v_mov_b32_e32 v15, 0
	;; [unrolled: 1-line block ×12, first 2 shown]
	s_mov_b64 s[18:19], 0
.LBB68_5:                               ;   Parent Loop BB68_3 Depth=1
                                        ; =>  This Inner Loop Header: Depth=2
	global_load_b64 v[50:51], v[42:43], off
	global_load_b64 v[52:53], v[40:41], off
	s_wait_alu 0xfffe
	s_add_nc_u64 s[18:19], s[18:19], 4
	v_add_co_u32 v40, vcc_lo, v40, s14
	s_wait_alu 0xfffe
	v_cmp_lt_i64_e64 s22, s[18:19], s[4:5]
	s_wait_alu 0xfffd
	v_add_co_ci_u32_e64 v41, null, s15, v41, vcc_lo
	v_add_co_u32 v42, vcc_lo, v42, 32
	s_wait_alu 0xfffd
	v_add_co_ci_u32_e64 v43, null, 0, v43, vcc_lo
	s_and_b32 vcc_lo, exec_lo, s22
	s_wait_loadcnt 0x1
	ds_store_b64 v45, v[50:51]
	s_wait_loadcnt 0x0
	ds_store_b64 v46, v[52:53]
	s_wait_dscnt 0x0
	s_barrier_signal -1
	s_barrier_wait -1
	global_inv scope:SCOPE_SE
	ds_load_b128 v[50:53], v47
	ds_load_2addr_b64 v[54:57], v44 offset1:16
	ds_load_2addr_b64 v[58:61], v44 offset0:32 offset1:48
	ds_load_b128 v[62:65], v47 offset:512
	ds_load_b128 v[66:69], v47 offset:1024
	;; [unrolled: 1-line block ×7, first 2 shown]
	s_wait_dscnt 0x8
	v_fma_f64 v[38:39], v[54:55], v[50:51], v[38:39]
	v_fma_f64 v[36:37], v[56:57], v[50:51], v[36:37]
	s_wait_dscnt 0x7
	v_fma_f64 v[34:35], v[58:59], v[50:51], v[34:35]
	v_fma_f64 v[32:33], v[60:61], v[50:51], v[32:33]
	s_wait_dscnt 0x6
	v_fma_f64 v[30:31], v[54:55], v[62:63], v[30:31]
	v_fma_f64 v[28:29], v[56:57], v[62:63], v[28:29]
	v_fma_f64 v[26:27], v[58:59], v[62:63], v[26:27]
	v_fma_f64 v[24:25], v[60:61], v[62:63], v[24:25]
	s_wait_dscnt 0x5
	v_fma_f64 v[22:23], v[54:55], v[66:67], v[22:23]
	v_fma_f64 v[20:21], v[56:57], v[66:67], v[20:21]
	;; [unrolled: 1-line block ×4, first 2 shown]
	s_wait_dscnt 0x4
	v_fma_f64 v[50:51], v[54:55], v[70:71], v[14:15]
	v_fma_f64 v[54:55], v[56:57], v[70:71], v[12:13]
	;; [unrolled: 1-line block ×4, first 2 shown]
	ds_load_2addr_b64 v[8:11], v44 offset0:64 offset1:80
	ds_load_2addr_b64 v[12:15], v44 offset0:96 offset1:112
	s_wait_dscnt 0x1
	v_fma_f64 v[38:39], v[8:9], v[52:53], v[38:39]
	v_fma_f64 v[36:37], v[10:11], v[52:53], v[36:37]
	s_wait_dscnt 0x0
	v_fma_f64 v[34:35], v[12:13], v[52:53], v[34:35]
	v_fma_f64 v[32:33], v[14:15], v[52:53], v[32:33]
	;; [unrolled: 1-line block ×14, first 2 shown]
	ds_load_2addr_b64 v[8:11], v44 offset0:128 offset1:144
	ds_load_2addr_b64 v[12:15], v44 offset0:160 offset1:176
	s_wait_dscnt 0x1
	v_fma_f64 v[38:39], v[8:9], v[74:75], v[38:39]
	v_fma_f64 v[36:37], v[10:11], v[74:75], v[36:37]
	s_wait_dscnt 0x0
	v_fma_f64 v[34:35], v[12:13], v[74:75], v[34:35]
	v_fma_f64 v[32:33], v[14:15], v[74:75], v[32:33]
	;; [unrolled: 1-line block ×14, first 2 shown]
	ds_load_2addr_b64 v[8:11], v44 offset0:192 offset1:208
	ds_load_2addr_b64 v[50:53], v44 offset0:224 offset1:240
	s_wait_loadcnt_dscnt 0x0
	s_barrier_signal -1
	s_barrier_wait -1
	global_inv scope:SCOPE_SE
	v_fma_f64 v[38:39], v[8:9], v[76:77], v[38:39]
	v_fma_f64 v[36:37], v[10:11], v[76:77], v[36:37]
	;; [unrolled: 1-line block ×16, first 2 shown]
	s_wait_alu 0xfffe
	s_cbranch_vccnz .LBB68_5
	s_branch .LBB68_7
.LBB68_6:                               ;   in Loop: Header=BB68_3 Depth=1
	v_mov_b32_e32 v38, 0
	v_mov_b32_e32 v34, 0
	;; [unrolled: 1-line block ×7, first 2 shown]
	v_dual_mov_b32 v10, 0 :: v_dual_mov_b32 v39, 0
	v_dual_mov_b32 v36, 0 :: v_dual_mov_b32 v35, 0
	;; [unrolled: 1-line block ×9, first 2 shown]
	v_mov_b32_e32 v33, 0
	v_mov_b32_e32 v29, 0
	;; [unrolled: 1-line block ×7, first 2 shown]
.LBB68_7:                               ;   in Loop: Header=BB68_3 Depth=1
	s_mul_u64 s[18:19], s[24:25], s[2:3]
	s_and_not1_b32 vcc_lo, exec_lo, s1
	s_wait_alu 0xfffe
	s_lshl_b64 s[18:19], s[18:19], 3
	s_wait_alu 0xfffe
	s_add_nc_u64 s[18:19], s[20:21], s[18:19]
	s_cbranch_vccnz .LBB68_9
; %bb.8:                                ;   in Loop: Header=BB68_3 Depth=1
	v_mul_f64_e32 v[40:41], s[6:7], v[38:39]
	v_mul_f64_e32 v[42:43], s[6:7], v[36:37]
	;; [unrolled: 1-line block ×16, first 2 shown]
	s_wait_alu 0xfffe
	v_add_co_u32 v78, vcc_lo, s18, v4
	s_wait_alu 0xfffd
	v_add_co_ci_u32_e64 v79, null, s19, v5, vcc_lo
	s_delay_alu instid0(VALU_DEP_2) | instskip(SKIP_1) | instid1(VALU_DEP_2)
	v_add_co_u32 v82, vcc_lo, v78, s16
	s_wait_alu 0xfffd
	v_add_co_ci_u32_e64 v83, null, s17, v79, vcc_lo
	v_add_co_u32 v78, vcc_lo, v78, v6
	s_wait_alu 0xfffd
	v_add_co_ci_u32_e64 v79, null, v79, v7, vcc_lo
	;; [unrolled: 3-line block ×3, first 2 shown]
	s_clause 0x3
	global_store_b64 v[78:79], v[40:41], off
	global_store_b64 v[78:79], v[42:43], off offset:128
	global_store_b64 v[78:79], v[50:51], off offset:256
	;; [unrolled: 1-line block ×3, first 2 shown]
	v_add_co_u32 v40, vcc_lo, v82, s16
	s_wait_alu 0xfffd
	v_add_co_ci_u32_e64 v41, null, s17, v83, vcc_lo
	s_clause 0x3
	global_store_b64 v[80:81], v[54:55], off
	global_store_b64 v[80:81], v[56:57], off offset:128
	global_store_b64 v[80:81], v[58:59], off offset:256
	;; [unrolled: 1-line block ×3, first 2 shown]
	v_add_co_u32 v42, vcc_lo, v40, s16
	s_wait_alu 0xfffd
	v_add_co_ci_u32_e64 v43, null, s17, v41, vcc_lo
	v_add_co_u32 v40, vcc_lo, v40, v6
	s_wait_alu 0xfffd
	v_add_co_ci_u32_e64 v41, null, v41, v7, vcc_lo
	;; [unrolled: 3-line block ×3, first 2 shown]
	s_clause 0x7
	global_store_b64 v[40:41], v[62:63], off
	global_store_b64 v[40:41], v[64:65], off offset:128
	global_store_b64 v[40:41], v[66:67], off offset:256
	;; [unrolled: 1-line block ×3, first 2 shown]
	global_store_b64 v[42:43], v[70:71], off
	global_store_b64 v[42:43], v[72:73], off offset:128
	global_store_b64 v[42:43], v[74:75], off offset:256
	;; [unrolled: 1-line block ×3, first 2 shown]
	s_cbranch_execnz .LBB68_2
	s_branch .LBB68_10
.LBB68_9:                               ;   in Loop: Header=BB68_3 Depth=1
.LBB68_10:                              ;   in Loop: Header=BB68_3 Depth=1
	s_mul_u64 s[22:23], s[42:43], s[2:3]
	s_wait_alu 0xfffe
	s_lshl_b64 s[22:23], s[22:23], 3
	s_wait_alu 0xfffe
	v_add_co_u32 v50, vcc_lo, v48, s22
	s_wait_alu 0xfffd
	v_add_co_ci_u32_e64 v51, null, s23, v49, vcc_lo
	s_delay_alu instid0(VALU_DEP_2) | instskip(SKIP_1) | instid1(VALU_DEP_2)
	v_add_co_u32 v40, vcc_lo, v50, v6
	s_wait_alu 0xfffd
	v_add_co_ci_u32_e64 v41, null, v51, v7, vcc_lo
	v_add_co_u32 v52, vcc_lo, s18, v4
	s_wait_alu 0xfffd
	v_add_co_ci_u32_e64 v53, null, s19, v5, vcc_lo
	global_load_b64 v[42:43], v[40:41], off
	s_wait_loadcnt 0x0
	v_mul_f64_e32 v[42:43], s[36:37], v[42:43]
	s_delay_alu instid0(VALU_DEP_1)
	v_fma_f64 v[38:39], s[6:7], v[38:39], v[42:43]
	v_add_co_u32 v42, vcc_lo, v52, v6
	s_wait_alu 0xfffd
	v_add_co_ci_u32_e64 v43, null, v53, v7, vcc_lo
	global_store_b64 v[42:43], v[38:39], off
	global_load_b64 v[38:39], v[40:41], off offset:128
	s_wait_loadcnt 0x0
	v_mul_f64_e32 v[38:39], s[36:37], v[38:39]
	s_delay_alu instid0(VALU_DEP_1) | instskip(SKIP_4) | instid1(VALU_DEP_1)
	v_fma_f64 v[36:37], s[6:7], v[36:37], v[38:39]
	global_store_b64 v[42:43], v[36:37], off offset:128
	global_load_b64 v[36:37], v[40:41], off offset:256
	s_wait_loadcnt 0x0
	v_mul_f64_e32 v[36:37], s[36:37], v[36:37]
	v_fma_f64 v[34:35], s[6:7], v[34:35], v[36:37]
	v_add_co_u32 v36, vcc_lo, v50, s12
	s_wait_alu 0xfffd
	v_add_co_ci_u32_e64 v37, null, s13, v51, vcc_lo
	global_store_b64 v[42:43], v[34:35], off offset:256
	global_load_b64 v[34:35], v[40:41], off offset:384
	s_wait_loadcnt 0x0
	v_mul_f64_e32 v[34:35], s[36:37], v[34:35]
	s_delay_alu instid0(VALU_DEP_1)
	v_fma_f64 v[32:33], s[6:7], v[32:33], v[34:35]
	v_add_co_u32 v34, vcc_lo, v36, v6
	s_wait_alu 0xfffd
	v_add_co_ci_u32_e64 v35, null, v37, v7, vcc_lo
	v_add_co_u32 v38, vcc_lo, v52, s16
	s_wait_alu 0xfffd
	v_add_co_ci_u32_e64 v39, null, s17, v53, vcc_lo
	global_store_b64 v[42:43], v[32:33], off offset:384
	global_load_b64 v[32:33], v[34:35], off
	s_wait_loadcnt 0x0
	v_mul_f64_e32 v[32:33], s[36:37], v[32:33]
	s_delay_alu instid0(VALU_DEP_1)
	v_fma_f64 v[30:31], s[6:7], v[30:31], v[32:33]
	v_add_co_u32 v32, vcc_lo, v38, v6
	s_wait_alu 0xfffd
	v_add_co_ci_u32_e64 v33, null, v39, v7, vcc_lo
	global_store_b64 v[32:33], v[30:31], off
	global_load_b64 v[30:31], v[34:35], off offset:128
	s_wait_loadcnt 0x0
	v_mul_f64_e32 v[30:31], s[36:37], v[30:31]
	s_delay_alu instid0(VALU_DEP_1) | instskip(SKIP_4) | instid1(VALU_DEP_1)
	v_fma_f64 v[28:29], s[6:7], v[28:29], v[30:31]
	global_store_b64 v[32:33], v[28:29], off offset:128
	global_load_b64 v[28:29], v[34:35], off offset:256
	s_wait_loadcnt 0x0
	v_mul_f64_e32 v[28:29], s[36:37], v[28:29]
	v_fma_f64 v[26:27], s[6:7], v[26:27], v[28:29]
	v_add_co_u32 v28, vcc_lo, v36, s12
	s_wait_alu 0xfffd
	v_add_co_ci_u32_e64 v29, null, s13, v37, vcc_lo
	global_store_b64 v[32:33], v[26:27], off offset:256
	global_load_b64 v[26:27], v[34:35], off offset:384
	s_wait_loadcnt 0x0
	v_mul_f64_e32 v[26:27], s[36:37], v[26:27]
	s_delay_alu instid0(VALU_DEP_1)
	v_fma_f64 v[24:25], s[6:7], v[24:25], v[26:27]
	v_add_co_u32 v26, vcc_lo, v28, v6
	s_wait_alu 0xfffd
	v_add_co_ci_u32_e64 v27, null, v29, v7, vcc_lo
	v_add_co_u32 v30, vcc_lo, v38, s16
	s_wait_alu 0xfffd
	v_add_co_ci_u32_e64 v31, null, s17, v39, vcc_lo
	global_store_b64 v[32:33], v[24:25], off offset:384
	global_load_b64 v[24:25], v[26:27], off
	s_wait_loadcnt 0x0
	v_mul_f64_e32 v[24:25], s[36:37], v[24:25]
	s_delay_alu instid0(VALU_DEP_1)
	v_fma_f64 v[22:23], s[6:7], v[22:23], v[24:25]
	v_add_co_u32 v24, vcc_lo, v30, v6
	s_wait_alu 0xfffd
	v_add_co_ci_u32_e64 v25, null, v31, v7, vcc_lo
	global_store_b64 v[24:25], v[22:23], off
	global_load_b64 v[22:23], v[26:27], off offset:128
	s_wait_loadcnt 0x0
	v_mul_f64_e32 v[22:23], s[36:37], v[22:23]
	s_delay_alu instid0(VALU_DEP_1) | instskip(SKIP_4) | instid1(VALU_DEP_1)
	v_fma_f64 v[20:21], s[6:7], v[20:21], v[22:23]
	global_store_b64 v[24:25], v[20:21], off offset:128
	global_load_b64 v[20:21], v[26:27], off offset:256
	s_wait_loadcnt 0x0
	v_mul_f64_e32 v[20:21], s[36:37], v[20:21]
	v_fma_f64 v[18:19], s[6:7], v[18:19], v[20:21]
	global_store_b64 v[24:25], v[18:19], off offset:256
	global_load_b64 v[18:19], v[26:27], off offset:384
	s_wait_loadcnt 0x0
	v_mul_f64_e32 v[18:19], s[36:37], v[18:19]
	s_delay_alu instid0(VALU_DEP_1) | instskip(SKIP_3) | instid1(VALU_DEP_2)
	v_fma_f64 v[16:17], s[6:7], v[16:17], v[18:19]
	v_add_co_u32 v18, vcc_lo, v28, s12
	s_wait_alu 0xfffd
	v_add_co_ci_u32_e64 v19, null, s13, v29, vcc_lo
	v_add_co_u32 v18, vcc_lo, v18, v6
	s_wait_alu 0xfffd
	s_delay_alu instid0(VALU_DEP_2) | instskip(SKIP_4) | instid1(VALU_DEP_1)
	v_add_co_ci_u32_e64 v19, null, v19, v7, vcc_lo
	global_store_b64 v[24:25], v[16:17], off offset:384
	global_load_b64 v[16:17], v[18:19], off
	s_wait_loadcnt 0x0
	v_mul_f64_e32 v[16:17], s[36:37], v[16:17]
	v_fma_f64 v[14:15], s[6:7], v[14:15], v[16:17]
	v_add_co_u32 v16, vcc_lo, v30, s16
	s_wait_alu 0xfffd
	v_add_co_ci_u32_e64 v17, null, s17, v31, vcc_lo
	s_delay_alu instid0(VALU_DEP_2) | instskip(SKIP_1) | instid1(VALU_DEP_2)
	v_add_co_u32 v16, vcc_lo, v16, v6
	s_wait_alu 0xfffd
	v_add_co_ci_u32_e64 v17, null, v17, v7, vcc_lo
	global_store_b64 v[16:17], v[14:15], off
	global_load_b64 v[14:15], v[18:19], off offset:128
	s_wait_loadcnt 0x0
	v_mul_f64_e32 v[14:15], s[36:37], v[14:15]
	s_delay_alu instid0(VALU_DEP_1) | instskip(SKIP_4) | instid1(VALU_DEP_1)
	v_fma_f64 v[12:13], s[6:7], v[12:13], v[14:15]
	global_store_b64 v[16:17], v[12:13], off offset:128
	global_load_b64 v[12:13], v[18:19], off offset:256
	s_wait_loadcnt 0x0
	v_mul_f64_e32 v[12:13], s[36:37], v[12:13]
	v_fma_f64 v[10:11], s[6:7], v[10:11], v[12:13]
	global_store_b64 v[16:17], v[10:11], off offset:256
	global_load_b64 v[10:11], v[18:19], off offset:384
	s_wait_loadcnt 0x0
	v_mul_f64_e32 v[10:11], s[36:37], v[10:11]
	s_delay_alu instid0(VALU_DEP_1)
	v_fma_f64 v[8:9], s[6:7], v[8:9], v[10:11]
	global_store_b64 v[16:17], v[8:9], off offset:384
	s_branch .LBB68_2
.LBB68_11:
	s_endpgm
	.section	.rodata,"a",@progbits
	.p2align	6, 0x0
	.amdhsa_kernel _ZN12_GLOBAL__N_127rocblas_gemm_batched_kernelIdLi16ELi16ELi64ELi64ELi4ELi64ELi4ELi4ELi64ELc84ELc67EKdS1_dEEvlllT_PT11_llS4_llS2_PT12_llPT13_lli
		.amdhsa_group_segment_fixed_size 4096
		.amdhsa_private_segment_fixed_size 0
		.amdhsa_kernarg_size 140
		.amdhsa_user_sgpr_count 2
		.amdhsa_user_sgpr_dispatch_ptr 0
		.amdhsa_user_sgpr_queue_ptr 0
		.amdhsa_user_sgpr_kernarg_segment_ptr 1
		.amdhsa_user_sgpr_dispatch_id 0
		.amdhsa_user_sgpr_private_segment_size 0
		.amdhsa_wavefront_size32 1
		.amdhsa_uses_dynamic_stack 0
		.amdhsa_enable_private_segment 0
		.amdhsa_system_sgpr_workgroup_id_x 1
		.amdhsa_system_sgpr_workgroup_id_y 1
		.amdhsa_system_sgpr_workgroup_id_z 1
		.amdhsa_system_sgpr_workgroup_info 0
		.amdhsa_system_vgpr_workitem_id 1
		.amdhsa_next_free_vgpr 90
		.amdhsa_next_free_sgpr 44
		.amdhsa_reserve_vcc 1
		.amdhsa_float_round_mode_32 0
		.amdhsa_float_round_mode_16_64 0
		.amdhsa_float_denorm_mode_32 3
		.amdhsa_float_denorm_mode_16_64 3
		.amdhsa_fp16_overflow 0
		.amdhsa_workgroup_processor_mode 1
		.amdhsa_memory_ordered 1
		.amdhsa_forward_progress 1
		.amdhsa_inst_pref_size 25
		.amdhsa_round_robin_scheduling 0
		.amdhsa_exception_fp_ieee_invalid_op 0
		.amdhsa_exception_fp_denorm_src 0
		.amdhsa_exception_fp_ieee_div_zero 0
		.amdhsa_exception_fp_ieee_overflow 0
		.amdhsa_exception_fp_ieee_underflow 0
		.amdhsa_exception_fp_ieee_inexact 0
		.amdhsa_exception_int_div_zero 0
	.end_amdhsa_kernel
	.section	.text._ZN12_GLOBAL__N_127rocblas_gemm_batched_kernelIdLi16ELi16ELi64ELi64ELi4ELi64ELi4ELi4ELi64ELc84ELc67EKdS1_dEEvlllT_PT11_llS4_llS2_PT12_llPT13_lli,"axG",@progbits,_ZN12_GLOBAL__N_127rocblas_gemm_batched_kernelIdLi16ELi16ELi64ELi64ELi4ELi64ELi4ELi4ELi64ELc84ELc67EKdS1_dEEvlllT_PT11_llS4_llS2_PT12_llPT13_lli,comdat
.Lfunc_end68:
	.size	_ZN12_GLOBAL__N_127rocblas_gemm_batched_kernelIdLi16ELi16ELi64ELi64ELi4ELi64ELi4ELi4ELi64ELc84ELc67EKdS1_dEEvlllT_PT11_llS4_llS2_PT12_llPT13_lli, .Lfunc_end68-_ZN12_GLOBAL__N_127rocblas_gemm_batched_kernelIdLi16ELi16ELi64ELi64ELi4ELi64ELi4ELi4ELi64ELc84ELc67EKdS1_dEEvlllT_PT11_llS4_llS2_PT12_llPT13_lli
                                        ; -- End function
	.set _ZN12_GLOBAL__N_127rocblas_gemm_batched_kernelIdLi16ELi16ELi64ELi64ELi4ELi64ELi4ELi4ELi64ELc84ELc67EKdS1_dEEvlllT_PT11_llS4_llS2_PT12_llPT13_lli.num_vgpr, 90
	.set _ZN12_GLOBAL__N_127rocblas_gemm_batched_kernelIdLi16ELi16ELi64ELi64ELi4ELi64ELi4ELi4ELi64ELc84ELc67EKdS1_dEEvlllT_PT11_llS4_llS2_PT12_llPT13_lli.num_agpr, 0
	.set _ZN12_GLOBAL__N_127rocblas_gemm_batched_kernelIdLi16ELi16ELi64ELi64ELi4ELi64ELi4ELi4ELi64ELc84ELc67EKdS1_dEEvlllT_PT11_llS4_llS2_PT12_llPT13_lli.numbered_sgpr, 44
	.set _ZN12_GLOBAL__N_127rocblas_gemm_batched_kernelIdLi16ELi16ELi64ELi64ELi4ELi64ELi4ELi4ELi64ELc84ELc67EKdS1_dEEvlllT_PT11_llS4_llS2_PT12_llPT13_lli.num_named_barrier, 0
	.set _ZN12_GLOBAL__N_127rocblas_gemm_batched_kernelIdLi16ELi16ELi64ELi64ELi4ELi64ELi4ELi4ELi64ELc84ELc67EKdS1_dEEvlllT_PT11_llS4_llS2_PT12_llPT13_lli.private_seg_size, 0
	.set _ZN12_GLOBAL__N_127rocblas_gemm_batched_kernelIdLi16ELi16ELi64ELi64ELi4ELi64ELi4ELi4ELi64ELc84ELc67EKdS1_dEEvlllT_PT11_llS4_llS2_PT12_llPT13_lli.uses_vcc, 1
	.set _ZN12_GLOBAL__N_127rocblas_gemm_batched_kernelIdLi16ELi16ELi64ELi64ELi4ELi64ELi4ELi4ELi64ELc84ELc67EKdS1_dEEvlllT_PT11_llS4_llS2_PT12_llPT13_lli.uses_flat_scratch, 0
	.set _ZN12_GLOBAL__N_127rocblas_gemm_batched_kernelIdLi16ELi16ELi64ELi64ELi4ELi64ELi4ELi4ELi64ELc84ELc67EKdS1_dEEvlllT_PT11_llS4_llS2_PT12_llPT13_lli.has_dyn_sized_stack, 0
	.set _ZN12_GLOBAL__N_127rocblas_gemm_batched_kernelIdLi16ELi16ELi64ELi64ELi4ELi64ELi4ELi4ELi64ELc84ELc67EKdS1_dEEvlllT_PT11_llS4_llS2_PT12_llPT13_lli.has_recursion, 0
	.set _ZN12_GLOBAL__N_127rocblas_gemm_batched_kernelIdLi16ELi16ELi64ELi64ELi4ELi64ELi4ELi4ELi64ELc84ELc67EKdS1_dEEvlllT_PT11_llS4_llS2_PT12_llPT13_lli.has_indirect_call, 0
	.section	.AMDGPU.csdata,"",@progbits
; Kernel info:
; codeLenInByte = 3192
; TotalNumSgprs: 46
; NumVgprs: 90
; ScratchSize: 0
; MemoryBound: 0
; FloatMode: 240
; IeeeMode: 1
; LDSByteSize: 4096 bytes/workgroup (compile time only)
; SGPRBlocks: 0
; VGPRBlocks: 11
; NumSGPRsForWavesPerEU: 46
; NumVGPRsForWavesPerEU: 90
; Occupancy: 16
; WaveLimiterHint : 1
; COMPUTE_PGM_RSRC2:SCRATCH_EN: 0
; COMPUTE_PGM_RSRC2:USER_SGPR: 2
; COMPUTE_PGM_RSRC2:TRAP_HANDLER: 0
; COMPUTE_PGM_RSRC2:TGID_X_EN: 1
; COMPUTE_PGM_RSRC2:TGID_Y_EN: 1
; COMPUTE_PGM_RSRC2:TGID_Z_EN: 1
; COMPUTE_PGM_RSRC2:TIDIG_COMP_CNT: 1
	.section	.text._ZN12_GLOBAL__N_127rocblas_gemm_batched_kernelIdLi16ELi16ELi32ELi32ELi8ELi32ELi8ELi8ELi32ELc78ELc78EKdS1_dEEvlllT_PT11_llS4_llS2_PT12_llPT13_lli,"axG",@progbits,_ZN12_GLOBAL__N_127rocblas_gemm_batched_kernelIdLi16ELi16ELi32ELi32ELi8ELi32ELi8ELi8ELi32ELc78ELc78EKdS1_dEEvlllT_PT11_llS4_llS2_PT12_llPT13_lli,comdat
	.globl	_ZN12_GLOBAL__N_127rocblas_gemm_batched_kernelIdLi16ELi16ELi32ELi32ELi8ELi32ELi8ELi8ELi32ELc78ELc78EKdS1_dEEvlllT_PT11_llS4_llS2_PT12_llPT13_lli ; -- Begin function _ZN12_GLOBAL__N_127rocblas_gemm_batched_kernelIdLi16ELi16ELi32ELi32ELi8ELi32ELi8ELi8ELi32ELc78ELc78EKdS1_dEEvlllT_PT11_llS4_llS2_PT12_llPT13_lli
	.p2align	8
	.type	_ZN12_GLOBAL__N_127rocblas_gemm_batched_kernelIdLi16ELi16ELi32ELi32ELi8ELi32ELi8ELi8ELi32ELc78ELc78EKdS1_dEEvlllT_PT11_llS4_llS2_PT12_llPT13_lli,@function
_ZN12_GLOBAL__N_127rocblas_gemm_batched_kernelIdLi16ELi16ELi32ELi32ELi8ELi32ELi8ELi8ELi32ELc78ELc78EKdS1_dEEvlllT_PT11_llS4_llS2_PT12_llPT13_lli: ; @_ZN12_GLOBAL__N_127rocblas_gemm_batched_kernelIdLi16ELi16ELi32ELi32ELi8ELi32ELi8ELi8ELi32ELc78ELc78EKdS1_dEEvlllT_PT11_llS4_llS2_PT12_llPT13_lli
; %bb.0:
	s_load_b32 s28, s[0:1], 0x88
	s_lshr_b32 s2, ttmp7, 16
	s_wait_kmcnt 0x0
	s_cmp_ge_i32 s2, s28
	s_cbranch_scc1 .LBB69_11
; %bb.1:
	v_and_b32_e32 v12, 0x3ff, v0
	v_bfe_u32 v6, v0, 10, 10
	s_clause 0x2
	s_load_b512 s[4:19], s[0:1], 0x10
	s_load_b256 s[20:27], s[0:1], 0x50
	s_load_b256 s[36:43], s[0:1], 0x70
	v_lshlrev_b32_e32 v0, 3, v0
	s_lshl_b32 s3, ttmp7, 5
	v_lshl_add_u32 v1, v6, 4, v12
	s_and_b32 s3, s3, 0x1fffe0
	v_lshl_add_u32 v21, v6, 6, 0x800
	v_and_b32_e32 v13, 56, v0
	v_add_nc_u32_e32 v9, s3, v6
	v_lshrrev_b32_e32 v2, 3, v1
	v_and_b32_e32 v14, 31, v1
	v_lshrrev_b32_e32 v15, 5, v1
	s_mov_b32 s30, ttmp9
	s_ashr_i32 s31, ttmp9, 31
	v_add_nc_u32_e32 v11, s3, v2
	v_lshl_or_b32 v8, v2, 6, v13
	v_lshlrev_b32_e32 v7, 3, v14
	s_lshl_b64 s[0:1], s[30:31], 5
	s_mov_b32 s3, 0
	s_wait_kmcnt 0x0
	v_mad_co_u64_u32 v[0:1], null, v9, s24, 0
	v_mad_co_u64_u32 v[2:3], null, s16, v11, 0
	;; [unrolled: 1-line block ×3, first 2 shown]
	v_lshl_or_b32 v22, v15, 8, v7
	v_add_nc_u32_e32 v23, 0x800, v8
	s_delay_alu instid0(VALU_DEP_4)
	v_mad_co_u64_u32 v[6:7], null, v9, s25, v[1:2]
	v_mov_b32_e32 v1, v3
	v_mad_co_u64_u32 v[7:8], null, s10, v15, s[0:1]
	s_lshl_b64 s[24:25], s[24:25], 4
	v_mad_co_u64_u32 v[9:10], null, v9, s39, v[5:6]
	v_mad_co_u64_u32 v[10:11], null, s17, v11, v[1:2]
	v_add_co_u32 v11, s0, s0, v12
	v_lshlrev_b32_e32 v20, 3, v12
	s_wait_alu 0xf1ff
	v_add_co_ci_u32_e64 v12, null, s1, 0, s0
	v_cmp_gt_i64_e64 s0, s[4:5], 0
	v_dual_mov_b32 v1, v6 :: v_dual_mov_b32 v6, v8
	v_mov_b32_e32 v5, v9
	v_mov_b32_e32 v3, v10
	s_lshl_b64 s[16:17], s[38:39], 4
	s_delay_alu instid0(VALU_DEP_3)
	v_lshlrev_b64_e32 v[0:1], 3, v[0:1]
	v_mad_co_u64_u32 v[8:9], null, s11, v15, v[6:7]
	v_cndmask_b32_e64 v6, 0, 1, s0
	v_cmp_eq_f64_e64 s0, s[20:21], 0
	v_lshlrev_b64_e32 v[4:5], 3, v[4:5]
	v_add_co_u32 v24, vcc_lo, s22, v0
	s_delay_alu instid0(VALU_DEP_1)
	v_add_co_ci_u32_e64 v25, null, s23, v1, vcc_lo
	v_lshlrev_b64_e32 v[0:1], 3, v[2:3]
	v_add_co_u32 v2, vcc_lo, v7, v14
	s_wait_alu 0xfffd
	v_add_co_ci_u32_e64 v3, null, 0, v8, vcc_lo
	s_lshl_b64 s[10:11], s[10:11], 6
	v_add_co_u32 v0, vcc_lo, v0, v13
	v_lshlrev_b64_e32 v[2:3], 3, v[2:3]
	s_wait_alu 0xfffd
	v_add_co_ci_u32_e64 v1, null, 0, v1, vcc_lo
	s_delay_alu instid0(VALU_DEP_3)
	v_add_co_u32 v0, vcc_lo, s14, v0
	s_wait_alu 0xfffe
	s_lshl_b64 s[16:17], s[16:17], 3
	s_wait_alu 0xfffd
	v_add_co_ci_u32_e64 v1, null, s15, v1, vcc_lo
	v_add_co_u32 v2, vcc_lo, s8, v2
	s_wait_alu 0xfffd
	v_add_co_ci_u32_e64 v3, null, s9, v3, vcc_lo
	s_lshl_b64 s[14:15], s[18:19], 3
	s_lshl_b64 s[8:9], s[12:13], 3
	;; [unrolled: 1-line block ×3, first 2 shown]
	v_cndmask_b32_e64 v8, 0, 1, s0
	v_cmp_ne_u32_e64 s0, 1, v6
	v_lshlrev_b64_e32 v[6:7], 3, v[11:12]
	s_delay_alu instid0(VALU_DEP_3)
	v_cmp_ne_u32_e64 s1, 1, v8
	s_branch .LBB69_3
.LBB69_2:                               ;   in Loop: Header=BB69_3 Depth=1
	s_add_co_i32 s2, s2, 0x10000
	s_wait_alu 0xfffe
	s_cmp_lt_i32 s2, s28
	s_cbranch_scc0 .LBB69_11
.LBB69_3:                               ; =>This Loop Header: Depth=1
                                        ;     Child Loop BB69_5 Depth 2
	s_delay_alu instid0(VALU_DEP_3)
	s_and_b32 vcc_lo, exec_lo, s0
	s_wait_alu 0xfffe
	s_cbranch_vccnz .LBB69_6
; %bb.4:                                ;   in Loop: Header=BB69_3 Depth=1
	v_mad_co_u64_u32 v[14:15], null, s14, s2, v[0:1]
	v_mad_co_u64_u32 v[16:17], null, s8, s2, v[2:3]
	v_mov_b32_e32 v12, 0
	v_mov_b32_e32 v13, 0
	s_mov_b64 s[18:19], 0
	s_delay_alu instid0(VALU_DEP_3) | instskip(NEXT) | instid1(VALU_DEP_1)
	v_dual_mov_b32 v8, v15 :: v_dual_mov_b32 v9, v17
	v_mad_co_u64_u32 v[17:18], null, s15, s2, v[8:9]
	v_mad_co_u64_u32 v[26:27], null, s9, s2, v[9:10]
	v_mov_b32_e32 v8, 0
	v_dual_mov_b32 v9, 0 :: v_dual_mov_b32 v10, 0
	v_dual_mov_b32 v18, 0 :: v_dual_mov_b32 v11, 0
	v_mov_b32_e32 v19, 0
	v_mov_b32_e32 v15, v17
	;; [unrolled: 1-line block ×3, first 2 shown]
.LBB69_5:                               ;   Parent Loop BB69_3 Depth=1
                                        ; =>  This Inner Loop Header: Depth=2
	global_load_b64 v[26:27], v[16:17], off
	global_load_b64 v[28:29], v[14:15], off
	s_wait_alu 0xfffe
	s_add_nc_u64 s[18:19], s[18:19], 8
	v_add_co_u32 v14, vcc_lo, v14, 64
	s_wait_alu 0xfffe
	v_cmp_lt_i64_e64 s22, s[18:19], s[4:5]
	s_wait_alu 0xfffd
	v_add_co_ci_u32_e64 v15, null, 0, v15, vcc_lo
	v_add_co_u32 v16, vcc_lo, v16, s10
	s_wait_alu 0xfffd
	v_add_co_ci_u32_e64 v17, null, s11, v17, vcc_lo
	s_and_b32 vcc_lo, exec_lo, s22
	s_wait_loadcnt 0x1
	ds_store_b64 v22, v[26:27]
	s_wait_loadcnt 0x0
	ds_store_b64 v23, v[28:29]
	s_wait_dscnt 0x0
	s_barrier_signal -1
	s_barrier_wait -1
	global_inv scope:SCOPE_SE
	ds_load_b128 v[26:29], v21
	ds_load_2addr_b64 v[30:33], v20 offset1:16
	ds_load_b128 v[34:37], v21 offset:1024
	ds_load_b128 v[38:41], v21 offset:16
	;; [unrolled: 1-line block ×3, first 2 shown]
	s_wait_dscnt 0x3
	v_fma_f64 v[18:19], v[30:31], v[26:27], v[18:19]
	v_fma_f64 v[12:13], v[32:33], v[26:27], v[12:13]
	s_wait_dscnt 0x2
	v_fma_f64 v[26:27], v[30:31], v[34:35], v[10:11]
	v_fma_f64 v[30:31], v[32:33], v[34:35], v[8:9]
	ds_load_2addr_b64 v[8:11], v20 offset0:32 offset1:48
	s_wait_dscnt 0x0
	v_fma_f64 v[18:19], v[8:9], v[28:29], v[18:19]
	v_fma_f64 v[12:13], v[10:11], v[28:29], v[12:13]
	v_fma_f64 v[26:27], v[8:9], v[36:37], v[26:27]
	v_fma_f64 v[28:29], v[10:11], v[36:37], v[30:31]
	ds_load_2addr_b64 v[8:11], v20 offset0:64 offset1:80
	s_wait_dscnt 0x0
	v_fma_f64 v[18:19], v[8:9], v[38:39], v[18:19]
	v_fma_f64 v[12:13], v[10:11], v[38:39], v[12:13]
	;; [unrolled: 6-line block ×3, first 2 shown]
	v_fma_f64 v[42:43], v[8:9], v[44:45], v[26:27]
	v_fma_f64 v[44:45], v[10:11], v[44:45], v[28:29]
	ds_load_b128 v[8:11], v21 offset:32
	ds_load_2addr_b64 v[26:29], v20 offset0:128 offset1:144
	ds_load_b128 v[30:33], v21 offset:1056
	ds_load_b128 v[34:37], v21 offset:48
	;; [unrolled: 1-line block ×3, first 2 shown]
	s_wait_dscnt 0x3
	v_fma_f64 v[18:19], v[26:27], v[8:9], v[18:19]
	v_fma_f64 v[8:9], v[28:29], v[8:9], v[12:13]
	s_wait_dscnt 0x2
	v_fma_f64 v[12:13], v[26:27], v[30:31], v[42:43]
	v_fma_f64 v[30:31], v[28:29], v[30:31], v[44:45]
	ds_load_2addr_b64 v[26:29], v20 offset0:160 offset1:176
	s_wait_dscnt 0x0
	v_fma_f64 v[18:19], v[26:27], v[10:11], v[18:19]
	v_fma_f64 v[42:43], v[28:29], v[10:11], v[8:9]
	;; [unrolled: 1-line block ×4, first 2 shown]
	ds_load_2addr_b64 v[8:11], v20 offset0:192 offset1:208
	s_wait_dscnt 0x0
	v_fma_f64 v[18:19], v[8:9], v[34:35], v[18:19]
	v_fma_f64 v[30:31], v[10:11], v[34:35], v[42:43]
	;; [unrolled: 1-line block ×4, first 2 shown]
	ds_load_2addr_b64 v[26:29], v20 offset0:224 offset1:240
	s_wait_loadcnt_dscnt 0x0
	s_barrier_signal -1
	s_barrier_wait -1
	global_inv scope:SCOPE_SE
	v_fma_f64 v[18:19], v[26:27], v[36:37], v[18:19]
	v_fma_f64 v[12:13], v[28:29], v[36:37], v[30:31]
	;; [unrolled: 1-line block ×4, first 2 shown]
	s_wait_alu 0xfffe
	s_cbranch_vccnz .LBB69_5
	s_branch .LBB69_7
.LBB69_6:                               ;   in Loop: Header=BB69_3 Depth=1
	v_mov_b32_e32 v18, 0
	v_dual_mov_b32 v10, 0 :: v_dual_mov_b32 v19, 0
	v_dual_mov_b32 v12, 0 :: v_dual_mov_b32 v11, 0
	;; [unrolled: 1-line block ×3, first 2 shown]
	v_mov_b32_e32 v9, 0
.LBB69_7:                               ;   in Loop: Header=BB69_3 Depth=1
	s_mul_u64 s[18:19], s[40:41], s[2:3]
	s_and_b32 vcc_lo, exec_lo, s1
	s_wait_alu 0xfffe
	s_lshl_b64 s[18:19], s[18:19], 3
	s_wait_alu 0xfffe
	s_add_nc_u64 s[18:19], s[36:37], s[18:19]
	s_cbranch_vccnz .LBB69_9
; %bb.8:                                ;   in Loop: Header=BB69_3 Depth=1
	s_delay_alu instid0(VALU_DEP_4) | instskip(NEXT) | instid1(VALU_DEP_3)
	v_mul_f64_e32 v[14:15], s[6:7], v[18:19]
	v_mul_f64_e32 v[16:17], s[6:7], v[12:13]
	s_delay_alu instid0(VALU_DEP_4) | instskip(NEXT) | instid1(VALU_DEP_4)
	v_mul_f64_e32 v[26:27], s[6:7], v[10:11]
	v_mul_f64_e32 v[28:29], s[6:7], v[8:9]
	s_wait_alu 0xfffe
	v_add_co_u32 v30, vcc_lo, s18, v4
	s_wait_alu 0xfffd
	v_add_co_ci_u32_e64 v31, null, s19, v5, vcc_lo
	s_delay_alu instid0(VALU_DEP_2) | instskip(SKIP_1) | instid1(VALU_DEP_2)
	v_add_co_u32 v32, vcc_lo, v30, s16
	s_wait_alu 0xfffd
	v_add_co_ci_u32_e64 v33, null, s17, v31, vcc_lo
	v_add_co_u32 v30, vcc_lo, v30, v6
	s_wait_alu 0xfffd
	v_add_co_ci_u32_e64 v31, null, v31, v7, vcc_lo
	;; [unrolled: 3-line block ×3, first 2 shown]
	s_clause 0x3
	global_store_b64 v[30:31], v[14:15], off
	global_store_b64 v[30:31], v[16:17], off offset:128
	global_store_b64 v[32:33], v[26:27], off
	global_store_b64 v[32:33], v[28:29], off offset:128
	s_cbranch_execnz .LBB69_2
	s_branch .LBB69_10
.LBB69_9:                               ;   in Loop: Header=BB69_3 Depth=1
.LBB69_10:                              ;   in Loop: Header=BB69_3 Depth=1
	s_mul_u64 s[22:23], s[26:27], s[2:3]
	s_wait_alu 0xfffe
	s_lshl_b64 s[22:23], s[22:23], 3
	s_wait_alu 0xfffe
	v_add_co_u32 v26, vcc_lo, v24, s22
	s_wait_alu 0xfffd
	v_add_co_ci_u32_e64 v27, null, s23, v25, vcc_lo
	s_delay_alu instid0(VALU_DEP_2) | instskip(SKIP_1) | instid1(VALU_DEP_2)
	v_add_co_u32 v14, vcc_lo, v26, v6
	s_wait_alu 0xfffd
	v_add_co_ci_u32_e64 v15, null, v27, v7, vcc_lo
	v_add_co_u32 v28, vcc_lo, s18, v4
	s_wait_alu 0xfffd
	v_add_co_ci_u32_e64 v29, null, s19, v5, vcc_lo
	global_load_b64 v[16:17], v[14:15], off
	s_wait_loadcnt 0x0
	v_mul_f64_e32 v[16:17], s[20:21], v[16:17]
	s_delay_alu instid0(VALU_DEP_1)
	v_fma_f64 v[16:17], s[6:7], v[18:19], v[16:17]
	v_add_co_u32 v18, vcc_lo, v28, v6
	s_wait_alu 0xfffd
	v_add_co_ci_u32_e64 v19, null, v29, v7, vcc_lo
	global_store_b64 v[18:19], v[16:17], off
	global_load_b64 v[14:15], v[14:15], off offset:128
	s_wait_loadcnt 0x0
	v_mul_f64_e32 v[14:15], s[20:21], v[14:15]
	s_delay_alu instid0(VALU_DEP_1) | instskip(SKIP_3) | instid1(VALU_DEP_2)
	v_fma_f64 v[12:13], s[6:7], v[12:13], v[14:15]
	v_add_co_u32 v14, vcc_lo, v26, s12
	s_wait_alu 0xfffd
	v_add_co_ci_u32_e64 v15, null, s13, v27, vcc_lo
	v_add_co_u32 v14, vcc_lo, v14, v6
	s_wait_alu 0xfffd
	s_delay_alu instid0(VALU_DEP_2) | instskip(SKIP_4) | instid1(VALU_DEP_1)
	v_add_co_ci_u32_e64 v15, null, v15, v7, vcc_lo
	global_store_b64 v[18:19], v[12:13], off offset:128
	global_load_b64 v[12:13], v[14:15], off
	s_wait_loadcnt 0x0
	v_mul_f64_e32 v[12:13], s[20:21], v[12:13]
	v_fma_f64 v[10:11], s[6:7], v[10:11], v[12:13]
	v_add_co_u32 v12, vcc_lo, v28, s16
	s_wait_alu 0xfffd
	v_add_co_ci_u32_e64 v13, null, s17, v29, vcc_lo
	s_delay_alu instid0(VALU_DEP_2) | instskip(SKIP_1) | instid1(VALU_DEP_2)
	v_add_co_u32 v12, vcc_lo, v12, v6
	s_wait_alu 0xfffd
	v_add_co_ci_u32_e64 v13, null, v13, v7, vcc_lo
	global_store_b64 v[12:13], v[10:11], off
	global_load_b64 v[10:11], v[14:15], off offset:128
	s_wait_loadcnt 0x0
	v_mul_f64_e32 v[10:11], s[20:21], v[10:11]
	s_delay_alu instid0(VALU_DEP_1)
	v_fma_f64 v[8:9], s[6:7], v[8:9], v[10:11]
	global_store_b64 v[12:13], v[8:9], off offset:128
	s_branch .LBB69_2
.LBB69_11:
	s_endpgm
	.section	.rodata,"a",@progbits
	.p2align	6, 0x0
	.amdhsa_kernel _ZN12_GLOBAL__N_127rocblas_gemm_batched_kernelIdLi16ELi16ELi32ELi32ELi8ELi32ELi8ELi8ELi32ELc78ELc78EKdS1_dEEvlllT_PT11_llS4_llS2_PT12_llPT13_lli
		.amdhsa_group_segment_fixed_size 4096
		.amdhsa_private_segment_fixed_size 0
		.amdhsa_kernarg_size 140
		.amdhsa_user_sgpr_count 2
		.amdhsa_user_sgpr_dispatch_ptr 0
		.amdhsa_user_sgpr_queue_ptr 0
		.amdhsa_user_sgpr_kernarg_segment_ptr 1
		.amdhsa_user_sgpr_dispatch_id 0
		.amdhsa_user_sgpr_private_segment_size 0
		.amdhsa_wavefront_size32 1
		.amdhsa_uses_dynamic_stack 0
		.amdhsa_enable_private_segment 0
		.amdhsa_system_sgpr_workgroup_id_x 1
		.amdhsa_system_sgpr_workgroup_id_y 1
		.amdhsa_system_sgpr_workgroup_id_z 1
		.amdhsa_system_sgpr_workgroup_info 0
		.amdhsa_system_vgpr_workitem_id 1
		.amdhsa_next_free_vgpr 46
		.amdhsa_next_free_sgpr 44
		.amdhsa_reserve_vcc 1
		.amdhsa_float_round_mode_32 0
		.amdhsa_float_round_mode_16_64 0
		.amdhsa_float_denorm_mode_32 3
		.amdhsa_float_denorm_mode_16_64 3
		.amdhsa_fp16_overflow 0
		.amdhsa_workgroup_processor_mode 1
		.amdhsa_memory_ordered 1
		.amdhsa_forward_progress 1
		.amdhsa_inst_pref_size 15
		.amdhsa_round_robin_scheduling 0
		.amdhsa_exception_fp_ieee_invalid_op 0
		.amdhsa_exception_fp_denorm_src 0
		.amdhsa_exception_fp_ieee_div_zero 0
		.amdhsa_exception_fp_ieee_overflow 0
		.amdhsa_exception_fp_ieee_underflow 0
		.amdhsa_exception_fp_ieee_inexact 0
		.amdhsa_exception_int_div_zero 0
	.end_amdhsa_kernel
	.section	.text._ZN12_GLOBAL__N_127rocblas_gemm_batched_kernelIdLi16ELi16ELi32ELi32ELi8ELi32ELi8ELi8ELi32ELc78ELc78EKdS1_dEEvlllT_PT11_llS4_llS2_PT12_llPT13_lli,"axG",@progbits,_ZN12_GLOBAL__N_127rocblas_gemm_batched_kernelIdLi16ELi16ELi32ELi32ELi8ELi32ELi8ELi8ELi32ELc78ELc78EKdS1_dEEvlllT_PT11_llS4_llS2_PT12_llPT13_lli,comdat
.Lfunc_end69:
	.size	_ZN12_GLOBAL__N_127rocblas_gemm_batched_kernelIdLi16ELi16ELi32ELi32ELi8ELi32ELi8ELi8ELi32ELc78ELc78EKdS1_dEEvlllT_PT11_llS4_llS2_PT12_llPT13_lli, .Lfunc_end69-_ZN12_GLOBAL__N_127rocblas_gemm_batched_kernelIdLi16ELi16ELi32ELi32ELi8ELi32ELi8ELi8ELi32ELc78ELc78EKdS1_dEEvlllT_PT11_llS4_llS2_PT12_llPT13_lli
                                        ; -- End function
	.set _ZN12_GLOBAL__N_127rocblas_gemm_batched_kernelIdLi16ELi16ELi32ELi32ELi8ELi32ELi8ELi8ELi32ELc78ELc78EKdS1_dEEvlllT_PT11_llS4_llS2_PT12_llPT13_lli.num_vgpr, 46
	.set _ZN12_GLOBAL__N_127rocblas_gemm_batched_kernelIdLi16ELi16ELi32ELi32ELi8ELi32ELi8ELi8ELi32ELc78ELc78EKdS1_dEEvlllT_PT11_llS4_llS2_PT12_llPT13_lli.num_agpr, 0
	.set _ZN12_GLOBAL__N_127rocblas_gemm_batched_kernelIdLi16ELi16ELi32ELi32ELi8ELi32ELi8ELi8ELi32ELc78ELc78EKdS1_dEEvlllT_PT11_llS4_llS2_PT12_llPT13_lli.numbered_sgpr, 44
	.set _ZN12_GLOBAL__N_127rocblas_gemm_batched_kernelIdLi16ELi16ELi32ELi32ELi8ELi32ELi8ELi8ELi32ELc78ELc78EKdS1_dEEvlllT_PT11_llS4_llS2_PT12_llPT13_lli.num_named_barrier, 0
	.set _ZN12_GLOBAL__N_127rocblas_gemm_batched_kernelIdLi16ELi16ELi32ELi32ELi8ELi32ELi8ELi8ELi32ELc78ELc78EKdS1_dEEvlllT_PT11_llS4_llS2_PT12_llPT13_lli.private_seg_size, 0
	.set _ZN12_GLOBAL__N_127rocblas_gemm_batched_kernelIdLi16ELi16ELi32ELi32ELi8ELi32ELi8ELi8ELi32ELc78ELc78EKdS1_dEEvlllT_PT11_llS4_llS2_PT12_llPT13_lli.uses_vcc, 1
	.set _ZN12_GLOBAL__N_127rocblas_gemm_batched_kernelIdLi16ELi16ELi32ELi32ELi8ELi32ELi8ELi8ELi32ELc78ELc78EKdS1_dEEvlllT_PT11_llS4_llS2_PT12_llPT13_lli.uses_flat_scratch, 0
	.set _ZN12_GLOBAL__N_127rocblas_gemm_batched_kernelIdLi16ELi16ELi32ELi32ELi8ELi32ELi8ELi8ELi32ELc78ELc78EKdS1_dEEvlllT_PT11_llS4_llS2_PT12_llPT13_lli.has_dyn_sized_stack, 0
	.set _ZN12_GLOBAL__N_127rocblas_gemm_batched_kernelIdLi16ELi16ELi32ELi32ELi8ELi32ELi8ELi8ELi32ELc78ELc78EKdS1_dEEvlllT_PT11_llS4_llS2_PT12_llPT13_lli.has_recursion, 0
	.set _ZN12_GLOBAL__N_127rocblas_gemm_batched_kernelIdLi16ELi16ELi32ELi32ELi8ELi32ELi8ELi8ELi32ELc78ELc78EKdS1_dEEvlllT_PT11_llS4_llS2_PT12_llPT13_lli.has_indirect_call, 0
	.section	.AMDGPU.csdata,"",@progbits
; Kernel info:
; codeLenInByte = 1820
; TotalNumSgprs: 46
; NumVgprs: 46
; ScratchSize: 0
; MemoryBound: 0
; FloatMode: 240
; IeeeMode: 1
; LDSByteSize: 4096 bytes/workgroup (compile time only)
; SGPRBlocks: 0
; VGPRBlocks: 5
; NumSGPRsForWavesPerEU: 46
; NumVGPRsForWavesPerEU: 46
; Occupancy: 16
; WaveLimiterHint : 1
; COMPUTE_PGM_RSRC2:SCRATCH_EN: 0
; COMPUTE_PGM_RSRC2:USER_SGPR: 2
; COMPUTE_PGM_RSRC2:TRAP_HANDLER: 0
; COMPUTE_PGM_RSRC2:TGID_X_EN: 1
; COMPUTE_PGM_RSRC2:TGID_Y_EN: 1
; COMPUTE_PGM_RSRC2:TGID_Z_EN: 1
; COMPUTE_PGM_RSRC2:TIDIG_COMP_CNT: 1
	.section	.text._ZN12_GLOBAL__N_127rocblas_gemm_batched_kernelIdLi16ELi16ELi32ELi32ELi8ELi32ELi8ELi8ELi32ELc84ELc78EKdS1_dEEvlllT_PT11_llS4_llS2_PT12_llPT13_lli,"axG",@progbits,_ZN12_GLOBAL__N_127rocblas_gemm_batched_kernelIdLi16ELi16ELi32ELi32ELi8ELi32ELi8ELi8ELi32ELc84ELc78EKdS1_dEEvlllT_PT11_llS4_llS2_PT12_llPT13_lli,comdat
	.globl	_ZN12_GLOBAL__N_127rocblas_gemm_batched_kernelIdLi16ELi16ELi32ELi32ELi8ELi32ELi8ELi8ELi32ELc84ELc78EKdS1_dEEvlllT_PT11_llS4_llS2_PT12_llPT13_lli ; -- Begin function _ZN12_GLOBAL__N_127rocblas_gemm_batched_kernelIdLi16ELi16ELi32ELi32ELi8ELi32ELi8ELi8ELi32ELc84ELc78EKdS1_dEEvlllT_PT11_llS4_llS2_PT12_llPT13_lli
	.p2align	8
	.type	_ZN12_GLOBAL__N_127rocblas_gemm_batched_kernelIdLi16ELi16ELi32ELi32ELi8ELi32ELi8ELi8ELi32ELc84ELc78EKdS1_dEEvlllT_PT11_llS4_llS2_PT12_llPT13_lli,@function
_ZN12_GLOBAL__N_127rocblas_gemm_batched_kernelIdLi16ELi16ELi32ELi32ELi8ELi32ELi8ELi8ELi32ELc84ELc78EKdS1_dEEvlllT_PT11_llS4_llS2_PT12_llPT13_lli: ; @_ZN12_GLOBAL__N_127rocblas_gemm_batched_kernelIdLi16ELi16ELi32ELi32ELi8ELi32ELi8ELi8ELi32ELc84ELc78EKdS1_dEEvlllT_PT11_llS4_llS2_PT12_llPT13_lli
; %bb.0:
	s_load_b32 s28, s[0:1], 0x88
	s_lshr_b32 s2, ttmp7, 16
	s_wait_kmcnt 0x0
	s_cmp_ge_i32 s2, s28
	s_cbranch_scc1 .LBB70_11
; %bb.1:
	v_and_b32_e32 v10, 0x3ff, v0
	v_bfe_u32 v1, v0, 10, 10
	s_clause 0x2
	s_load_b512 s[4:19], s[0:1], 0x10
	s_load_b256 s[20:27], s[0:1], 0x50
	s_load_b256 s[36:43], s[0:1], 0x70
	s_lshl_b32 s3, ttmp7, 5
	v_lshlrev_b32_e32 v0, 3, v0
	v_lshl_add_u32 v2, v1, 4, v10
	s_and_b32 s3, s3, 0x1fffe0
	v_lshl_add_u32 v21, v1, 6, 0x800
	v_add_nc_u32_e32 v8, s3, v1
	v_and_b32_e32 v11, 56, v0
	v_lshrrev_b32_e32 v6, 3, v2
	v_and_b32_e32 v12, 31, v2
	v_lshrrev_b32_e32 v13, 5, v2
	s_mov_b32 s30, ttmp9
	s_ashr_i32 s31, ttmp9, 31
	v_add_nc_u32_e32 v9, s3, v6
	v_lshl_or_b32 v15, v6, 6, v11
	s_lshl_b64 s[0:1], s[30:31], 5
	v_lshlrev_b32_e32 v14, 3, v12
	s_wait_kmcnt 0x0
	v_mad_co_u64_u32 v[0:1], null, v8, s24, 0
	v_mad_co_u64_u32 v[2:3], null, s16, v9, 0
	;; [unrolled: 1-line block ×3, first 2 shown]
	v_lshl_or_b32 v22, v13, 8, v14
	v_add_nc_u32_e32 v23, 0x800, v15
	s_delay_alu instid0(VALU_DEP_4) | instskip(SKIP_2) | instid1(VALU_DEP_2)
	v_mad_co_u64_u32 v[6:7], null, v8, s25, v[1:2]
	v_mov_b32_e32 v1, v3
	s_lshl_b64 s[24:25], s[24:25], 4
	v_mad_co_u64_u32 v[7:8], null, v8, s39, v[5:6]
	s_delay_alu instid0(VALU_DEP_2)
	v_mad_co_u64_u32 v[8:9], null, s17, v9, v[1:2]
	v_mov_b32_e32 v1, v6
	v_or_b32_e32 v6, s0, v12
	v_lshlrev_b32_e32 v20, 3, v10
	v_add_co_u32 v9, s3, s0, v10
	v_mov_b32_e32 v5, v7
	v_mov_b32_e32 v3, v8
	v_mul_lo_u32 v8, s11, v6
	v_mad_co_u64_u32 v[6:7], null, s10, v6, 0
	v_lshlrev_b64_e32 v[0:1], 3, v[0:1]
	s_delay_alu instid0(VALU_DEP_4)
	v_lshlrev_b64_e32 v[2:3], 3, v[2:3]
	s_mul_i32 s0, s10, s1
	v_add_co_ci_u32_e64 v10, null, s1, 0, s3
	v_lshlrev_b64_e32 v[4:5], 3, v[4:5]
	s_wait_alu 0xfffe
	v_add3_u32 v7, v7, s0, v8
	v_add_co_u32 v24, vcc_lo, s22, v0
	s_delay_alu instid0(VALU_DEP_1)
	v_add_co_ci_u32_e64 v25, null, s23, v1, vcc_lo
	v_add_co_u32 v0, vcc_lo, v2, v11
	s_wait_alu 0xfffd
	v_add_co_ci_u32_e64 v1, null, 0, v3, vcc_lo
	v_lshlrev_b64_e32 v[2:3], 3, v[6:7]
	v_cmp_gt_i64_e64 s0, s[4:5], 0
	v_lshlrev_b32_e32 v6, 3, v13
	v_add_co_u32 v0, vcc_lo, s14, v0
	s_wait_alu 0xfffd
	v_add_co_ci_u32_e64 v1, null, s15, v1, vcc_lo
	s_delay_alu instid0(VALU_DEP_3)
	v_add_co_u32 v2, vcc_lo, v2, v6
	s_wait_alu 0xf1ff
	v_cndmask_b32_e64 v6, 0, 1, s0
	v_cmp_eq_f64_e64 s0, s[20:21], 0
	s_wait_alu 0xfffd
	v_add_co_ci_u32_e64 v3, null, 0, v3, vcc_lo
	v_add_co_u32 v2, vcc_lo, s8, v2
	s_lshl_b64 s[16:17], s[38:39], 4
	s_wait_alu 0xfffd
	v_add_co_ci_u32_e64 v3, null, s9, v3, vcc_lo
	s_lshl_b64 s[10:11], s[18:19], 3
	s_lshl_b64 s[8:9], s[12:13], 3
	s_mov_b32 s3, 0
	s_lshl_b64 s[12:13], s[24:25], 3
	s_wait_alu 0xfffe
	s_lshl_b64 s[14:15], s[16:17], 3
	v_cndmask_b32_e64 v8, 0, 1, s0
	v_cmp_ne_u32_e64 s0, 1, v6
	v_lshlrev_b64_e32 v[6:7], 3, v[9:10]
	s_delay_alu instid0(VALU_DEP_3)
	v_cmp_ne_u32_e64 s1, 1, v8
	s_branch .LBB70_3
.LBB70_2:                               ;   in Loop: Header=BB70_3 Depth=1
	s_add_co_i32 s2, s2, 0x10000
	s_wait_alu 0xfffe
	s_cmp_lt_i32 s2, s28
	s_cbranch_scc0 .LBB70_11
.LBB70_3:                               ; =>This Loop Header: Depth=1
                                        ;     Child Loop BB70_5 Depth 2
	s_delay_alu instid0(VALU_DEP_3)
	s_and_b32 vcc_lo, exec_lo, s0
	s_wait_alu 0xfffe
	s_cbranch_vccnz .LBB70_6
; %bb.4:                                ;   in Loop: Header=BB70_3 Depth=1
	v_mad_co_u64_u32 v[14:15], null, s10, s2, v[0:1]
	v_mad_co_u64_u32 v[16:17], null, s8, s2, v[2:3]
	v_mov_b32_e32 v12, 0
	v_mov_b32_e32 v13, 0
	s_mov_b64 s[16:17], 0
	s_delay_alu instid0(VALU_DEP_3) | instskip(NEXT) | instid1(VALU_DEP_1)
	v_dual_mov_b32 v8, v15 :: v_dual_mov_b32 v9, v17
	v_mad_co_u64_u32 v[17:18], null, s11, s2, v[8:9]
	v_mad_co_u64_u32 v[26:27], null, s9, s2, v[9:10]
	v_mov_b32_e32 v8, 0
	v_dual_mov_b32 v9, 0 :: v_dual_mov_b32 v10, 0
	v_dual_mov_b32 v18, 0 :: v_dual_mov_b32 v11, 0
	v_mov_b32_e32 v19, 0
	v_mov_b32_e32 v15, v17
	;; [unrolled: 1-line block ×3, first 2 shown]
.LBB70_5:                               ;   Parent Loop BB70_3 Depth=1
                                        ; =>  This Inner Loop Header: Depth=2
	global_load_b64 v[26:27], v[16:17], off
	global_load_b64 v[28:29], v[14:15], off
	s_wait_alu 0xfffe
	s_add_nc_u64 s[16:17], s[16:17], 8
	v_add_co_u32 v14, vcc_lo, v14, 64
	s_wait_alu 0xfffe
	v_cmp_lt_i64_e64 s18, s[16:17], s[4:5]
	s_wait_alu 0xfffd
	v_add_co_ci_u32_e64 v15, null, 0, v15, vcc_lo
	v_add_co_u32 v16, vcc_lo, v16, 64
	s_wait_alu 0xfffd
	v_add_co_ci_u32_e64 v17, null, 0, v17, vcc_lo
	s_and_b32 vcc_lo, exec_lo, s18
	s_wait_loadcnt 0x1
	ds_store_b64 v22, v[26:27]
	s_wait_loadcnt 0x0
	ds_store_b64 v23, v[28:29]
	s_wait_dscnt 0x0
	s_barrier_signal -1
	s_barrier_wait -1
	global_inv scope:SCOPE_SE
	ds_load_b128 v[26:29], v21
	ds_load_2addr_b64 v[30:33], v20 offset1:16
	ds_load_b128 v[34:37], v21 offset:1024
	ds_load_b128 v[38:41], v21 offset:16
	;; [unrolled: 1-line block ×3, first 2 shown]
	s_wait_dscnt 0x3
	v_fma_f64 v[18:19], v[30:31], v[26:27], v[18:19]
	v_fma_f64 v[12:13], v[32:33], v[26:27], v[12:13]
	s_wait_dscnt 0x2
	v_fma_f64 v[26:27], v[30:31], v[34:35], v[10:11]
	v_fma_f64 v[30:31], v[32:33], v[34:35], v[8:9]
	ds_load_2addr_b64 v[8:11], v20 offset0:32 offset1:48
	s_wait_dscnt 0x0
	v_fma_f64 v[18:19], v[8:9], v[28:29], v[18:19]
	v_fma_f64 v[12:13], v[10:11], v[28:29], v[12:13]
	v_fma_f64 v[26:27], v[8:9], v[36:37], v[26:27]
	v_fma_f64 v[28:29], v[10:11], v[36:37], v[30:31]
	ds_load_2addr_b64 v[8:11], v20 offset0:64 offset1:80
	s_wait_dscnt 0x0
	v_fma_f64 v[18:19], v[8:9], v[38:39], v[18:19]
	v_fma_f64 v[12:13], v[10:11], v[38:39], v[12:13]
	;; [unrolled: 6-line block ×3, first 2 shown]
	v_fma_f64 v[42:43], v[8:9], v[44:45], v[26:27]
	v_fma_f64 v[44:45], v[10:11], v[44:45], v[28:29]
	ds_load_b128 v[8:11], v21 offset:32
	ds_load_2addr_b64 v[26:29], v20 offset0:128 offset1:144
	ds_load_b128 v[30:33], v21 offset:1056
	ds_load_b128 v[34:37], v21 offset:48
	;; [unrolled: 1-line block ×3, first 2 shown]
	s_wait_dscnt 0x3
	v_fma_f64 v[18:19], v[26:27], v[8:9], v[18:19]
	v_fma_f64 v[8:9], v[28:29], v[8:9], v[12:13]
	s_wait_dscnt 0x2
	v_fma_f64 v[12:13], v[26:27], v[30:31], v[42:43]
	v_fma_f64 v[30:31], v[28:29], v[30:31], v[44:45]
	ds_load_2addr_b64 v[26:29], v20 offset0:160 offset1:176
	s_wait_dscnt 0x0
	v_fma_f64 v[18:19], v[26:27], v[10:11], v[18:19]
	v_fma_f64 v[42:43], v[28:29], v[10:11], v[8:9]
	;; [unrolled: 1-line block ×4, first 2 shown]
	ds_load_2addr_b64 v[8:11], v20 offset0:192 offset1:208
	s_wait_dscnt 0x0
	v_fma_f64 v[18:19], v[8:9], v[34:35], v[18:19]
	v_fma_f64 v[30:31], v[10:11], v[34:35], v[42:43]
	;; [unrolled: 1-line block ×4, first 2 shown]
	ds_load_2addr_b64 v[26:29], v20 offset0:224 offset1:240
	s_wait_loadcnt_dscnt 0x0
	s_barrier_signal -1
	s_barrier_wait -1
	global_inv scope:SCOPE_SE
	v_fma_f64 v[18:19], v[26:27], v[36:37], v[18:19]
	v_fma_f64 v[12:13], v[28:29], v[36:37], v[30:31]
	;; [unrolled: 1-line block ×4, first 2 shown]
	s_wait_alu 0xfffe
	s_cbranch_vccnz .LBB70_5
	s_branch .LBB70_7
.LBB70_6:                               ;   in Loop: Header=BB70_3 Depth=1
	v_mov_b32_e32 v18, 0
	v_dual_mov_b32 v10, 0 :: v_dual_mov_b32 v19, 0
	v_dual_mov_b32 v12, 0 :: v_dual_mov_b32 v11, 0
	;; [unrolled: 1-line block ×3, first 2 shown]
	v_mov_b32_e32 v9, 0
.LBB70_7:                               ;   in Loop: Header=BB70_3 Depth=1
	s_mul_u64 s[16:17], s[40:41], s[2:3]
	s_and_b32 vcc_lo, exec_lo, s1
	s_wait_alu 0xfffe
	s_lshl_b64 s[16:17], s[16:17], 3
	s_wait_alu 0xfffe
	s_add_nc_u64 s[16:17], s[36:37], s[16:17]
	s_cbranch_vccnz .LBB70_9
; %bb.8:                                ;   in Loop: Header=BB70_3 Depth=1
	s_delay_alu instid0(VALU_DEP_4) | instskip(NEXT) | instid1(VALU_DEP_3)
	v_mul_f64_e32 v[14:15], s[6:7], v[18:19]
	v_mul_f64_e32 v[16:17], s[6:7], v[12:13]
	s_delay_alu instid0(VALU_DEP_4) | instskip(NEXT) | instid1(VALU_DEP_4)
	v_mul_f64_e32 v[26:27], s[6:7], v[10:11]
	v_mul_f64_e32 v[28:29], s[6:7], v[8:9]
	s_wait_alu 0xfffe
	v_add_co_u32 v30, vcc_lo, s16, v4
	s_wait_alu 0xfffd
	v_add_co_ci_u32_e64 v31, null, s17, v5, vcc_lo
	s_delay_alu instid0(VALU_DEP_2) | instskip(SKIP_1) | instid1(VALU_DEP_2)
	v_add_co_u32 v32, vcc_lo, v30, s14
	s_wait_alu 0xfffd
	v_add_co_ci_u32_e64 v33, null, s15, v31, vcc_lo
	v_add_co_u32 v30, vcc_lo, v30, v6
	s_wait_alu 0xfffd
	v_add_co_ci_u32_e64 v31, null, v31, v7, vcc_lo
	;; [unrolled: 3-line block ×3, first 2 shown]
	s_clause 0x3
	global_store_b64 v[30:31], v[14:15], off
	global_store_b64 v[30:31], v[16:17], off offset:128
	global_store_b64 v[32:33], v[26:27], off
	global_store_b64 v[32:33], v[28:29], off offset:128
	s_cbranch_execnz .LBB70_2
	s_branch .LBB70_10
.LBB70_9:                               ;   in Loop: Header=BB70_3 Depth=1
.LBB70_10:                              ;   in Loop: Header=BB70_3 Depth=1
	s_mul_u64 s[18:19], s[26:27], s[2:3]
	s_wait_alu 0xfffe
	s_lshl_b64 s[18:19], s[18:19], 3
	s_wait_alu 0xfffe
	v_add_co_u32 v26, vcc_lo, v24, s18
	s_wait_alu 0xfffd
	v_add_co_ci_u32_e64 v27, null, s19, v25, vcc_lo
	s_delay_alu instid0(VALU_DEP_2) | instskip(SKIP_1) | instid1(VALU_DEP_2)
	v_add_co_u32 v14, vcc_lo, v26, v6
	s_wait_alu 0xfffd
	v_add_co_ci_u32_e64 v15, null, v27, v7, vcc_lo
	v_add_co_u32 v28, vcc_lo, s16, v4
	s_wait_alu 0xfffd
	v_add_co_ci_u32_e64 v29, null, s17, v5, vcc_lo
	global_load_b64 v[16:17], v[14:15], off
	s_wait_loadcnt 0x0
	v_mul_f64_e32 v[16:17], s[20:21], v[16:17]
	s_delay_alu instid0(VALU_DEP_1)
	v_fma_f64 v[16:17], s[6:7], v[18:19], v[16:17]
	v_add_co_u32 v18, vcc_lo, v28, v6
	s_wait_alu 0xfffd
	v_add_co_ci_u32_e64 v19, null, v29, v7, vcc_lo
	global_store_b64 v[18:19], v[16:17], off
	global_load_b64 v[14:15], v[14:15], off offset:128
	s_wait_loadcnt 0x0
	v_mul_f64_e32 v[14:15], s[20:21], v[14:15]
	s_delay_alu instid0(VALU_DEP_1) | instskip(SKIP_3) | instid1(VALU_DEP_2)
	v_fma_f64 v[12:13], s[6:7], v[12:13], v[14:15]
	v_add_co_u32 v14, vcc_lo, v26, s12
	s_wait_alu 0xfffd
	v_add_co_ci_u32_e64 v15, null, s13, v27, vcc_lo
	v_add_co_u32 v14, vcc_lo, v14, v6
	s_wait_alu 0xfffd
	s_delay_alu instid0(VALU_DEP_2) | instskip(SKIP_4) | instid1(VALU_DEP_1)
	v_add_co_ci_u32_e64 v15, null, v15, v7, vcc_lo
	global_store_b64 v[18:19], v[12:13], off offset:128
	global_load_b64 v[12:13], v[14:15], off
	s_wait_loadcnt 0x0
	v_mul_f64_e32 v[12:13], s[20:21], v[12:13]
	v_fma_f64 v[10:11], s[6:7], v[10:11], v[12:13]
	v_add_co_u32 v12, vcc_lo, v28, s14
	s_wait_alu 0xfffd
	v_add_co_ci_u32_e64 v13, null, s15, v29, vcc_lo
	s_delay_alu instid0(VALU_DEP_2) | instskip(SKIP_1) | instid1(VALU_DEP_2)
	v_add_co_u32 v12, vcc_lo, v12, v6
	s_wait_alu 0xfffd
	v_add_co_ci_u32_e64 v13, null, v13, v7, vcc_lo
	global_store_b64 v[12:13], v[10:11], off
	global_load_b64 v[10:11], v[14:15], off offset:128
	s_wait_loadcnt 0x0
	v_mul_f64_e32 v[10:11], s[20:21], v[10:11]
	s_delay_alu instid0(VALU_DEP_1)
	v_fma_f64 v[8:9], s[6:7], v[8:9], v[10:11]
	global_store_b64 v[12:13], v[8:9], off offset:128
	s_branch .LBB70_2
.LBB70_11:
	s_endpgm
	.section	.rodata,"a",@progbits
	.p2align	6, 0x0
	.amdhsa_kernel _ZN12_GLOBAL__N_127rocblas_gemm_batched_kernelIdLi16ELi16ELi32ELi32ELi8ELi32ELi8ELi8ELi32ELc84ELc78EKdS1_dEEvlllT_PT11_llS4_llS2_PT12_llPT13_lli
		.amdhsa_group_segment_fixed_size 4096
		.amdhsa_private_segment_fixed_size 0
		.amdhsa_kernarg_size 140
		.amdhsa_user_sgpr_count 2
		.amdhsa_user_sgpr_dispatch_ptr 0
		.amdhsa_user_sgpr_queue_ptr 0
		.amdhsa_user_sgpr_kernarg_segment_ptr 1
		.amdhsa_user_sgpr_dispatch_id 0
		.amdhsa_user_sgpr_private_segment_size 0
		.amdhsa_wavefront_size32 1
		.amdhsa_uses_dynamic_stack 0
		.amdhsa_enable_private_segment 0
		.amdhsa_system_sgpr_workgroup_id_x 1
		.amdhsa_system_sgpr_workgroup_id_y 1
		.amdhsa_system_sgpr_workgroup_id_z 1
		.amdhsa_system_sgpr_workgroup_info 0
		.amdhsa_system_vgpr_workitem_id 1
		.amdhsa_next_free_vgpr 46
		.amdhsa_next_free_sgpr 44
		.amdhsa_reserve_vcc 1
		.amdhsa_float_round_mode_32 0
		.amdhsa_float_round_mode_16_64 0
		.amdhsa_float_denorm_mode_32 3
		.amdhsa_float_denorm_mode_16_64 3
		.amdhsa_fp16_overflow 0
		.amdhsa_workgroup_processor_mode 1
		.amdhsa_memory_ordered 1
		.amdhsa_forward_progress 1
		.amdhsa_inst_pref_size 15
		.amdhsa_round_robin_scheduling 0
		.amdhsa_exception_fp_ieee_invalid_op 0
		.amdhsa_exception_fp_denorm_src 0
		.amdhsa_exception_fp_ieee_div_zero 0
		.amdhsa_exception_fp_ieee_overflow 0
		.amdhsa_exception_fp_ieee_underflow 0
		.amdhsa_exception_fp_ieee_inexact 0
		.amdhsa_exception_int_div_zero 0
	.end_amdhsa_kernel
	.section	.text._ZN12_GLOBAL__N_127rocblas_gemm_batched_kernelIdLi16ELi16ELi32ELi32ELi8ELi32ELi8ELi8ELi32ELc84ELc78EKdS1_dEEvlllT_PT11_llS4_llS2_PT12_llPT13_lli,"axG",@progbits,_ZN12_GLOBAL__N_127rocblas_gemm_batched_kernelIdLi16ELi16ELi32ELi32ELi8ELi32ELi8ELi8ELi32ELc84ELc78EKdS1_dEEvlllT_PT11_llS4_llS2_PT12_llPT13_lli,comdat
.Lfunc_end70:
	.size	_ZN12_GLOBAL__N_127rocblas_gemm_batched_kernelIdLi16ELi16ELi32ELi32ELi8ELi32ELi8ELi8ELi32ELc84ELc78EKdS1_dEEvlllT_PT11_llS4_llS2_PT12_llPT13_lli, .Lfunc_end70-_ZN12_GLOBAL__N_127rocblas_gemm_batched_kernelIdLi16ELi16ELi32ELi32ELi8ELi32ELi8ELi8ELi32ELc84ELc78EKdS1_dEEvlllT_PT11_llS4_llS2_PT12_llPT13_lli
                                        ; -- End function
	.set _ZN12_GLOBAL__N_127rocblas_gemm_batched_kernelIdLi16ELi16ELi32ELi32ELi8ELi32ELi8ELi8ELi32ELc84ELc78EKdS1_dEEvlllT_PT11_llS4_llS2_PT12_llPT13_lli.num_vgpr, 46
	.set _ZN12_GLOBAL__N_127rocblas_gemm_batched_kernelIdLi16ELi16ELi32ELi32ELi8ELi32ELi8ELi8ELi32ELc84ELc78EKdS1_dEEvlllT_PT11_llS4_llS2_PT12_llPT13_lli.num_agpr, 0
	.set _ZN12_GLOBAL__N_127rocblas_gemm_batched_kernelIdLi16ELi16ELi32ELi32ELi8ELi32ELi8ELi8ELi32ELc84ELc78EKdS1_dEEvlllT_PT11_llS4_llS2_PT12_llPT13_lli.numbered_sgpr, 44
	.set _ZN12_GLOBAL__N_127rocblas_gemm_batched_kernelIdLi16ELi16ELi32ELi32ELi8ELi32ELi8ELi8ELi32ELc84ELc78EKdS1_dEEvlllT_PT11_llS4_llS2_PT12_llPT13_lli.num_named_barrier, 0
	.set _ZN12_GLOBAL__N_127rocblas_gemm_batched_kernelIdLi16ELi16ELi32ELi32ELi8ELi32ELi8ELi8ELi32ELc84ELc78EKdS1_dEEvlllT_PT11_llS4_llS2_PT12_llPT13_lli.private_seg_size, 0
	.set _ZN12_GLOBAL__N_127rocblas_gemm_batched_kernelIdLi16ELi16ELi32ELi32ELi8ELi32ELi8ELi8ELi32ELc84ELc78EKdS1_dEEvlllT_PT11_llS4_llS2_PT12_llPT13_lli.uses_vcc, 1
	.set _ZN12_GLOBAL__N_127rocblas_gemm_batched_kernelIdLi16ELi16ELi32ELi32ELi8ELi32ELi8ELi8ELi32ELc84ELc78EKdS1_dEEvlllT_PT11_llS4_llS2_PT12_llPT13_lli.uses_flat_scratch, 0
	.set _ZN12_GLOBAL__N_127rocblas_gemm_batched_kernelIdLi16ELi16ELi32ELi32ELi8ELi32ELi8ELi8ELi32ELc84ELc78EKdS1_dEEvlllT_PT11_llS4_llS2_PT12_llPT13_lli.has_dyn_sized_stack, 0
	.set _ZN12_GLOBAL__N_127rocblas_gemm_batched_kernelIdLi16ELi16ELi32ELi32ELi8ELi32ELi8ELi8ELi32ELc84ELc78EKdS1_dEEvlllT_PT11_llS4_llS2_PT12_llPT13_lli.has_recursion, 0
	.set _ZN12_GLOBAL__N_127rocblas_gemm_batched_kernelIdLi16ELi16ELi32ELi32ELi8ELi32ELi8ELi8ELi32ELc84ELc78EKdS1_dEEvlllT_PT11_llS4_llS2_PT12_llPT13_lli.has_indirect_call, 0
	.section	.AMDGPU.csdata,"",@progbits
; Kernel info:
; codeLenInByte = 1840
; TotalNumSgprs: 46
; NumVgprs: 46
; ScratchSize: 0
; MemoryBound: 0
; FloatMode: 240
; IeeeMode: 1
; LDSByteSize: 4096 bytes/workgroup (compile time only)
; SGPRBlocks: 0
; VGPRBlocks: 5
; NumSGPRsForWavesPerEU: 46
; NumVGPRsForWavesPerEU: 46
; Occupancy: 16
; WaveLimiterHint : 1
; COMPUTE_PGM_RSRC2:SCRATCH_EN: 0
; COMPUTE_PGM_RSRC2:USER_SGPR: 2
; COMPUTE_PGM_RSRC2:TRAP_HANDLER: 0
; COMPUTE_PGM_RSRC2:TGID_X_EN: 1
; COMPUTE_PGM_RSRC2:TGID_Y_EN: 1
; COMPUTE_PGM_RSRC2:TGID_Z_EN: 1
; COMPUTE_PGM_RSRC2:TIDIG_COMP_CNT: 1
	.section	.text._ZN12_GLOBAL__N_127rocblas_gemm_batched_kernelIdLi16ELi16ELi32ELi32ELi8ELi32ELi8ELi8ELi32ELc78ELc84EKdS1_dEEvlllT_PT11_llS4_llS2_PT12_llPT13_lli,"axG",@progbits,_ZN12_GLOBAL__N_127rocblas_gemm_batched_kernelIdLi16ELi16ELi32ELi32ELi8ELi32ELi8ELi8ELi32ELc78ELc84EKdS1_dEEvlllT_PT11_llS4_llS2_PT12_llPT13_lli,comdat
	.globl	_ZN12_GLOBAL__N_127rocblas_gemm_batched_kernelIdLi16ELi16ELi32ELi32ELi8ELi32ELi8ELi8ELi32ELc78ELc84EKdS1_dEEvlllT_PT11_llS4_llS2_PT12_llPT13_lli ; -- Begin function _ZN12_GLOBAL__N_127rocblas_gemm_batched_kernelIdLi16ELi16ELi32ELi32ELi8ELi32ELi8ELi8ELi32ELc78ELc84EKdS1_dEEvlllT_PT11_llS4_llS2_PT12_llPT13_lli
	.p2align	8
	.type	_ZN12_GLOBAL__N_127rocblas_gemm_batched_kernelIdLi16ELi16ELi32ELi32ELi8ELi32ELi8ELi8ELi32ELc78ELc84EKdS1_dEEvlllT_PT11_llS4_llS2_PT12_llPT13_lli,@function
_ZN12_GLOBAL__N_127rocblas_gemm_batched_kernelIdLi16ELi16ELi32ELi32ELi8ELi32ELi8ELi8ELi32ELc78ELc84EKdS1_dEEvlllT_PT11_llS4_llS2_PT12_llPT13_lli: ; @_ZN12_GLOBAL__N_127rocblas_gemm_batched_kernelIdLi16ELi16ELi32ELi32ELi8ELi32ELi8ELi8ELi32ELc78ELc84EKdS1_dEEvlllT_PT11_llS4_llS2_PT12_llPT13_lli
; %bb.0:
	s_load_b32 s28, s[0:1], 0x88
	s_lshr_b32 s2, ttmp7, 16
	s_wait_kmcnt 0x0
	s_cmp_ge_i32 s2, s28
	s_cbranch_scc1 .LBB71_11
; %bb.1:
	s_clause 0x1
	s_load_b256 s[20:27], s[0:1], 0x70
	s_load_b256 s[36:43], s[0:1], 0x50
	v_and_b32_e32 v8, 0x3ff, v0
	v_bfe_u32 v6, v0, 10, 10
	s_load_b512 s[4:19], s[0:1], 0x10
	v_and_b32_e32 v11, 7, v0
	s_lshl_b32 s0, ttmp7, 5
	s_mov_b32 s30, ttmp9
	v_lshl_add_u32 v1, v6, 4, v8
	s_and_b32 s29, s0, 0x1fffe0
	v_lshlrev_b32_e32 v2, 3, v11
	v_add_nc_u32_e32 v7, s29, v6
	s_ashr_i32 s31, ttmp9, 31
	v_lshrrev_b32_e32 v0, 3, v1
	v_and_b32_e32 v14, 31, v1
	v_lshrrev_b32_e32 v13, 5, v1
	v_lshl_add_u32 v23, v6, 6, 0x800
	s_lshl_b64 s[0:1], s[30:31], 5
	v_lshl_or_b32 v10, v0, 6, v2
	v_lshlrev_b32_e32 v9, 3, v14
	s_wait_kmcnt 0x0
	v_mad_co_u64_u32 v[4:5], null, v7, s22, 0
	v_mad_co_u64_u32 v[2:3], null, v7, s40, 0
	v_mov_b32_e32 v1, 0
	v_lshl_or_b32 v20, v13, 8, v9
	v_add_nc_u32_e32 v21, 0x800, v10
	v_mad_co_u64_u32 v[9:10], null, s10, v13, s[0:1]
	v_mad_co_u64_u32 v[5:6], null, v7, s23, v[5:6]
	;; [unrolled: 1-line block ×3, first 2 shown]
	v_add_co_u32 v7, s26, s0, v8
	v_cmp_gt_i64_e64 s0, s[4:5], 0
	v_mad_co_u64_u32 v[0:1], null, s16, v11, v[0:1]
	s_delay_alu instid0(VALU_DEP_4) | instskip(SKIP_2) | instid1(VALU_DEP_4)
	v_dual_mov_b32 v3, v6 :: v_dual_lshlrev_b32 v22, 3, v8
	v_add_co_ci_u32_e64 v8, null, s1, 0, s26
	s_wait_alu 0xf1ff
	v_cndmask_b32_e64 v6, 0, 1, s0
	v_cmp_eq_f64_e64 s0, s[36:37], 0
	v_mad_co_u64_u32 v[11:12], null, s17, v11, v[1:2]
	v_lshlrev_b64_e32 v[1:2], 3, v[2:3]
	v_mov_b32_e32 v3, v10
	v_add_co_u32 v10, vcc_lo, v0, s29
	s_lshl_b64 s[22:23], s[22:23], 4
	s_lshl_b64 s[26:27], s[40:41], 4
	v_mad_co_u64_u32 v[12:13], null, s11, v13, v[3:4]
	v_add_co_ci_u32_e64 v11, null, 0, v11, vcc_lo
	v_add_co_u32 v24, vcc_lo, s38, v1
	s_wait_alu 0xfffd
	v_add_co_ci_u32_e64 v25, null, s39, v2, vcc_lo
	v_add_co_u32 v2, vcc_lo, v9, v14
	s_wait_alu 0xfffd
	v_add_co_ci_u32_e64 v3, null, 0, v12, vcc_lo
	v_lshlrev_b64_e32 v[0:1], 3, v[10:11]
	v_lshlrev_b64_e32 v[4:5], 3, v[4:5]
	s_mov_b32 s3, 0
	s_delay_alu instid0(VALU_DEP_3)
	v_lshlrev_b64_e32 v[2:3], 3, v[2:3]
	s_lshl_b64 s[16:17], s[16:17], 6
	s_lshl_b64 s[10:11], s[10:11], 6
	v_add_co_u32 v0, vcc_lo, s14, v0
	s_wait_alu 0xfffd
	v_add_co_ci_u32_e64 v1, null, s15, v1, vcc_lo
	v_add_co_u32 v2, vcc_lo, s8, v2
	s_wait_alu 0xfffd
	v_add_co_ci_u32_e64 v3, null, s9, v3, vcc_lo
	s_lshl_b64 s[14:15], s[18:19], 3
	s_lshl_b64 s[8:9], s[12:13], 3
	s_wait_alu 0xfffe
	s_lshl_b64 s[12:13], s[26:27], 3
	v_cndmask_b32_e64 v9, 0, 1, s0
	v_cmp_ne_u32_e64 s0, 1, v6
	v_lshlrev_b64_e32 v[6:7], 3, v[7:8]
	s_lshl_b64 s[18:19], s[22:23], 3
	v_cmp_ne_u32_e64 s1, 1, v9
	s_branch .LBB71_3
.LBB71_2:                               ;   in Loop: Header=BB71_3 Depth=1
	s_add_co_i32 s2, s2, 0x10000
	s_wait_alu 0xfffe
	s_cmp_lt_i32 s2, s28
	s_cbranch_scc0 .LBB71_11
.LBB71_3:                               ; =>This Loop Header: Depth=1
                                        ;     Child Loop BB71_5 Depth 2
	s_and_b32 vcc_lo, exec_lo, s0
	s_wait_alu 0xfffe
	s_cbranch_vccnz .LBB71_6
; %bb.4:                                ;   in Loop: Header=BB71_3 Depth=1
	v_mad_co_u64_u32 v[14:15], null, s14, s2, v[0:1]
	v_mad_co_u64_u32 v[16:17], null, s8, s2, v[2:3]
	v_mov_b32_e32 v12, 0
	v_mov_b32_e32 v13, 0
	s_mov_b64 s[22:23], 0
	s_delay_alu instid0(VALU_DEP_3) | instskip(NEXT) | instid1(VALU_DEP_1)
	v_dual_mov_b32 v8, v15 :: v_dual_mov_b32 v9, v17
	v_mad_co_u64_u32 v[17:18], null, s15, s2, v[8:9]
	v_mad_co_u64_u32 v[26:27], null, s9, s2, v[9:10]
	v_mov_b32_e32 v8, 0
	v_dual_mov_b32 v9, 0 :: v_dual_mov_b32 v10, 0
	v_dual_mov_b32 v18, 0 :: v_dual_mov_b32 v11, 0
	v_mov_b32_e32 v19, 0
	v_mov_b32_e32 v15, v17
	;; [unrolled: 1-line block ×3, first 2 shown]
.LBB71_5:                               ;   Parent Loop BB71_3 Depth=1
                                        ; =>  This Inner Loop Header: Depth=2
	global_load_b64 v[26:27], v[16:17], off
	global_load_b64 v[28:29], v[14:15], off
	s_wait_alu 0xfffe
	s_add_nc_u64 s[22:23], s[22:23], 8
	v_add_co_u32 v14, vcc_lo, v14, s16
	s_wait_alu 0xfffe
	v_cmp_lt_i64_e64 s26, s[22:23], s[4:5]
	s_wait_alu 0xfffd
	v_add_co_ci_u32_e64 v15, null, s17, v15, vcc_lo
	v_add_co_u32 v16, vcc_lo, v16, s10
	s_wait_alu 0xfffd
	v_add_co_ci_u32_e64 v17, null, s11, v17, vcc_lo
	s_and_b32 vcc_lo, exec_lo, s26
	s_wait_loadcnt 0x1
	ds_store_b64 v20, v[26:27]
	s_wait_loadcnt 0x0
	ds_store_b64 v21, v[28:29]
	s_wait_dscnt 0x0
	s_barrier_signal -1
	s_barrier_wait -1
	global_inv scope:SCOPE_SE
	ds_load_b128 v[26:29], v23
	ds_load_2addr_b64 v[30:33], v22 offset1:16
	ds_load_b128 v[34:37], v23 offset:1024
	ds_load_b128 v[38:41], v23 offset:16
	;; [unrolled: 1-line block ×3, first 2 shown]
	s_wait_dscnt 0x3
	v_fma_f64 v[18:19], v[30:31], v[26:27], v[18:19]
	v_fma_f64 v[12:13], v[32:33], v[26:27], v[12:13]
	s_wait_dscnt 0x2
	v_fma_f64 v[26:27], v[30:31], v[34:35], v[10:11]
	v_fma_f64 v[30:31], v[32:33], v[34:35], v[8:9]
	ds_load_2addr_b64 v[8:11], v22 offset0:32 offset1:48
	s_wait_dscnt 0x0
	v_fma_f64 v[18:19], v[8:9], v[28:29], v[18:19]
	v_fma_f64 v[12:13], v[10:11], v[28:29], v[12:13]
	v_fma_f64 v[26:27], v[8:9], v[36:37], v[26:27]
	v_fma_f64 v[28:29], v[10:11], v[36:37], v[30:31]
	ds_load_2addr_b64 v[8:11], v22 offset0:64 offset1:80
	s_wait_dscnt 0x0
	v_fma_f64 v[18:19], v[8:9], v[38:39], v[18:19]
	v_fma_f64 v[12:13], v[10:11], v[38:39], v[12:13]
	;; [unrolled: 6-line block ×3, first 2 shown]
	v_fma_f64 v[42:43], v[8:9], v[44:45], v[26:27]
	v_fma_f64 v[44:45], v[10:11], v[44:45], v[28:29]
	ds_load_b128 v[8:11], v23 offset:32
	ds_load_2addr_b64 v[26:29], v22 offset0:128 offset1:144
	ds_load_b128 v[30:33], v23 offset:1056
	ds_load_b128 v[34:37], v23 offset:48
	;; [unrolled: 1-line block ×3, first 2 shown]
	s_wait_dscnt 0x3
	v_fma_f64 v[18:19], v[26:27], v[8:9], v[18:19]
	v_fma_f64 v[8:9], v[28:29], v[8:9], v[12:13]
	s_wait_dscnt 0x2
	v_fma_f64 v[12:13], v[26:27], v[30:31], v[42:43]
	v_fma_f64 v[30:31], v[28:29], v[30:31], v[44:45]
	ds_load_2addr_b64 v[26:29], v22 offset0:160 offset1:176
	s_wait_dscnt 0x0
	v_fma_f64 v[18:19], v[26:27], v[10:11], v[18:19]
	v_fma_f64 v[42:43], v[28:29], v[10:11], v[8:9]
	;; [unrolled: 1-line block ×4, first 2 shown]
	ds_load_2addr_b64 v[8:11], v22 offset0:192 offset1:208
	s_wait_dscnt 0x0
	v_fma_f64 v[18:19], v[8:9], v[34:35], v[18:19]
	v_fma_f64 v[30:31], v[10:11], v[34:35], v[42:43]
	;; [unrolled: 1-line block ×4, first 2 shown]
	ds_load_2addr_b64 v[26:29], v22 offset0:224 offset1:240
	s_wait_loadcnt_dscnt 0x0
	s_barrier_signal -1
	s_barrier_wait -1
	global_inv scope:SCOPE_SE
	v_fma_f64 v[18:19], v[26:27], v[36:37], v[18:19]
	v_fma_f64 v[12:13], v[28:29], v[36:37], v[30:31]
	;; [unrolled: 1-line block ×4, first 2 shown]
	s_wait_alu 0xfffe
	s_cbranch_vccnz .LBB71_5
	s_branch .LBB71_7
.LBB71_6:                               ;   in Loop: Header=BB71_3 Depth=1
	v_mov_b32_e32 v18, 0
	v_dual_mov_b32 v10, 0 :: v_dual_mov_b32 v19, 0
	v_dual_mov_b32 v12, 0 :: v_dual_mov_b32 v11, 0
	;; [unrolled: 1-line block ×3, first 2 shown]
	v_mov_b32_e32 v9, 0
.LBB71_7:                               ;   in Loop: Header=BB71_3 Depth=1
	s_mul_u64 s[22:23], s[24:25], s[2:3]
	s_and_b32 vcc_lo, exec_lo, s1
	s_wait_alu 0xfffe
	s_lshl_b64 s[22:23], s[22:23], 3
	s_wait_alu 0xfffe
	s_add_nc_u64 s[22:23], s[20:21], s[22:23]
	s_cbranch_vccnz .LBB71_9
; %bb.8:                                ;   in Loop: Header=BB71_3 Depth=1
	s_delay_alu instid0(VALU_DEP_4) | instskip(NEXT) | instid1(VALU_DEP_3)
	v_mul_f64_e32 v[14:15], s[6:7], v[18:19]
	v_mul_f64_e32 v[16:17], s[6:7], v[12:13]
	s_delay_alu instid0(VALU_DEP_4) | instskip(NEXT) | instid1(VALU_DEP_4)
	v_mul_f64_e32 v[26:27], s[6:7], v[10:11]
	v_mul_f64_e32 v[28:29], s[6:7], v[8:9]
	s_wait_alu 0xfffe
	v_add_co_u32 v30, vcc_lo, s22, v4
	s_wait_alu 0xfffd
	v_add_co_ci_u32_e64 v31, null, s23, v5, vcc_lo
	s_delay_alu instid0(VALU_DEP_2) | instskip(SKIP_1) | instid1(VALU_DEP_2)
	v_add_co_u32 v32, vcc_lo, v30, s18
	s_wait_alu 0xfffd
	v_add_co_ci_u32_e64 v33, null, s19, v31, vcc_lo
	v_add_co_u32 v30, vcc_lo, v30, v6
	s_wait_alu 0xfffd
	v_add_co_ci_u32_e64 v31, null, v31, v7, vcc_lo
	;; [unrolled: 3-line block ×3, first 2 shown]
	s_clause 0x3
	global_store_b64 v[30:31], v[14:15], off
	global_store_b64 v[30:31], v[16:17], off offset:128
	global_store_b64 v[32:33], v[26:27], off
	global_store_b64 v[32:33], v[28:29], off offset:128
	s_cbranch_execnz .LBB71_2
	s_branch .LBB71_10
.LBB71_9:                               ;   in Loop: Header=BB71_3 Depth=1
.LBB71_10:                              ;   in Loop: Header=BB71_3 Depth=1
	s_mul_u64 s[26:27], s[42:43], s[2:3]
	s_wait_alu 0xfffe
	s_lshl_b64 s[26:27], s[26:27], 3
	s_wait_alu 0xfffe
	v_add_co_u32 v26, vcc_lo, v24, s26
	s_wait_alu 0xfffd
	v_add_co_ci_u32_e64 v27, null, s27, v25, vcc_lo
	s_delay_alu instid0(VALU_DEP_2) | instskip(SKIP_1) | instid1(VALU_DEP_2)
	v_add_co_u32 v14, vcc_lo, v26, v6
	s_wait_alu 0xfffd
	v_add_co_ci_u32_e64 v15, null, v27, v7, vcc_lo
	v_add_co_u32 v28, vcc_lo, s22, v4
	s_wait_alu 0xfffd
	v_add_co_ci_u32_e64 v29, null, s23, v5, vcc_lo
	global_load_b64 v[16:17], v[14:15], off
	s_wait_loadcnt 0x0
	v_mul_f64_e32 v[16:17], s[36:37], v[16:17]
	s_delay_alu instid0(VALU_DEP_1)
	v_fma_f64 v[16:17], s[6:7], v[18:19], v[16:17]
	v_add_co_u32 v18, vcc_lo, v28, v6
	s_wait_alu 0xfffd
	v_add_co_ci_u32_e64 v19, null, v29, v7, vcc_lo
	global_store_b64 v[18:19], v[16:17], off
	global_load_b64 v[14:15], v[14:15], off offset:128
	s_wait_loadcnt 0x0
	v_mul_f64_e32 v[14:15], s[36:37], v[14:15]
	s_delay_alu instid0(VALU_DEP_1) | instskip(SKIP_3) | instid1(VALU_DEP_2)
	v_fma_f64 v[12:13], s[6:7], v[12:13], v[14:15]
	v_add_co_u32 v14, vcc_lo, v26, s12
	s_wait_alu 0xfffd
	v_add_co_ci_u32_e64 v15, null, s13, v27, vcc_lo
	v_add_co_u32 v14, vcc_lo, v14, v6
	s_wait_alu 0xfffd
	s_delay_alu instid0(VALU_DEP_2) | instskip(SKIP_4) | instid1(VALU_DEP_1)
	v_add_co_ci_u32_e64 v15, null, v15, v7, vcc_lo
	global_store_b64 v[18:19], v[12:13], off offset:128
	global_load_b64 v[12:13], v[14:15], off
	s_wait_loadcnt 0x0
	v_mul_f64_e32 v[12:13], s[36:37], v[12:13]
	v_fma_f64 v[10:11], s[6:7], v[10:11], v[12:13]
	v_add_co_u32 v12, vcc_lo, v28, s18
	s_wait_alu 0xfffd
	v_add_co_ci_u32_e64 v13, null, s19, v29, vcc_lo
	s_delay_alu instid0(VALU_DEP_2) | instskip(SKIP_1) | instid1(VALU_DEP_2)
	v_add_co_u32 v12, vcc_lo, v12, v6
	s_wait_alu 0xfffd
	v_add_co_ci_u32_e64 v13, null, v13, v7, vcc_lo
	global_store_b64 v[12:13], v[10:11], off
	global_load_b64 v[10:11], v[14:15], off offset:128
	s_wait_loadcnt 0x0
	v_mul_f64_e32 v[10:11], s[36:37], v[10:11]
	s_delay_alu instid0(VALU_DEP_1)
	v_fma_f64 v[8:9], s[6:7], v[8:9], v[10:11]
	global_store_b64 v[12:13], v[8:9], off offset:128
	s_branch .LBB71_2
.LBB71_11:
	s_endpgm
	.section	.rodata,"a",@progbits
	.p2align	6, 0x0
	.amdhsa_kernel _ZN12_GLOBAL__N_127rocblas_gemm_batched_kernelIdLi16ELi16ELi32ELi32ELi8ELi32ELi8ELi8ELi32ELc78ELc84EKdS1_dEEvlllT_PT11_llS4_llS2_PT12_llPT13_lli
		.amdhsa_group_segment_fixed_size 4096
		.amdhsa_private_segment_fixed_size 0
		.amdhsa_kernarg_size 140
		.amdhsa_user_sgpr_count 2
		.amdhsa_user_sgpr_dispatch_ptr 0
		.amdhsa_user_sgpr_queue_ptr 0
		.amdhsa_user_sgpr_kernarg_segment_ptr 1
		.amdhsa_user_sgpr_dispatch_id 0
		.amdhsa_user_sgpr_private_segment_size 0
		.amdhsa_wavefront_size32 1
		.amdhsa_uses_dynamic_stack 0
		.amdhsa_enable_private_segment 0
		.amdhsa_system_sgpr_workgroup_id_x 1
		.amdhsa_system_sgpr_workgroup_id_y 1
		.amdhsa_system_sgpr_workgroup_id_z 1
		.amdhsa_system_sgpr_workgroup_info 0
		.amdhsa_system_vgpr_workitem_id 1
		.amdhsa_next_free_vgpr 46
		.amdhsa_next_free_sgpr 44
		.amdhsa_reserve_vcc 1
		.amdhsa_float_round_mode_32 0
		.amdhsa_float_round_mode_16_64 0
		.amdhsa_float_denorm_mode_32 3
		.amdhsa_float_denorm_mode_16_64 3
		.amdhsa_fp16_overflow 0
		.amdhsa_workgroup_processor_mode 1
		.amdhsa_memory_ordered 1
		.amdhsa_forward_progress 1
		.amdhsa_inst_pref_size 15
		.amdhsa_round_robin_scheduling 0
		.amdhsa_exception_fp_ieee_invalid_op 0
		.amdhsa_exception_fp_denorm_src 0
		.amdhsa_exception_fp_ieee_div_zero 0
		.amdhsa_exception_fp_ieee_overflow 0
		.amdhsa_exception_fp_ieee_underflow 0
		.amdhsa_exception_fp_ieee_inexact 0
		.amdhsa_exception_int_div_zero 0
	.end_amdhsa_kernel
	.section	.text._ZN12_GLOBAL__N_127rocblas_gemm_batched_kernelIdLi16ELi16ELi32ELi32ELi8ELi32ELi8ELi8ELi32ELc78ELc84EKdS1_dEEvlllT_PT11_llS4_llS2_PT12_llPT13_lli,"axG",@progbits,_ZN12_GLOBAL__N_127rocblas_gemm_batched_kernelIdLi16ELi16ELi32ELi32ELi8ELi32ELi8ELi8ELi32ELc78ELc84EKdS1_dEEvlllT_PT11_llS4_llS2_PT12_llPT13_lli,comdat
.Lfunc_end71:
	.size	_ZN12_GLOBAL__N_127rocblas_gemm_batched_kernelIdLi16ELi16ELi32ELi32ELi8ELi32ELi8ELi8ELi32ELc78ELc84EKdS1_dEEvlllT_PT11_llS4_llS2_PT12_llPT13_lli, .Lfunc_end71-_ZN12_GLOBAL__N_127rocblas_gemm_batched_kernelIdLi16ELi16ELi32ELi32ELi8ELi32ELi8ELi8ELi32ELc78ELc84EKdS1_dEEvlllT_PT11_llS4_llS2_PT12_llPT13_lli
                                        ; -- End function
	.set _ZN12_GLOBAL__N_127rocblas_gemm_batched_kernelIdLi16ELi16ELi32ELi32ELi8ELi32ELi8ELi8ELi32ELc78ELc84EKdS1_dEEvlllT_PT11_llS4_llS2_PT12_llPT13_lli.num_vgpr, 46
	.set _ZN12_GLOBAL__N_127rocblas_gemm_batched_kernelIdLi16ELi16ELi32ELi32ELi8ELi32ELi8ELi8ELi32ELc78ELc84EKdS1_dEEvlllT_PT11_llS4_llS2_PT12_llPT13_lli.num_agpr, 0
	.set _ZN12_GLOBAL__N_127rocblas_gemm_batched_kernelIdLi16ELi16ELi32ELi32ELi8ELi32ELi8ELi8ELi32ELc78ELc84EKdS1_dEEvlllT_PT11_llS4_llS2_PT12_llPT13_lli.numbered_sgpr, 44
	.set _ZN12_GLOBAL__N_127rocblas_gemm_batched_kernelIdLi16ELi16ELi32ELi32ELi8ELi32ELi8ELi8ELi32ELc78ELc84EKdS1_dEEvlllT_PT11_llS4_llS2_PT12_llPT13_lli.num_named_barrier, 0
	.set _ZN12_GLOBAL__N_127rocblas_gemm_batched_kernelIdLi16ELi16ELi32ELi32ELi8ELi32ELi8ELi8ELi32ELc78ELc84EKdS1_dEEvlllT_PT11_llS4_llS2_PT12_llPT13_lli.private_seg_size, 0
	.set _ZN12_GLOBAL__N_127rocblas_gemm_batched_kernelIdLi16ELi16ELi32ELi32ELi8ELi32ELi8ELi8ELi32ELc78ELc84EKdS1_dEEvlllT_PT11_llS4_llS2_PT12_llPT13_lli.uses_vcc, 1
	.set _ZN12_GLOBAL__N_127rocblas_gemm_batched_kernelIdLi16ELi16ELi32ELi32ELi8ELi32ELi8ELi8ELi32ELc78ELc84EKdS1_dEEvlllT_PT11_llS4_llS2_PT12_llPT13_lli.uses_flat_scratch, 0
	.set _ZN12_GLOBAL__N_127rocblas_gemm_batched_kernelIdLi16ELi16ELi32ELi32ELi8ELi32ELi8ELi8ELi32ELc78ELc84EKdS1_dEEvlllT_PT11_llS4_llS2_PT12_llPT13_lli.has_dyn_sized_stack, 0
	.set _ZN12_GLOBAL__N_127rocblas_gemm_batched_kernelIdLi16ELi16ELi32ELi32ELi8ELi32ELi8ELi8ELi32ELc78ELc84EKdS1_dEEvlllT_PT11_llS4_llS2_PT12_llPT13_lli.has_recursion, 0
	.set _ZN12_GLOBAL__N_127rocblas_gemm_batched_kernelIdLi16ELi16ELi32ELi32ELi8ELi32ELi8ELi8ELi32ELc78ELc84EKdS1_dEEvlllT_PT11_llS4_llS2_PT12_llPT13_lli.has_indirect_call, 0
	.section	.AMDGPU.csdata,"",@progbits
; Kernel info:
; codeLenInByte = 1796
; TotalNumSgprs: 46
; NumVgprs: 46
; ScratchSize: 0
; MemoryBound: 0
; FloatMode: 240
; IeeeMode: 1
; LDSByteSize: 4096 bytes/workgroup (compile time only)
; SGPRBlocks: 0
; VGPRBlocks: 5
; NumSGPRsForWavesPerEU: 46
; NumVGPRsForWavesPerEU: 46
; Occupancy: 16
; WaveLimiterHint : 1
; COMPUTE_PGM_RSRC2:SCRATCH_EN: 0
; COMPUTE_PGM_RSRC2:USER_SGPR: 2
; COMPUTE_PGM_RSRC2:TRAP_HANDLER: 0
; COMPUTE_PGM_RSRC2:TGID_X_EN: 1
; COMPUTE_PGM_RSRC2:TGID_Y_EN: 1
; COMPUTE_PGM_RSRC2:TGID_Z_EN: 1
; COMPUTE_PGM_RSRC2:TIDIG_COMP_CNT: 1
	.section	.text._ZN12_GLOBAL__N_127rocblas_gemm_batched_kernelIdLi16ELi16ELi32ELi32ELi8ELi32ELi8ELi8ELi32ELc84ELc84EKdS1_dEEvlllT_PT11_llS4_llS2_PT12_llPT13_lli,"axG",@progbits,_ZN12_GLOBAL__N_127rocblas_gemm_batched_kernelIdLi16ELi16ELi32ELi32ELi8ELi32ELi8ELi8ELi32ELc84ELc84EKdS1_dEEvlllT_PT11_llS4_llS2_PT12_llPT13_lli,comdat
	.globl	_ZN12_GLOBAL__N_127rocblas_gemm_batched_kernelIdLi16ELi16ELi32ELi32ELi8ELi32ELi8ELi8ELi32ELc84ELc84EKdS1_dEEvlllT_PT11_llS4_llS2_PT12_llPT13_lli ; -- Begin function _ZN12_GLOBAL__N_127rocblas_gemm_batched_kernelIdLi16ELi16ELi32ELi32ELi8ELi32ELi8ELi8ELi32ELc84ELc84EKdS1_dEEvlllT_PT11_llS4_llS2_PT12_llPT13_lli
	.p2align	8
	.type	_ZN12_GLOBAL__N_127rocblas_gemm_batched_kernelIdLi16ELi16ELi32ELi32ELi8ELi32ELi8ELi8ELi32ELc84ELc84EKdS1_dEEvlllT_PT11_llS4_llS2_PT12_llPT13_lli,@function
_ZN12_GLOBAL__N_127rocblas_gemm_batched_kernelIdLi16ELi16ELi32ELi32ELi8ELi32ELi8ELi8ELi32ELc84ELc84EKdS1_dEEvlllT_PT11_llS4_llS2_PT12_llPT13_lli: ; @_ZN12_GLOBAL__N_127rocblas_gemm_batched_kernelIdLi16ELi16ELi32ELi32ELi8ELi32ELi8ELi8ELi32ELc84ELc84EKdS1_dEEvlllT_PT11_llS4_llS2_PT12_llPT13_lli
; %bb.0:
	s_load_b32 s28, s[0:1], 0x88
	s_lshr_b32 s2, ttmp7, 16
	s_wait_kmcnt 0x0
	s_cmp_ge_i32 s2, s28
	s_cbranch_scc1 .LBB72_11
; %bb.1:
	s_clause 0x2
	s_load_b256 s[20:27], s[0:1], 0x70
	s_load_b512 s[4:19], s[0:1], 0x10
	s_load_b256 s[36:43], s[0:1], 0x50
	v_dual_mov_b32 v1, 0 :: v_dual_and_b32 v8, 0x3ff, v0
	v_bfe_u32 v6, v0, 10, 10
	v_and_b32_e32 v9, 7, v0
	s_lshl_b32 s0, ttmp7, 5
	s_mov_b32 s30, ttmp9
	s_wait_kmcnt 0x0
	s_and_b32 s26, s0, 0x1fffe0
	v_lshl_add_u32 v2, v6, 4, v8
	v_add_nc_u32_e32 v7, s26, v6
	v_lshlrev_b32_e32 v3, 3, v9
	v_lshl_add_u32 v23, v6, 6, 0x800
	s_ashr_i32 s31, ttmp9, 31
	v_lshrrev_b32_e32 v0, 3, v2
	v_and_b32_e32 v10, 31, v2
	v_lshrrev_b32_e32 v12, 5, v2
	s_lshl_b64 s[0:1], s[30:31], 5
	v_lshlrev_b32_e32 v22, 3, v8
	v_mad_co_u64_u32 v[4:5], null, v7, s22, 0
	v_lshl_or_b32 v13, v0, 6, v3
	v_mad_co_u64_u32 v[2:3], null, v7, s40, 0
	v_mad_co_u64_u32 v[0:1], null, s16, v9, v[0:1]
	s_delay_alu instid0(VALU_DEP_3)
	v_add_nc_u32_e32 v21, 0x800, v13
	v_mad_co_u64_u32 v[5:6], null, v7, s23, v[5:6]
	s_lshl_b64 s[22:23], s[22:23], 4
	v_mad_co_u64_u32 v[6:7], null, v7, s41, v[3:4]
	v_add_co_u32 v0, vcc_lo, v0, s26
	v_add_co_u32 v7, s27, s0, v8
	s_wait_alu 0xf1ff
	v_add_co_ci_u32_e64 v8, null, s1, 0, s27
	s_delay_alu instid0(VALU_DEP_4) | instskip(SKIP_4) | instid1(VALU_DEP_2)
	v_mov_b32_e32 v3, v6
	v_lshlrev_b32_e32 v11, 3, v10
	v_lshlrev_b64_e32 v[4:5], 3, v[4:5]
	s_lshl_b64 s[26:27], s[40:41], 4
	s_mov_b32 s3, 0
	v_lshl_or_b32 v20, v12, 8, v11
	v_or_b32_e32 v11, s0, v10
	v_mad_co_u64_u32 v[9:10], null, s17, v9, v[1:2]
	v_lshlrev_b64_e32 v[2:3], 3, v[2:3]
	s_mul_i32 s0, s10, s1
	s_delay_alu instid0(VALU_DEP_3)
	v_mul_lo_u32 v6, s11, v11
	v_mad_co_u64_u32 v[10:11], null, s10, v11, 0
	s_lshl_b64 s[10:11], s[18:19], 3
	v_add_co_ci_u32_e64 v1, null, 0, v9, vcc_lo
	v_add_co_u32 v24, vcc_lo, s38, v2
	s_wait_alu 0xfffd
	v_add_co_ci_u32_e64 v25, null, s39, v3, vcc_lo
	s_wait_alu 0xfffe
	v_add3_u32 v11, v11, s0, v6
	v_lshlrev_b64_e32 v[0:1], 3, v[0:1]
	v_cmp_gt_i64_e64 s0, s[4:5], 0
	v_lshlrev_b32_e32 v6, 3, v12
	s_delay_alu instid0(VALU_DEP_4) | instskip(NEXT) | instid1(VALU_DEP_4)
	v_lshlrev_b64_e32 v[2:3], 3, v[10:11]
	v_add_co_u32 v0, vcc_lo, s14, v0
	s_wait_alu 0xfffd
	v_add_co_ci_u32_e64 v1, null, s15, v1, vcc_lo
	s_delay_alu instid0(VALU_DEP_3)
	v_add_co_u32 v2, vcc_lo, v2, v6
	s_wait_alu 0xf1ff
	v_cndmask_b32_e64 v6, 0, 1, s0
	v_cmp_eq_f64_e64 s0, s[36:37], 0
	s_wait_alu 0xfffd
	v_add_co_ci_u32_e64 v3, null, 0, v3, vcc_lo
	v_add_co_u32 v2, vcc_lo, s8, v2
	s_lshl_b64 s[14:15], s[16:17], 6
	s_wait_alu 0xfffd
	v_add_co_ci_u32_e64 v3, null, s9, v3, vcc_lo
	s_lshl_b64 s[8:9], s[12:13], 3
	s_lshl_b64 s[12:13], s[26:27], 3
	;; [unrolled: 1-line block ×3, first 2 shown]
	v_cndmask_b32_e64 v9, 0, 1, s0
	v_cmp_ne_u32_e64 s0, 1, v6
	v_lshlrev_b64_e32 v[6:7], 3, v[7:8]
	s_delay_alu instid0(VALU_DEP_3)
	v_cmp_ne_u32_e64 s1, 1, v9
	s_branch .LBB72_3
.LBB72_2:                               ;   in Loop: Header=BB72_3 Depth=1
	s_add_co_i32 s2, s2, 0x10000
	s_wait_alu 0xfffe
	s_cmp_lt_i32 s2, s28
	s_cbranch_scc0 .LBB72_11
.LBB72_3:                               ; =>This Loop Header: Depth=1
                                        ;     Child Loop BB72_5 Depth 2
	s_delay_alu instid0(VALU_DEP_3)
	s_and_b32 vcc_lo, exec_lo, s0
	s_wait_alu 0xfffe
	s_cbranch_vccnz .LBB72_6
; %bb.4:                                ;   in Loop: Header=BB72_3 Depth=1
	v_mad_co_u64_u32 v[14:15], null, s10, s2, v[0:1]
	v_mad_co_u64_u32 v[16:17], null, s8, s2, v[2:3]
	v_mov_b32_e32 v12, 0
	v_mov_b32_e32 v13, 0
	s_mov_b64 s[18:19], 0
	s_delay_alu instid0(VALU_DEP_3) | instskip(NEXT) | instid1(VALU_DEP_1)
	v_dual_mov_b32 v8, v15 :: v_dual_mov_b32 v9, v17
	v_mad_co_u64_u32 v[17:18], null, s11, s2, v[8:9]
	v_mad_co_u64_u32 v[26:27], null, s9, s2, v[9:10]
	v_mov_b32_e32 v8, 0
	v_dual_mov_b32 v9, 0 :: v_dual_mov_b32 v10, 0
	v_dual_mov_b32 v18, 0 :: v_dual_mov_b32 v11, 0
	v_mov_b32_e32 v19, 0
	v_mov_b32_e32 v15, v17
	;; [unrolled: 1-line block ×3, first 2 shown]
.LBB72_5:                               ;   Parent Loop BB72_3 Depth=1
                                        ; =>  This Inner Loop Header: Depth=2
	global_load_b64 v[26:27], v[16:17], off
	global_load_b64 v[28:29], v[14:15], off
	s_wait_alu 0xfffe
	s_add_nc_u64 s[18:19], s[18:19], 8
	v_add_co_u32 v14, vcc_lo, v14, s14
	s_wait_alu 0xfffe
	v_cmp_lt_i64_e64 s22, s[18:19], s[4:5]
	s_wait_alu 0xfffd
	v_add_co_ci_u32_e64 v15, null, s15, v15, vcc_lo
	v_add_co_u32 v16, vcc_lo, v16, 64
	s_wait_alu 0xfffd
	v_add_co_ci_u32_e64 v17, null, 0, v17, vcc_lo
	s_and_b32 vcc_lo, exec_lo, s22
	s_wait_loadcnt 0x1
	ds_store_b64 v20, v[26:27]
	s_wait_loadcnt 0x0
	ds_store_b64 v21, v[28:29]
	s_wait_dscnt 0x0
	s_barrier_signal -1
	s_barrier_wait -1
	global_inv scope:SCOPE_SE
	ds_load_b128 v[26:29], v23
	ds_load_2addr_b64 v[30:33], v22 offset1:16
	ds_load_b128 v[34:37], v23 offset:1024
	ds_load_b128 v[38:41], v23 offset:16
	;; [unrolled: 1-line block ×3, first 2 shown]
	s_wait_dscnt 0x3
	v_fma_f64 v[18:19], v[30:31], v[26:27], v[18:19]
	v_fma_f64 v[12:13], v[32:33], v[26:27], v[12:13]
	s_wait_dscnt 0x2
	v_fma_f64 v[26:27], v[30:31], v[34:35], v[10:11]
	v_fma_f64 v[30:31], v[32:33], v[34:35], v[8:9]
	ds_load_2addr_b64 v[8:11], v22 offset0:32 offset1:48
	s_wait_dscnt 0x0
	v_fma_f64 v[18:19], v[8:9], v[28:29], v[18:19]
	v_fma_f64 v[12:13], v[10:11], v[28:29], v[12:13]
	v_fma_f64 v[26:27], v[8:9], v[36:37], v[26:27]
	v_fma_f64 v[28:29], v[10:11], v[36:37], v[30:31]
	ds_load_2addr_b64 v[8:11], v22 offset0:64 offset1:80
	s_wait_dscnt 0x0
	v_fma_f64 v[18:19], v[8:9], v[38:39], v[18:19]
	v_fma_f64 v[12:13], v[10:11], v[38:39], v[12:13]
	;; [unrolled: 6-line block ×3, first 2 shown]
	v_fma_f64 v[42:43], v[8:9], v[44:45], v[26:27]
	v_fma_f64 v[44:45], v[10:11], v[44:45], v[28:29]
	ds_load_b128 v[8:11], v23 offset:32
	ds_load_2addr_b64 v[26:29], v22 offset0:128 offset1:144
	ds_load_b128 v[30:33], v23 offset:1056
	ds_load_b128 v[34:37], v23 offset:48
	;; [unrolled: 1-line block ×3, first 2 shown]
	s_wait_dscnt 0x3
	v_fma_f64 v[18:19], v[26:27], v[8:9], v[18:19]
	v_fma_f64 v[8:9], v[28:29], v[8:9], v[12:13]
	s_wait_dscnt 0x2
	v_fma_f64 v[12:13], v[26:27], v[30:31], v[42:43]
	v_fma_f64 v[30:31], v[28:29], v[30:31], v[44:45]
	ds_load_2addr_b64 v[26:29], v22 offset0:160 offset1:176
	s_wait_dscnt 0x0
	v_fma_f64 v[18:19], v[26:27], v[10:11], v[18:19]
	v_fma_f64 v[42:43], v[28:29], v[10:11], v[8:9]
	;; [unrolled: 1-line block ×4, first 2 shown]
	ds_load_2addr_b64 v[8:11], v22 offset0:192 offset1:208
	s_wait_dscnt 0x0
	v_fma_f64 v[18:19], v[8:9], v[34:35], v[18:19]
	v_fma_f64 v[30:31], v[10:11], v[34:35], v[42:43]
	;; [unrolled: 1-line block ×4, first 2 shown]
	ds_load_2addr_b64 v[26:29], v22 offset0:224 offset1:240
	s_wait_loadcnt_dscnt 0x0
	s_barrier_signal -1
	s_barrier_wait -1
	global_inv scope:SCOPE_SE
	v_fma_f64 v[18:19], v[26:27], v[36:37], v[18:19]
	v_fma_f64 v[12:13], v[28:29], v[36:37], v[30:31]
	;; [unrolled: 1-line block ×4, first 2 shown]
	s_wait_alu 0xfffe
	s_cbranch_vccnz .LBB72_5
	s_branch .LBB72_7
.LBB72_6:                               ;   in Loop: Header=BB72_3 Depth=1
	v_mov_b32_e32 v18, 0
	v_dual_mov_b32 v10, 0 :: v_dual_mov_b32 v19, 0
	v_dual_mov_b32 v12, 0 :: v_dual_mov_b32 v11, 0
	;; [unrolled: 1-line block ×3, first 2 shown]
	v_mov_b32_e32 v9, 0
.LBB72_7:                               ;   in Loop: Header=BB72_3 Depth=1
	s_mul_u64 s[18:19], s[24:25], s[2:3]
	s_and_b32 vcc_lo, exec_lo, s1
	s_wait_alu 0xfffe
	s_lshl_b64 s[18:19], s[18:19], 3
	s_wait_alu 0xfffe
	s_add_nc_u64 s[18:19], s[20:21], s[18:19]
	s_cbranch_vccnz .LBB72_9
; %bb.8:                                ;   in Loop: Header=BB72_3 Depth=1
	s_delay_alu instid0(VALU_DEP_4) | instskip(NEXT) | instid1(VALU_DEP_3)
	v_mul_f64_e32 v[14:15], s[6:7], v[18:19]
	v_mul_f64_e32 v[16:17], s[6:7], v[12:13]
	s_delay_alu instid0(VALU_DEP_4) | instskip(NEXT) | instid1(VALU_DEP_4)
	v_mul_f64_e32 v[26:27], s[6:7], v[10:11]
	v_mul_f64_e32 v[28:29], s[6:7], v[8:9]
	s_wait_alu 0xfffe
	v_add_co_u32 v30, vcc_lo, s18, v4
	s_wait_alu 0xfffd
	v_add_co_ci_u32_e64 v31, null, s19, v5, vcc_lo
	s_delay_alu instid0(VALU_DEP_2) | instskip(SKIP_1) | instid1(VALU_DEP_2)
	v_add_co_u32 v32, vcc_lo, v30, s16
	s_wait_alu 0xfffd
	v_add_co_ci_u32_e64 v33, null, s17, v31, vcc_lo
	v_add_co_u32 v30, vcc_lo, v30, v6
	s_wait_alu 0xfffd
	v_add_co_ci_u32_e64 v31, null, v31, v7, vcc_lo
	;; [unrolled: 3-line block ×3, first 2 shown]
	s_clause 0x3
	global_store_b64 v[30:31], v[14:15], off
	global_store_b64 v[30:31], v[16:17], off offset:128
	global_store_b64 v[32:33], v[26:27], off
	global_store_b64 v[32:33], v[28:29], off offset:128
	s_cbranch_execnz .LBB72_2
	s_branch .LBB72_10
.LBB72_9:                               ;   in Loop: Header=BB72_3 Depth=1
.LBB72_10:                              ;   in Loop: Header=BB72_3 Depth=1
	s_mul_u64 s[22:23], s[42:43], s[2:3]
	s_wait_alu 0xfffe
	s_lshl_b64 s[22:23], s[22:23], 3
	s_wait_alu 0xfffe
	v_add_co_u32 v26, vcc_lo, v24, s22
	s_wait_alu 0xfffd
	v_add_co_ci_u32_e64 v27, null, s23, v25, vcc_lo
	s_delay_alu instid0(VALU_DEP_2) | instskip(SKIP_1) | instid1(VALU_DEP_2)
	v_add_co_u32 v14, vcc_lo, v26, v6
	s_wait_alu 0xfffd
	v_add_co_ci_u32_e64 v15, null, v27, v7, vcc_lo
	v_add_co_u32 v28, vcc_lo, s18, v4
	s_wait_alu 0xfffd
	v_add_co_ci_u32_e64 v29, null, s19, v5, vcc_lo
	global_load_b64 v[16:17], v[14:15], off
	s_wait_loadcnt 0x0
	v_mul_f64_e32 v[16:17], s[36:37], v[16:17]
	s_delay_alu instid0(VALU_DEP_1)
	v_fma_f64 v[16:17], s[6:7], v[18:19], v[16:17]
	v_add_co_u32 v18, vcc_lo, v28, v6
	s_wait_alu 0xfffd
	v_add_co_ci_u32_e64 v19, null, v29, v7, vcc_lo
	global_store_b64 v[18:19], v[16:17], off
	global_load_b64 v[14:15], v[14:15], off offset:128
	s_wait_loadcnt 0x0
	v_mul_f64_e32 v[14:15], s[36:37], v[14:15]
	s_delay_alu instid0(VALU_DEP_1) | instskip(SKIP_3) | instid1(VALU_DEP_2)
	v_fma_f64 v[12:13], s[6:7], v[12:13], v[14:15]
	v_add_co_u32 v14, vcc_lo, v26, s12
	s_wait_alu 0xfffd
	v_add_co_ci_u32_e64 v15, null, s13, v27, vcc_lo
	v_add_co_u32 v14, vcc_lo, v14, v6
	s_wait_alu 0xfffd
	s_delay_alu instid0(VALU_DEP_2) | instskip(SKIP_4) | instid1(VALU_DEP_1)
	v_add_co_ci_u32_e64 v15, null, v15, v7, vcc_lo
	global_store_b64 v[18:19], v[12:13], off offset:128
	global_load_b64 v[12:13], v[14:15], off
	s_wait_loadcnt 0x0
	v_mul_f64_e32 v[12:13], s[36:37], v[12:13]
	v_fma_f64 v[10:11], s[6:7], v[10:11], v[12:13]
	v_add_co_u32 v12, vcc_lo, v28, s16
	s_wait_alu 0xfffd
	v_add_co_ci_u32_e64 v13, null, s17, v29, vcc_lo
	s_delay_alu instid0(VALU_DEP_2) | instskip(SKIP_1) | instid1(VALU_DEP_2)
	v_add_co_u32 v12, vcc_lo, v12, v6
	s_wait_alu 0xfffd
	v_add_co_ci_u32_e64 v13, null, v13, v7, vcc_lo
	global_store_b64 v[12:13], v[10:11], off
	global_load_b64 v[10:11], v[14:15], off offset:128
	s_wait_loadcnt 0x0
	v_mul_f64_e32 v[10:11], s[36:37], v[10:11]
	s_delay_alu instid0(VALU_DEP_1)
	v_fma_f64 v[8:9], s[6:7], v[8:9], v[10:11]
	global_store_b64 v[12:13], v[8:9], off offset:128
	s_branch .LBB72_2
.LBB72_11:
	s_endpgm
	.section	.rodata,"a",@progbits
	.p2align	6, 0x0
	.amdhsa_kernel _ZN12_GLOBAL__N_127rocblas_gemm_batched_kernelIdLi16ELi16ELi32ELi32ELi8ELi32ELi8ELi8ELi32ELc84ELc84EKdS1_dEEvlllT_PT11_llS4_llS2_PT12_llPT13_lli
		.amdhsa_group_segment_fixed_size 4096
		.amdhsa_private_segment_fixed_size 0
		.amdhsa_kernarg_size 140
		.amdhsa_user_sgpr_count 2
		.amdhsa_user_sgpr_dispatch_ptr 0
		.amdhsa_user_sgpr_queue_ptr 0
		.amdhsa_user_sgpr_kernarg_segment_ptr 1
		.amdhsa_user_sgpr_dispatch_id 0
		.amdhsa_user_sgpr_private_segment_size 0
		.amdhsa_wavefront_size32 1
		.amdhsa_uses_dynamic_stack 0
		.amdhsa_enable_private_segment 0
		.amdhsa_system_sgpr_workgroup_id_x 1
		.amdhsa_system_sgpr_workgroup_id_y 1
		.amdhsa_system_sgpr_workgroup_id_z 1
		.amdhsa_system_sgpr_workgroup_info 0
		.amdhsa_system_vgpr_workitem_id 1
		.amdhsa_next_free_vgpr 46
		.amdhsa_next_free_sgpr 44
		.amdhsa_reserve_vcc 1
		.amdhsa_float_round_mode_32 0
		.amdhsa_float_round_mode_16_64 0
		.amdhsa_float_denorm_mode_32 3
		.amdhsa_float_denorm_mode_16_64 3
		.amdhsa_fp16_overflow 0
		.amdhsa_workgroup_processor_mode 1
		.amdhsa_memory_ordered 1
		.amdhsa_forward_progress 1
		.amdhsa_inst_pref_size 15
		.amdhsa_round_robin_scheduling 0
		.amdhsa_exception_fp_ieee_invalid_op 0
		.amdhsa_exception_fp_denorm_src 0
		.amdhsa_exception_fp_ieee_div_zero 0
		.amdhsa_exception_fp_ieee_overflow 0
		.amdhsa_exception_fp_ieee_underflow 0
		.amdhsa_exception_fp_ieee_inexact 0
		.amdhsa_exception_int_div_zero 0
	.end_amdhsa_kernel
	.section	.text._ZN12_GLOBAL__N_127rocblas_gemm_batched_kernelIdLi16ELi16ELi32ELi32ELi8ELi32ELi8ELi8ELi32ELc84ELc84EKdS1_dEEvlllT_PT11_llS4_llS2_PT12_llPT13_lli,"axG",@progbits,_ZN12_GLOBAL__N_127rocblas_gemm_batched_kernelIdLi16ELi16ELi32ELi32ELi8ELi32ELi8ELi8ELi32ELc84ELc84EKdS1_dEEvlllT_PT11_llS4_llS2_PT12_llPT13_lli,comdat
.Lfunc_end72:
	.size	_ZN12_GLOBAL__N_127rocblas_gemm_batched_kernelIdLi16ELi16ELi32ELi32ELi8ELi32ELi8ELi8ELi32ELc84ELc84EKdS1_dEEvlllT_PT11_llS4_llS2_PT12_llPT13_lli, .Lfunc_end72-_ZN12_GLOBAL__N_127rocblas_gemm_batched_kernelIdLi16ELi16ELi32ELi32ELi8ELi32ELi8ELi8ELi32ELc84ELc84EKdS1_dEEvlllT_PT11_llS4_llS2_PT12_llPT13_lli
                                        ; -- End function
	.set _ZN12_GLOBAL__N_127rocblas_gemm_batched_kernelIdLi16ELi16ELi32ELi32ELi8ELi32ELi8ELi8ELi32ELc84ELc84EKdS1_dEEvlllT_PT11_llS4_llS2_PT12_llPT13_lli.num_vgpr, 46
	.set _ZN12_GLOBAL__N_127rocblas_gemm_batched_kernelIdLi16ELi16ELi32ELi32ELi8ELi32ELi8ELi8ELi32ELc84ELc84EKdS1_dEEvlllT_PT11_llS4_llS2_PT12_llPT13_lli.num_agpr, 0
	.set _ZN12_GLOBAL__N_127rocblas_gemm_batched_kernelIdLi16ELi16ELi32ELi32ELi8ELi32ELi8ELi8ELi32ELc84ELc84EKdS1_dEEvlllT_PT11_llS4_llS2_PT12_llPT13_lli.numbered_sgpr, 44
	.set _ZN12_GLOBAL__N_127rocblas_gemm_batched_kernelIdLi16ELi16ELi32ELi32ELi8ELi32ELi8ELi8ELi32ELc84ELc84EKdS1_dEEvlllT_PT11_llS4_llS2_PT12_llPT13_lli.num_named_barrier, 0
	.set _ZN12_GLOBAL__N_127rocblas_gemm_batched_kernelIdLi16ELi16ELi32ELi32ELi8ELi32ELi8ELi8ELi32ELc84ELc84EKdS1_dEEvlllT_PT11_llS4_llS2_PT12_llPT13_lli.private_seg_size, 0
	.set _ZN12_GLOBAL__N_127rocblas_gemm_batched_kernelIdLi16ELi16ELi32ELi32ELi8ELi32ELi8ELi8ELi32ELc84ELc84EKdS1_dEEvlllT_PT11_llS4_llS2_PT12_llPT13_lli.uses_vcc, 1
	.set _ZN12_GLOBAL__N_127rocblas_gemm_batched_kernelIdLi16ELi16ELi32ELi32ELi8ELi32ELi8ELi8ELi32ELc84ELc84EKdS1_dEEvlllT_PT11_llS4_llS2_PT12_llPT13_lli.uses_flat_scratch, 0
	.set _ZN12_GLOBAL__N_127rocblas_gemm_batched_kernelIdLi16ELi16ELi32ELi32ELi8ELi32ELi8ELi8ELi32ELc84ELc84EKdS1_dEEvlllT_PT11_llS4_llS2_PT12_llPT13_lli.has_dyn_sized_stack, 0
	.set _ZN12_GLOBAL__N_127rocblas_gemm_batched_kernelIdLi16ELi16ELi32ELi32ELi8ELi32ELi8ELi8ELi32ELc84ELc84EKdS1_dEEvlllT_PT11_llS4_llS2_PT12_llPT13_lli.has_recursion, 0
	.set _ZN12_GLOBAL__N_127rocblas_gemm_batched_kernelIdLi16ELi16ELi32ELi32ELi8ELi32ELi8ELi8ELi32ELc84ELc84EKdS1_dEEvlllT_PT11_llS4_llS2_PT12_llPT13_lli.has_indirect_call, 0
	.section	.AMDGPU.csdata,"",@progbits
; Kernel info:
; codeLenInByte = 1832
; TotalNumSgprs: 46
; NumVgprs: 46
; ScratchSize: 0
; MemoryBound: 0
; FloatMode: 240
; IeeeMode: 1
; LDSByteSize: 4096 bytes/workgroup (compile time only)
; SGPRBlocks: 0
; VGPRBlocks: 5
; NumSGPRsForWavesPerEU: 46
; NumVGPRsForWavesPerEU: 46
; Occupancy: 16
; WaveLimiterHint : 1
; COMPUTE_PGM_RSRC2:SCRATCH_EN: 0
; COMPUTE_PGM_RSRC2:USER_SGPR: 2
; COMPUTE_PGM_RSRC2:TRAP_HANDLER: 0
; COMPUTE_PGM_RSRC2:TGID_X_EN: 1
; COMPUTE_PGM_RSRC2:TGID_Y_EN: 1
; COMPUTE_PGM_RSRC2:TGID_Z_EN: 1
; COMPUTE_PGM_RSRC2:TIDIG_COMP_CNT: 1
	.section	.text._ZN12_GLOBAL__N_127rocblas_gemm_batched_kernelIdLi16ELi16ELi32ELi32ELi8ELi32ELi8ELi8ELi32ELc67ELc67EKdS1_dEEvlllT_PT11_llS4_llS2_PT12_llPT13_lli,"axG",@progbits,_ZN12_GLOBAL__N_127rocblas_gemm_batched_kernelIdLi16ELi16ELi32ELi32ELi8ELi32ELi8ELi8ELi32ELc67ELc67EKdS1_dEEvlllT_PT11_llS4_llS2_PT12_llPT13_lli,comdat
	.globl	_ZN12_GLOBAL__N_127rocblas_gemm_batched_kernelIdLi16ELi16ELi32ELi32ELi8ELi32ELi8ELi8ELi32ELc67ELc67EKdS1_dEEvlllT_PT11_llS4_llS2_PT12_llPT13_lli ; -- Begin function _ZN12_GLOBAL__N_127rocblas_gemm_batched_kernelIdLi16ELi16ELi32ELi32ELi8ELi32ELi8ELi8ELi32ELc67ELc67EKdS1_dEEvlllT_PT11_llS4_llS2_PT12_llPT13_lli
	.p2align	8
	.type	_ZN12_GLOBAL__N_127rocblas_gemm_batched_kernelIdLi16ELi16ELi32ELi32ELi8ELi32ELi8ELi8ELi32ELc67ELc67EKdS1_dEEvlllT_PT11_llS4_llS2_PT12_llPT13_lli,@function
_ZN12_GLOBAL__N_127rocblas_gemm_batched_kernelIdLi16ELi16ELi32ELi32ELi8ELi32ELi8ELi8ELi32ELc67ELc67EKdS1_dEEvlllT_PT11_llS4_llS2_PT12_llPT13_lli: ; @_ZN12_GLOBAL__N_127rocblas_gemm_batched_kernelIdLi16ELi16ELi32ELi32ELi8ELi32ELi8ELi8ELi32ELc67ELc67EKdS1_dEEvlllT_PT11_llS4_llS2_PT12_llPT13_lli
; %bb.0:
	s_load_b32 s28, s[0:1], 0x88
	s_lshr_b32 s2, ttmp7, 16
	s_wait_kmcnt 0x0
	s_cmp_ge_i32 s2, s28
	s_cbranch_scc1 .LBB73_11
; %bb.1:
	s_clause 0x2
	s_load_b256 s[20:27], s[0:1], 0x70
	s_load_b512 s[4:19], s[0:1], 0x10
	s_load_b256 s[36:43], s[0:1], 0x50
	v_dual_mov_b32 v1, 0 :: v_dual_and_b32 v8, 0x3ff, v0
	v_bfe_u32 v6, v0, 10, 10
	v_and_b32_e32 v9, 7, v0
	s_lshl_b32 s0, ttmp7, 5
	s_mov_b32 s30, ttmp9
	s_wait_kmcnt 0x0
	s_and_b32 s26, s0, 0x1fffe0
	v_lshl_add_u32 v2, v6, 4, v8
	v_add_nc_u32_e32 v7, s26, v6
	v_lshlrev_b32_e32 v3, 3, v9
	v_lshl_add_u32 v23, v6, 6, 0x800
	s_ashr_i32 s31, ttmp9, 31
	v_lshrrev_b32_e32 v0, 3, v2
	v_and_b32_e32 v10, 31, v2
	v_lshrrev_b32_e32 v12, 5, v2
	s_lshl_b64 s[0:1], s[30:31], 5
	v_lshlrev_b32_e32 v22, 3, v8
	v_mad_co_u64_u32 v[4:5], null, v7, s22, 0
	v_lshl_or_b32 v13, v0, 6, v3
	v_mad_co_u64_u32 v[2:3], null, v7, s40, 0
	v_mad_co_u64_u32 v[0:1], null, s16, v9, v[0:1]
	s_delay_alu instid0(VALU_DEP_3)
	v_add_nc_u32_e32 v21, 0x800, v13
	v_mad_co_u64_u32 v[5:6], null, v7, s23, v[5:6]
	s_lshl_b64 s[22:23], s[22:23], 4
	v_mad_co_u64_u32 v[6:7], null, v7, s41, v[3:4]
	v_add_co_u32 v0, vcc_lo, v0, s26
	v_add_co_u32 v7, s27, s0, v8
	s_wait_alu 0xf1ff
	v_add_co_ci_u32_e64 v8, null, s1, 0, s27
	s_delay_alu instid0(VALU_DEP_4) | instskip(SKIP_4) | instid1(VALU_DEP_2)
	v_mov_b32_e32 v3, v6
	v_lshlrev_b32_e32 v11, 3, v10
	v_lshlrev_b64_e32 v[4:5], 3, v[4:5]
	s_lshl_b64 s[26:27], s[40:41], 4
	s_mov_b32 s3, 0
	v_lshl_or_b32 v20, v12, 8, v11
	v_or_b32_e32 v11, s0, v10
	v_mad_co_u64_u32 v[9:10], null, s17, v9, v[1:2]
	v_lshlrev_b64_e32 v[2:3], 3, v[2:3]
	s_mul_i32 s0, s10, s1
	s_delay_alu instid0(VALU_DEP_3)
	v_mul_lo_u32 v6, s11, v11
	v_mad_co_u64_u32 v[10:11], null, s10, v11, 0
	s_lshl_b64 s[10:11], s[18:19], 3
	v_add_co_ci_u32_e64 v1, null, 0, v9, vcc_lo
	v_add_co_u32 v24, vcc_lo, s38, v2
	s_wait_alu 0xfffd
	v_add_co_ci_u32_e64 v25, null, s39, v3, vcc_lo
	s_wait_alu 0xfffe
	v_add3_u32 v11, v11, s0, v6
	v_lshlrev_b64_e32 v[0:1], 3, v[0:1]
	v_cmp_gt_i64_e64 s0, s[4:5], 0
	v_lshlrev_b32_e32 v6, 3, v12
	s_delay_alu instid0(VALU_DEP_4) | instskip(NEXT) | instid1(VALU_DEP_4)
	v_lshlrev_b64_e32 v[2:3], 3, v[10:11]
	v_add_co_u32 v0, vcc_lo, s14, v0
	s_wait_alu 0xfffd
	v_add_co_ci_u32_e64 v1, null, s15, v1, vcc_lo
	s_delay_alu instid0(VALU_DEP_3)
	v_add_co_u32 v2, vcc_lo, v2, v6
	s_wait_alu 0xf1ff
	v_cndmask_b32_e64 v6, 0, 1, s0
	v_cmp_eq_f64_e64 s0, s[36:37], 0
	s_wait_alu 0xfffd
	v_add_co_ci_u32_e64 v3, null, 0, v3, vcc_lo
	v_add_co_u32 v2, vcc_lo, s8, v2
	s_lshl_b64 s[14:15], s[16:17], 6
	s_wait_alu 0xfffd
	v_add_co_ci_u32_e64 v3, null, s9, v3, vcc_lo
	s_lshl_b64 s[8:9], s[12:13], 3
	s_lshl_b64 s[12:13], s[26:27], 3
	;; [unrolled: 1-line block ×3, first 2 shown]
	v_cndmask_b32_e64 v9, 0, 1, s0
	v_cmp_ne_u32_e64 s0, 1, v6
	v_lshlrev_b64_e32 v[6:7], 3, v[7:8]
	s_delay_alu instid0(VALU_DEP_3)
	v_cmp_ne_u32_e64 s1, 1, v9
	s_branch .LBB73_3
.LBB73_2:                               ;   in Loop: Header=BB73_3 Depth=1
	s_add_co_i32 s2, s2, 0x10000
	s_wait_alu 0xfffe
	s_cmp_lt_i32 s2, s28
	s_cbranch_scc0 .LBB73_11
.LBB73_3:                               ; =>This Loop Header: Depth=1
                                        ;     Child Loop BB73_5 Depth 2
	s_delay_alu instid0(VALU_DEP_3)
	s_and_b32 vcc_lo, exec_lo, s0
	s_wait_alu 0xfffe
	s_cbranch_vccnz .LBB73_6
; %bb.4:                                ;   in Loop: Header=BB73_3 Depth=1
	v_mad_co_u64_u32 v[14:15], null, s10, s2, v[0:1]
	v_mad_co_u64_u32 v[16:17], null, s8, s2, v[2:3]
	v_mov_b32_e32 v12, 0
	v_mov_b32_e32 v13, 0
	s_mov_b64 s[18:19], 0
	s_delay_alu instid0(VALU_DEP_3) | instskip(NEXT) | instid1(VALU_DEP_1)
	v_dual_mov_b32 v8, v15 :: v_dual_mov_b32 v9, v17
	v_mad_co_u64_u32 v[17:18], null, s11, s2, v[8:9]
	v_mad_co_u64_u32 v[26:27], null, s9, s2, v[9:10]
	v_mov_b32_e32 v8, 0
	v_dual_mov_b32 v9, 0 :: v_dual_mov_b32 v10, 0
	v_dual_mov_b32 v18, 0 :: v_dual_mov_b32 v11, 0
	v_mov_b32_e32 v19, 0
	v_mov_b32_e32 v15, v17
	;; [unrolled: 1-line block ×3, first 2 shown]
.LBB73_5:                               ;   Parent Loop BB73_3 Depth=1
                                        ; =>  This Inner Loop Header: Depth=2
	global_load_b64 v[26:27], v[16:17], off
	global_load_b64 v[28:29], v[14:15], off
	s_wait_alu 0xfffe
	s_add_nc_u64 s[18:19], s[18:19], 8
	v_add_co_u32 v14, vcc_lo, v14, s14
	s_wait_alu 0xfffe
	v_cmp_lt_i64_e64 s22, s[18:19], s[4:5]
	s_wait_alu 0xfffd
	v_add_co_ci_u32_e64 v15, null, s15, v15, vcc_lo
	v_add_co_u32 v16, vcc_lo, v16, 64
	s_wait_alu 0xfffd
	v_add_co_ci_u32_e64 v17, null, 0, v17, vcc_lo
	s_and_b32 vcc_lo, exec_lo, s22
	s_wait_loadcnt 0x1
	ds_store_b64 v20, v[26:27]
	s_wait_loadcnt 0x0
	ds_store_b64 v21, v[28:29]
	s_wait_dscnt 0x0
	s_barrier_signal -1
	s_barrier_wait -1
	global_inv scope:SCOPE_SE
	ds_load_b128 v[26:29], v23
	ds_load_2addr_b64 v[30:33], v22 offset1:16
	ds_load_b128 v[34:37], v23 offset:1024
	ds_load_b128 v[38:41], v23 offset:16
	;; [unrolled: 1-line block ×3, first 2 shown]
	s_wait_dscnt 0x3
	v_fma_f64 v[18:19], v[30:31], v[26:27], v[18:19]
	v_fma_f64 v[12:13], v[32:33], v[26:27], v[12:13]
	s_wait_dscnt 0x2
	v_fma_f64 v[26:27], v[30:31], v[34:35], v[10:11]
	v_fma_f64 v[30:31], v[32:33], v[34:35], v[8:9]
	ds_load_2addr_b64 v[8:11], v22 offset0:32 offset1:48
	s_wait_dscnt 0x0
	v_fma_f64 v[18:19], v[8:9], v[28:29], v[18:19]
	v_fma_f64 v[12:13], v[10:11], v[28:29], v[12:13]
	v_fma_f64 v[26:27], v[8:9], v[36:37], v[26:27]
	v_fma_f64 v[28:29], v[10:11], v[36:37], v[30:31]
	ds_load_2addr_b64 v[8:11], v22 offset0:64 offset1:80
	s_wait_dscnt 0x0
	v_fma_f64 v[18:19], v[8:9], v[38:39], v[18:19]
	v_fma_f64 v[12:13], v[10:11], v[38:39], v[12:13]
	;; [unrolled: 6-line block ×3, first 2 shown]
	v_fma_f64 v[42:43], v[8:9], v[44:45], v[26:27]
	v_fma_f64 v[44:45], v[10:11], v[44:45], v[28:29]
	ds_load_b128 v[8:11], v23 offset:32
	ds_load_2addr_b64 v[26:29], v22 offset0:128 offset1:144
	ds_load_b128 v[30:33], v23 offset:1056
	ds_load_b128 v[34:37], v23 offset:48
	;; [unrolled: 1-line block ×3, first 2 shown]
	s_wait_dscnt 0x3
	v_fma_f64 v[18:19], v[26:27], v[8:9], v[18:19]
	v_fma_f64 v[8:9], v[28:29], v[8:9], v[12:13]
	s_wait_dscnt 0x2
	v_fma_f64 v[12:13], v[26:27], v[30:31], v[42:43]
	v_fma_f64 v[30:31], v[28:29], v[30:31], v[44:45]
	ds_load_2addr_b64 v[26:29], v22 offset0:160 offset1:176
	s_wait_dscnt 0x0
	v_fma_f64 v[18:19], v[26:27], v[10:11], v[18:19]
	v_fma_f64 v[42:43], v[28:29], v[10:11], v[8:9]
	;; [unrolled: 1-line block ×4, first 2 shown]
	ds_load_2addr_b64 v[8:11], v22 offset0:192 offset1:208
	s_wait_dscnt 0x0
	v_fma_f64 v[18:19], v[8:9], v[34:35], v[18:19]
	v_fma_f64 v[30:31], v[10:11], v[34:35], v[42:43]
	;; [unrolled: 1-line block ×4, first 2 shown]
	ds_load_2addr_b64 v[26:29], v22 offset0:224 offset1:240
	s_wait_loadcnt_dscnt 0x0
	s_barrier_signal -1
	s_barrier_wait -1
	global_inv scope:SCOPE_SE
	v_fma_f64 v[18:19], v[26:27], v[36:37], v[18:19]
	v_fma_f64 v[12:13], v[28:29], v[36:37], v[30:31]
	;; [unrolled: 1-line block ×4, first 2 shown]
	s_wait_alu 0xfffe
	s_cbranch_vccnz .LBB73_5
	s_branch .LBB73_7
.LBB73_6:                               ;   in Loop: Header=BB73_3 Depth=1
	v_mov_b32_e32 v18, 0
	v_dual_mov_b32 v10, 0 :: v_dual_mov_b32 v19, 0
	v_dual_mov_b32 v12, 0 :: v_dual_mov_b32 v11, 0
	v_dual_mov_b32 v8, 0 :: v_dual_mov_b32 v13, 0
	v_mov_b32_e32 v9, 0
.LBB73_7:                               ;   in Loop: Header=BB73_3 Depth=1
	s_mul_u64 s[18:19], s[24:25], s[2:3]
	s_and_b32 vcc_lo, exec_lo, s1
	s_wait_alu 0xfffe
	s_lshl_b64 s[18:19], s[18:19], 3
	s_wait_alu 0xfffe
	s_add_nc_u64 s[18:19], s[20:21], s[18:19]
	s_cbranch_vccnz .LBB73_9
; %bb.8:                                ;   in Loop: Header=BB73_3 Depth=1
	s_delay_alu instid0(VALU_DEP_4) | instskip(NEXT) | instid1(VALU_DEP_3)
	v_mul_f64_e32 v[14:15], s[6:7], v[18:19]
	v_mul_f64_e32 v[16:17], s[6:7], v[12:13]
	s_delay_alu instid0(VALU_DEP_4) | instskip(NEXT) | instid1(VALU_DEP_4)
	v_mul_f64_e32 v[26:27], s[6:7], v[10:11]
	v_mul_f64_e32 v[28:29], s[6:7], v[8:9]
	s_wait_alu 0xfffe
	v_add_co_u32 v30, vcc_lo, s18, v4
	s_wait_alu 0xfffd
	v_add_co_ci_u32_e64 v31, null, s19, v5, vcc_lo
	s_delay_alu instid0(VALU_DEP_2) | instskip(SKIP_1) | instid1(VALU_DEP_2)
	v_add_co_u32 v32, vcc_lo, v30, s16
	s_wait_alu 0xfffd
	v_add_co_ci_u32_e64 v33, null, s17, v31, vcc_lo
	v_add_co_u32 v30, vcc_lo, v30, v6
	s_wait_alu 0xfffd
	v_add_co_ci_u32_e64 v31, null, v31, v7, vcc_lo
	;; [unrolled: 3-line block ×3, first 2 shown]
	s_clause 0x3
	global_store_b64 v[30:31], v[14:15], off
	global_store_b64 v[30:31], v[16:17], off offset:128
	global_store_b64 v[32:33], v[26:27], off
	global_store_b64 v[32:33], v[28:29], off offset:128
	s_cbranch_execnz .LBB73_2
	s_branch .LBB73_10
.LBB73_9:                               ;   in Loop: Header=BB73_3 Depth=1
.LBB73_10:                              ;   in Loop: Header=BB73_3 Depth=1
	s_mul_u64 s[22:23], s[42:43], s[2:3]
	s_wait_alu 0xfffe
	s_lshl_b64 s[22:23], s[22:23], 3
	s_wait_alu 0xfffe
	v_add_co_u32 v26, vcc_lo, v24, s22
	s_wait_alu 0xfffd
	v_add_co_ci_u32_e64 v27, null, s23, v25, vcc_lo
	s_delay_alu instid0(VALU_DEP_2) | instskip(SKIP_1) | instid1(VALU_DEP_2)
	v_add_co_u32 v14, vcc_lo, v26, v6
	s_wait_alu 0xfffd
	v_add_co_ci_u32_e64 v15, null, v27, v7, vcc_lo
	v_add_co_u32 v28, vcc_lo, s18, v4
	s_wait_alu 0xfffd
	v_add_co_ci_u32_e64 v29, null, s19, v5, vcc_lo
	global_load_b64 v[16:17], v[14:15], off
	s_wait_loadcnt 0x0
	v_mul_f64_e32 v[16:17], s[36:37], v[16:17]
	s_delay_alu instid0(VALU_DEP_1)
	v_fma_f64 v[16:17], s[6:7], v[18:19], v[16:17]
	v_add_co_u32 v18, vcc_lo, v28, v6
	s_wait_alu 0xfffd
	v_add_co_ci_u32_e64 v19, null, v29, v7, vcc_lo
	global_store_b64 v[18:19], v[16:17], off
	global_load_b64 v[14:15], v[14:15], off offset:128
	s_wait_loadcnt 0x0
	v_mul_f64_e32 v[14:15], s[36:37], v[14:15]
	s_delay_alu instid0(VALU_DEP_1) | instskip(SKIP_3) | instid1(VALU_DEP_2)
	v_fma_f64 v[12:13], s[6:7], v[12:13], v[14:15]
	v_add_co_u32 v14, vcc_lo, v26, s12
	s_wait_alu 0xfffd
	v_add_co_ci_u32_e64 v15, null, s13, v27, vcc_lo
	v_add_co_u32 v14, vcc_lo, v14, v6
	s_wait_alu 0xfffd
	s_delay_alu instid0(VALU_DEP_2) | instskip(SKIP_4) | instid1(VALU_DEP_1)
	v_add_co_ci_u32_e64 v15, null, v15, v7, vcc_lo
	global_store_b64 v[18:19], v[12:13], off offset:128
	global_load_b64 v[12:13], v[14:15], off
	s_wait_loadcnt 0x0
	v_mul_f64_e32 v[12:13], s[36:37], v[12:13]
	v_fma_f64 v[10:11], s[6:7], v[10:11], v[12:13]
	v_add_co_u32 v12, vcc_lo, v28, s16
	s_wait_alu 0xfffd
	v_add_co_ci_u32_e64 v13, null, s17, v29, vcc_lo
	s_delay_alu instid0(VALU_DEP_2) | instskip(SKIP_1) | instid1(VALU_DEP_2)
	v_add_co_u32 v12, vcc_lo, v12, v6
	s_wait_alu 0xfffd
	v_add_co_ci_u32_e64 v13, null, v13, v7, vcc_lo
	global_store_b64 v[12:13], v[10:11], off
	global_load_b64 v[10:11], v[14:15], off offset:128
	s_wait_loadcnt 0x0
	v_mul_f64_e32 v[10:11], s[36:37], v[10:11]
	s_delay_alu instid0(VALU_DEP_1)
	v_fma_f64 v[8:9], s[6:7], v[8:9], v[10:11]
	global_store_b64 v[12:13], v[8:9], off offset:128
	s_branch .LBB73_2
.LBB73_11:
	s_endpgm
	.section	.rodata,"a",@progbits
	.p2align	6, 0x0
	.amdhsa_kernel _ZN12_GLOBAL__N_127rocblas_gemm_batched_kernelIdLi16ELi16ELi32ELi32ELi8ELi32ELi8ELi8ELi32ELc67ELc67EKdS1_dEEvlllT_PT11_llS4_llS2_PT12_llPT13_lli
		.amdhsa_group_segment_fixed_size 4096
		.amdhsa_private_segment_fixed_size 0
		.amdhsa_kernarg_size 140
		.amdhsa_user_sgpr_count 2
		.amdhsa_user_sgpr_dispatch_ptr 0
		.amdhsa_user_sgpr_queue_ptr 0
		.amdhsa_user_sgpr_kernarg_segment_ptr 1
		.amdhsa_user_sgpr_dispatch_id 0
		.amdhsa_user_sgpr_private_segment_size 0
		.amdhsa_wavefront_size32 1
		.amdhsa_uses_dynamic_stack 0
		.amdhsa_enable_private_segment 0
		.amdhsa_system_sgpr_workgroup_id_x 1
		.amdhsa_system_sgpr_workgroup_id_y 1
		.amdhsa_system_sgpr_workgroup_id_z 1
		.amdhsa_system_sgpr_workgroup_info 0
		.amdhsa_system_vgpr_workitem_id 1
		.amdhsa_next_free_vgpr 46
		.amdhsa_next_free_sgpr 44
		.amdhsa_reserve_vcc 1
		.amdhsa_float_round_mode_32 0
		.amdhsa_float_round_mode_16_64 0
		.amdhsa_float_denorm_mode_32 3
		.amdhsa_float_denorm_mode_16_64 3
		.amdhsa_fp16_overflow 0
		.amdhsa_workgroup_processor_mode 1
		.amdhsa_memory_ordered 1
		.amdhsa_forward_progress 1
		.amdhsa_inst_pref_size 15
		.amdhsa_round_robin_scheduling 0
		.amdhsa_exception_fp_ieee_invalid_op 0
		.amdhsa_exception_fp_denorm_src 0
		.amdhsa_exception_fp_ieee_div_zero 0
		.amdhsa_exception_fp_ieee_overflow 0
		.amdhsa_exception_fp_ieee_underflow 0
		.amdhsa_exception_fp_ieee_inexact 0
		.amdhsa_exception_int_div_zero 0
	.end_amdhsa_kernel
	.section	.text._ZN12_GLOBAL__N_127rocblas_gemm_batched_kernelIdLi16ELi16ELi32ELi32ELi8ELi32ELi8ELi8ELi32ELc67ELc67EKdS1_dEEvlllT_PT11_llS4_llS2_PT12_llPT13_lli,"axG",@progbits,_ZN12_GLOBAL__N_127rocblas_gemm_batched_kernelIdLi16ELi16ELi32ELi32ELi8ELi32ELi8ELi8ELi32ELc67ELc67EKdS1_dEEvlllT_PT11_llS4_llS2_PT12_llPT13_lli,comdat
.Lfunc_end73:
	.size	_ZN12_GLOBAL__N_127rocblas_gemm_batched_kernelIdLi16ELi16ELi32ELi32ELi8ELi32ELi8ELi8ELi32ELc67ELc67EKdS1_dEEvlllT_PT11_llS4_llS2_PT12_llPT13_lli, .Lfunc_end73-_ZN12_GLOBAL__N_127rocblas_gemm_batched_kernelIdLi16ELi16ELi32ELi32ELi8ELi32ELi8ELi8ELi32ELc67ELc67EKdS1_dEEvlllT_PT11_llS4_llS2_PT12_llPT13_lli
                                        ; -- End function
	.set _ZN12_GLOBAL__N_127rocblas_gemm_batched_kernelIdLi16ELi16ELi32ELi32ELi8ELi32ELi8ELi8ELi32ELc67ELc67EKdS1_dEEvlllT_PT11_llS4_llS2_PT12_llPT13_lli.num_vgpr, 46
	.set _ZN12_GLOBAL__N_127rocblas_gemm_batched_kernelIdLi16ELi16ELi32ELi32ELi8ELi32ELi8ELi8ELi32ELc67ELc67EKdS1_dEEvlllT_PT11_llS4_llS2_PT12_llPT13_lli.num_agpr, 0
	.set _ZN12_GLOBAL__N_127rocblas_gemm_batched_kernelIdLi16ELi16ELi32ELi32ELi8ELi32ELi8ELi8ELi32ELc67ELc67EKdS1_dEEvlllT_PT11_llS4_llS2_PT12_llPT13_lli.numbered_sgpr, 44
	.set _ZN12_GLOBAL__N_127rocblas_gemm_batched_kernelIdLi16ELi16ELi32ELi32ELi8ELi32ELi8ELi8ELi32ELc67ELc67EKdS1_dEEvlllT_PT11_llS4_llS2_PT12_llPT13_lli.num_named_barrier, 0
	.set _ZN12_GLOBAL__N_127rocblas_gemm_batched_kernelIdLi16ELi16ELi32ELi32ELi8ELi32ELi8ELi8ELi32ELc67ELc67EKdS1_dEEvlllT_PT11_llS4_llS2_PT12_llPT13_lli.private_seg_size, 0
	.set _ZN12_GLOBAL__N_127rocblas_gemm_batched_kernelIdLi16ELi16ELi32ELi32ELi8ELi32ELi8ELi8ELi32ELc67ELc67EKdS1_dEEvlllT_PT11_llS4_llS2_PT12_llPT13_lli.uses_vcc, 1
	.set _ZN12_GLOBAL__N_127rocblas_gemm_batched_kernelIdLi16ELi16ELi32ELi32ELi8ELi32ELi8ELi8ELi32ELc67ELc67EKdS1_dEEvlllT_PT11_llS4_llS2_PT12_llPT13_lli.uses_flat_scratch, 0
	.set _ZN12_GLOBAL__N_127rocblas_gemm_batched_kernelIdLi16ELi16ELi32ELi32ELi8ELi32ELi8ELi8ELi32ELc67ELc67EKdS1_dEEvlllT_PT11_llS4_llS2_PT12_llPT13_lli.has_dyn_sized_stack, 0
	.set _ZN12_GLOBAL__N_127rocblas_gemm_batched_kernelIdLi16ELi16ELi32ELi32ELi8ELi32ELi8ELi8ELi32ELc67ELc67EKdS1_dEEvlllT_PT11_llS4_llS2_PT12_llPT13_lli.has_recursion, 0
	.set _ZN12_GLOBAL__N_127rocblas_gemm_batched_kernelIdLi16ELi16ELi32ELi32ELi8ELi32ELi8ELi8ELi32ELc67ELc67EKdS1_dEEvlllT_PT11_llS4_llS2_PT12_llPT13_lli.has_indirect_call, 0
	.section	.AMDGPU.csdata,"",@progbits
; Kernel info:
; codeLenInByte = 1832
; TotalNumSgprs: 46
; NumVgprs: 46
; ScratchSize: 0
; MemoryBound: 0
; FloatMode: 240
; IeeeMode: 1
; LDSByteSize: 4096 bytes/workgroup (compile time only)
; SGPRBlocks: 0
; VGPRBlocks: 5
; NumSGPRsForWavesPerEU: 46
; NumVGPRsForWavesPerEU: 46
; Occupancy: 16
; WaveLimiterHint : 1
; COMPUTE_PGM_RSRC2:SCRATCH_EN: 0
; COMPUTE_PGM_RSRC2:USER_SGPR: 2
; COMPUTE_PGM_RSRC2:TRAP_HANDLER: 0
; COMPUTE_PGM_RSRC2:TGID_X_EN: 1
; COMPUTE_PGM_RSRC2:TGID_Y_EN: 1
; COMPUTE_PGM_RSRC2:TGID_Z_EN: 1
; COMPUTE_PGM_RSRC2:TIDIG_COMP_CNT: 1
	.section	.text._ZN12_GLOBAL__N_127rocblas_gemm_batched_kernelIdLi16ELi16ELi32ELi32ELi8ELi32ELi8ELi8ELi32ELc67ELc78EKdS1_dEEvlllT_PT11_llS4_llS2_PT12_llPT13_lli,"axG",@progbits,_ZN12_GLOBAL__N_127rocblas_gemm_batched_kernelIdLi16ELi16ELi32ELi32ELi8ELi32ELi8ELi8ELi32ELc67ELc78EKdS1_dEEvlllT_PT11_llS4_llS2_PT12_llPT13_lli,comdat
	.globl	_ZN12_GLOBAL__N_127rocblas_gemm_batched_kernelIdLi16ELi16ELi32ELi32ELi8ELi32ELi8ELi8ELi32ELc67ELc78EKdS1_dEEvlllT_PT11_llS4_llS2_PT12_llPT13_lli ; -- Begin function _ZN12_GLOBAL__N_127rocblas_gemm_batched_kernelIdLi16ELi16ELi32ELi32ELi8ELi32ELi8ELi8ELi32ELc67ELc78EKdS1_dEEvlllT_PT11_llS4_llS2_PT12_llPT13_lli
	.p2align	8
	.type	_ZN12_GLOBAL__N_127rocblas_gemm_batched_kernelIdLi16ELi16ELi32ELi32ELi8ELi32ELi8ELi8ELi32ELc67ELc78EKdS1_dEEvlllT_PT11_llS4_llS2_PT12_llPT13_lli,@function
_ZN12_GLOBAL__N_127rocblas_gemm_batched_kernelIdLi16ELi16ELi32ELi32ELi8ELi32ELi8ELi8ELi32ELc67ELc78EKdS1_dEEvlllT_PT11_llS4_llS2_PT12_llPT13_lli: ; @_ZN12_GLOBAL__N_127rocblas_gemm_batched_kernelIdLi16ELi16ELi32ELi32ELi8ELi32ELi8ELi8ELi32ELc67ELc78EKdS1_dEEvlllT_PT11_llS4_llS2_PT12_llPT13_lli
; %bb.0:
	s_load_b32 s28, s[0:1], 0x88
	s_lshr_b32 s2, ttmp7, 16
	s_wait_kmcnt 0x0
	s_cmp_ge_i32 s2, s28
	s_cbranch_scc1 .LBB74_11
; %bb.1:
	v_and_b32_e32 v10, 0x3ff, v0
	v_bfe_u32 v1, v0, 10, 10
	s_clause 0x2
	s_load_b512 s[4:19], s[0:1], 0x10
	s_load_b256 s[20:27], s[0:1], 0x50
	s_load_b256 s[36:43], s[0:1], 0x70
	s_lshl_b32 s3, ttmp7, 5
	v_lshlrev_b32_e32 v0, 3, v0
	v_lshl_add_u32 v2, v1, 4, v10
	s_and_b32 s3, s3, 0x1fffe0
	v_lshl_add_u32 v21, v1, 6, 0x800
	v_add_nc_u32_e32 v8, s3, v1
	v_and_b32_e32 v11, 56, v0
	v_lshrrev_b32_e32 v6, 3, v2
	v_and_b32_e32 v12, 31, v2
	v_lshrrev_b32_e32 v13, 5, v2
	s_mov_b32 s30, ttmp9
	s_ashr_i32 s31, ttmp9, 31
	v_add_nc_u32_e32 v9, s3, v6
	v_lshl_or_b32 v15, v6, 6, v11
	s_lshl_b64 s[0:1], s[30:31], 5
	v_lshlrev_b32_e32 v14, 3, v12
	s_wait_kmcnt 0x0
	v_mad_co_u64_u32 v[0:1], null, v8, s24, 0
	v_mad_co_u64_u32 v[2:3], null, s16, v9, 0
	;; [unrolled: 1-line block ×3, first 2 shown]
	v_lshl_or_b32 v22, v13, 8, v14
	v_add_nc_u32_e32 v23, 0x800, v15
	s_delay_alu instid0(VALU_DEP_4) | instskip(SKIP_2) | instid1(VALU_DEP_2)
	v_mad_co_u64_u32 v[6:7], null, v8, s25, v[1:2]
	v_mov_b32_e32 v1, v3
	s_lshl_b64 s[24:25], s[24:25], 4
	v_mad_co_u64_u32 v[7:8], null, v8, s39, v[5:6]
	s_delay_alu instid0(VALU_DEP_2)
	v_mad_co_u64_u32 v[8:9], null, s17, v9, v[1:2]
	v_mov_b32_e32 v1, v6
	v_or_b32_e32 v6, s0, v12
	v_lshlrev_b32_e32 v20, 3, v10
	v_add_co_u32 v9, s3, s0, v10
	v_mov_b32_e32 v5, v7
	v_mov_b32_e32 v3, v8
	v_mul_lo_u32 v8, s11, v6
	v_mad_co_u64_u32 v[6:7], null, s10, v6, 0
	v_lshlrev_b64_e32 v[0:1], 3, v[0:1]
	s_delay_alu instid0(VALU_DEP_4)
	v_lshlrev_b64_e32 v[2:3], 3, v[2:3]
	s_mul_i32 s0, s10, s1
	v_add_co_ci_u32_e64 v10, null, s1, 0, s3
	v_lshlrev_b64_e32 v[4:5], 3, v[4:5]
	s_wait_alu 0xfffe
	v_add3_u32 v7, v7, s0, v8
	v_add_co_u32 v24, vcc_lo, s22, v0
	s_delay_alu instid0(VALU_DEP_1)
	v_add_co_ci_u32_e64 v25, null, s23, v1, vcc_lo
	v_add_co_u32 v0, vcc_lo, v2, v11
	s_wait_alu 0xfffd
	v_add_co_ci_u32_e64 v1, null, 0, v3, vcc_lo
	v_lshlrev_b64_e32 v[2:3], 3, v[6:7]
	v_cmp_gt_i64_e64 s0, s[4:5], 0
	v_lshlrev_b32_e32 v6, 3, v13
	v_add_co_u32 v0, vcc_lo, s14, v0
	s_wait_alu 0xfffd
	v_add_co_ci_u32_e64 v1, null, s15, v1, vcc_lo
	s_delay_alu instid0(VALU_DEP_3)
	v_add_co_u32 v2, vcc_lo, v2, v6
	s_wait_alu 0xf1ff
	v_cndmask_b32_e64 v6, 0, 1, s0
	v_cmp_eq_f64_e64 s0, s[20:21], 0
	s_wait_alu 0xfffd
	v_add_co_ci_u32_e64 v3, null, 0, v3, vcc_lo
	v_add_co_u32 v2, vcc_lo, s8, v2
	s_lshl_b64 s[16:17], s[38:39], 4
	s_wait_alu 0xfffd
	v_add_co_ci_u32_e64 v3, null, s9, v3, vcc_lo
	s_lshl_b64 s[10:11], s[18:19], 3
	s_lshl_b64 s[8:9], s[12:13], 3
	s_mov_b32 s3, 0
	s_lshl_b64 s[12:13], s[24:25], 3
	s_wait_alu 0xfffe
	s_lshl_b64 s[14:15], s[16:17], 3
	v_cndmask_b32_e64 v8, 0, 1, s0
	v_cmp_ne_u32_e64 s0, 1, v6
	v_lshlrev_b64_e32 v[6:7], 3, v[9:10]
	s_delay_alu instid0(VALU_DEP_3)
	v_cmp_ne_u32_e64 s1, 1, v8
	s_branch .LBB74_3
.LBB74_2:                               ;   in Loop: Header=BB74_3 Depth=1
	s_add_co_i32 s2, s2, 0x10000
	s_wait_alu 0xfffe
	s_cmp_lt_i32 s2, s28
	s_cbranch_scc0 .LBB74_11
.LBB74_3:                               ; =>This Loop Header: Depth=1
                                        ;     Child Loop BB74_5 Depth 2
	s_delay_alu instid0(VALU_DEP_3)
	s_and_b32 vcc_lo, exec_lo, s0
	s_wait_alu 0xfffe
	s_cbranch_vccnz .LBB74_6
; %bb.4:                                ;   in Loop: Header=BB74_3 Depth=1
	v_mad_co_u64_u32 v[14:15], null, s10, s2, v[0:1]
	v_mad_co_u64_u32 v[16:17], null, s8, s2, v[2:3]
	v_mov_b32_e32 v12, 0
	v_mov_b32_e32 v13, 0
	s_mov_b64 s[16:17], 0
	s_delay_alu instid0(VALU_DEP_3) | instskip(NEXT) | instid1(VALU_DEP_1)
	v_dual_mov_b32 v8, v15 :: v_dual_mov_b32 v9, v17
	v_mad_co_u64_u32 v[17:18], null, s11, s2, v[8:9]
	v_mad_co_u64_u32 v[26:27], null, s9, s2, v[9:10]
	v_mov_b32_e32 v8, 0
	v_dual_mov_b32 v9, 0 :: v_dual_mov_b32 v10, 0
	v_dual_mov_b32 v18, 0 :: v_dual_mov_b32 v11, 0
	v_mov_b32_e32 v19, 0
	v_mov_b32_e32 v15, v17
	;; [unrolled: 1-line block ×3, first 2 shown]
.LBB74_5:                               ;   Parent Loop BB74_3 Depth=1
                                        ; =>  This Inner Loop Header: Depth=2
	global_load_b64 v[26:27], v[16:17], off
	global_load_b64 v[28:29], v[14:15], off
	s_wait_alu 0xfffe
	s_add_nc_u64 s[16:17], s[16:17], 8
	v_add_co_u32 v14, vcc_lo, v14, 64
	s_wait_alu 0xfffe
	v_cmp_lt_i64_e64 s18, s[16:17], s[4:5]
	s_wait_alu 0xfffd
	v_add_co_ci_u32_e64 v15, null, 0, v15, vcc_lo
	v_add_co_u32 v16, vcc_lo, v16, 64
	s_wait_alu 0xfffd
	v_add_co_ci_u32_e64 v17, null, 0, v17, vcc_lo
	s_and_b32 vcc_lo, exec_lo, s18
	s_wait_loadcnt 0x1
	ds_store_b64 v22, v[26:27]
	s_wait_loadcnt 0x0
	ds_store_b64 v23, v[28:29]
	s_wait_dscnt 0x0
	s_barrier_signal -1
	s_barrier_wait -1
	global_inv scope:SCOPE_SE
	ds_load_b128 v[26:29], v21
	ds_load_2addr_b64 v[30:33], v20 offset1:16
	ds_load_b128 v[34:37], v21 offset:1024
	ds_load_b128 v[38:41], v21 offset:16
	ds_load_b128 v[42:45], v21 offset:1040
	s_wait_dscnt 0x3
	v_fma_f64 v[18:19], v[30:31], v[26:27], v[18:19]
	v_fma_f64 v[12:13], v[32:33], v[26:27], v[12:13]
	s_wait_dscnt 0x2
	v_fma_f64 v[26:27], v[30:31], v[34:35], v[10:11]
	v_fma_f64 v[30:31], v[32:33], v[34:35], v[8:9]
	ds_load_2addr_b64 v[8:11], v20 offset0:32 offset1:48
	s_wait_dscnt 0x0
	v_fma_f64 v[18:19], v[8:9], v[28:29], v[18:19]
	v_fma_f64 v[12:13], v[10:11], v[28:29], v[12:13]
	v_fma_f64 v[26:27], v[8:9], v[36:37], v[26:27]
	v_fma_f64 v[28:29], v[10:11], v[36:37], v[30:31]
	ds_load_2addr_b64 v[8:11], v20 offset0:64 offset1:80
	s_wait_dscnt 0x0
	v_fma_f64 v[18:19], v[8:9], v[38:39], v[18:19]
	v_fma_f64 v[12:13], v[10:11], v[38:39], v[12:13]
	;; [unrolled: 6-line block ×3, first 2 shown]
	v_fma_f64 v[42:43], v[8:9], v[44:45], v[26:27]
	v_fma_f64 v[44:45], v[10:11], v[44:45], v[28:29]
	ds_load_b128 v[8:11], v21 offset:32
	ds_load_2addr_b64 v[26:29], v20 offset0:128 offset1:144
	ds_load_b128 v[30:33], v21 offset:1056
	ds_load_b128 v[34:37], v21 offset:48
	;; [unrolled: 1-line block ×3, first 2 shown]
	s_wait_dscnt 0x3
	v_fma_f64 v[18:19], v[26:27], v[8:9], v[18:19]
	v_fma_f64 v[8:9], v[28:29], v[8:9], v[12:13]
	s_wait_dscnt 0x2
	v_fma_f64 v[12:13], v[26:27], v[30:31], v[42:43]
	v_fma_f64 v[30:31], v[28:29], v[30:31], v[44:45]
	ds_load_2addr_b64 v[26:29], v20 offset0:160 offset1:176
	s_wait_dscnt 0x0
	v_fma_f64 v[18:19], v[26:27], v[10:11], v[18:19]
	v_fma_f64 v[42:43], v[28:29], v[10:11], v[8:9]
	;; [unrolled: 1-line block ×4, first 2 shown]
	ds_load_2addr_b64 v[8:11], v20 offset0:192 offset1:208
	s_wait_dscnt 0x0
	v_fma_f64 v[18:19], v[8:9], v[34:35], v[18:19]
	v_fma_f64 v[30:31], v[10:11], v[34:35], v[42:43]
	;; [unrolled: 1-line block ×4, first 2 shown]
	ds_load_2addr_b64 v[26:29], v20 offset0:224 offset1:240
	s_wait_loadcnt_dscnt 0x0
	s_barrier_signal -1
	s_barrier_wait -1
	global_inv scope:SCOPE_SE
	v_fma_f64 v[18:19], v[26:27], v[36:37], v[18:19]
	v_fma_f64 v[12:13], v[28:29], v[36:37], v[30:31]
	;; [unrolled: 1-line block ×4, first 2 shown]
	s_wait_alu 0xfffe
	s_cbranch_vccnz .LBB74_5
	s_branch .LBB74_7
.LBB74_6:                               ;   in Loop: Header=BB74_3 Depth=1
	v_mov_b32_e32 v18, 0
	v_dual_mov_b32 v10, 0 :: v_dual_mov_b32 v19, 0
	v_dual_mov_b32 v12, 0 :: v_dual_mov_b32 v11, 0
	;; [unrolled: 1-line block ×3, first 2 shown]
	v_mov_b32_e32 v9, 0
.LBB74_7:                               ;   in Loop: Header=BB74_3 Depth=1
	s_mul_u64 s[16:17], s[40:41], s[2:3]
	s_and_b32 vcc_lo, exec_lo, s1
	s_wait_alu 0xfffe
	s_lshl_b64 s[16:17], s[16:17], 3
	s_wait_alu 0xfffe
	s_add_nc_u64 s[16:17], s[36:37], s[16:17]
	s_cbranch_vccnz .LBB74_9
; %bb.8:                                ;   in Loop: Header=BB74_3 Depth=1
	s_delay_alu instid0(VALU_DEP_4) | instskip(NEXT) | instid1(VALU_DEP_3)
	v_mul_f64_e32 v[14:15], s[6:7], v[18:19]
	v_mul_f64_e32 v[16:17], s[6:7], v[12:13]
	s_delay_alu instid0(VALU_DEP_4) | instskip(NEXT) | instid1(VALU_DEP_4)
	v_mul_f64_e32 v[26:27], s[6:7], v[10:11]
	v_mul_f64_e32 v[28:29], s[6:7], v[8:9]
	s_wait_alu 0xfffe
	v_add_co_u32 v30, vcc_lo, s16, v4
	s_wait_alu 0xfffd
	v_add_co_ci_u32_e64 v31, null, s17, v5, vcc_lo
	s_delay_alu instid0(VALU_DEP_2) | instskip(SKIP_1) | instid1(VALU_DEP_2)
	v_add_co_u32 v32, vcc_lo, v30, s14
	s_wait_alu 0xfffd
	v_add_co_ci_u32_e64 v33, null, s15, v31, vcc_lo
	v_add_co_u32 v30, vcc_lo, v30, v6
	s_wait_alu 0xfffd
	v_add_co_ci_u32_e64 v31, null, v31, v7, vcc_lo
	;; [unrolled: 3-line block ×3, first 2 shown]
	s_clause 0x3
	global_store_b64 v[30:31], v[14:15], off
	global_store_b64 v[30:31], v[16:17], off offset:128
	global_store_b64 v[32:33], v[26:27], off
	global_store_b64 v[32:33], v[28:29], off offset:128
	s_cbranch_execnz .LBB74_2
	s_branch .LBB74_10
.LBB74_9:                               ;   in Loop: Header=BB74_3 Depth=1
.LBB74_10:                              ;   in Loop: Header=BB74_3 Depth=1
	s_mul_u64 s[18:19], s[26:27], s[2:3]
	s_wait_alu 0xfffe
	s_lshl_b64 s[18:19], s[18:19], 3
	s_wait_alu 0xfffe
	v_add_co_u32 v26, vcc_lo, v24, s18
	s_wait_alu 0xfffd
	v_add_co_ci_u32_e64 v27, null, s19, v25, vcc_lo
	s_delay_alu instid0(VALU_DEP_2) | instskip(SKIP_1) | instid1(VALU_DEP_2)
	v_add_co_u32 v14, vcc_lo, v26, v6
	s_wait_alu 0xfffd
	v_add_co_ci_u32_e64 v15, null, v27, v7, vcc_lo
	v_add_co_u32 v28, vcc_lo, s16, v4
	s_wait_alu 0xfffd
	v_add_co_ci_u32_e64 v29, null, s17, v5, vcc_lo
	global_load_b64 v[16:17], v[14:15], off
	s_wait_loadcnt 0x0
	v_mul_f64_e32 v[16:17], s[20:21], v[16:17]
	s_delay_alu instid0(VALU_DEP_1)
	v_fma_f64 v[16:17], s[6:7], v[18:19], v[16:17]
	v_add_co_u32 v18, vcc_lo, v28, v6
	s_wait_alu 0xfffd
	v_add_co_ci_u32_e64 v19, null, v29, v7, vcc_lo
	global_store_b64 v[18:19], v[16:17], off
	global_load_b64 v[14:15], v[14:15], off offset:128
	s_wait_loadcnt 0x0
	v_mul_f64_e32 v[14:15], s[20:21], v[14:15]
	s_delay_alu instid0(VALU_DEP_1) | instskip(SKIP_3) | instid1(VALU_DEP_2)
	v_fma_f64 v[12:13], s[6:7], v[12:13], v[14:15]
	v_add_co_u32 v14, vcc_lo, v26, s12
	s_wait_alu 0xfffd
	v_add_co_ci_u32_e64 v15, null, s13, v27, vcc_lo
	v_add_co_u32 v14, vcc_lo, v14, v6
	s_wait_alu 0xfffd
	s_delay_alu instid0(VALU_DEP_2) | instskip(SKIP_4) | instid1(VALU_DEP_1)
	v_add_co_ci_u32_e64 v15, null, v15, v7, vcc_lo
	global_store_b64 v[18:19], v[12:13], off offset:128
	global_load_b64 v[12:13], v[14:15], off
	s_wait_loadcnt 0x0
	v_mul_f64_e32 v[12:13], s[20:21], v[12:13]
	v_fma_f64 v[10:11], s[6:7], v[10:11], v[12:13]
	v_add_co_u32 v12, vcc_lo, v28, s14
	s_wait_alu 0xfffd
	v_add_co_ci_u32_e64 v13, null, s15, v29, vcc_lo
	s_delay_alu instid0(VALU_DEP_2) | instskip(SKIP_1) | instid1(VALU_DEP_2)
	v_add_co_u32 v12, vcc_lo, v12, v6
	s_wait_alu 0xfffd
	v_add_co_ci_u32_e64 v13, null, v13, v7, vcc_lo
	global_store_b64 v[12:13], v[10:11], off
	global_load_b64 v[10:11], v[14:15], off offset:128
	s_wait_loadcnt 0x0
	v_mul_f64_e32 v[10:11], s[20:21], v[10:11]
	s_delay_alu instid0(VALU_DEP_1)
	v_fma_f64 v[8:9], s[6:7], v[8:9], v[10:11]
	global_store_b64 v[12:13], v[8:9], off offset:128
	s_branch .LBB74_2
.LBB74_11:
	s_endpgm
	.section	.rodata,"a",@progbits
	.p2align	6, 0x0
	.amdhsa_kernel _ZN12_GLOBAL__N_127rocblas_gemm_batched_kernelIdLi16ELi16ELi32ELi32ELi8ELi32ELi8ELi8ELi32ELc67ELc78EKdS1_dEEvlllT_PT11_llS4_llS2_PT12_llPT13_lli
		.amdhsa_group_segment_fixed_size 4096
		.amdhsa_private_segment_fixed_size 0
		.amdhsa_kernarg_size 140
		.amdhsa_user_sgpr_count 2
		.amdhsa_user_sgpr_dispatch_ptr 0
		.amdhsa_user_sgpr_queue_ptr 0
		.amdhsa_user_sgpr_kernarg_segment_ptr 1
		.amdhsa_user_sgpr_dispatch_id 0
		.amdhsa_user_sgpr_private_segment_size 0
		.amdhsa_wavefront_size32 1
		.amdhsa_uses_dynamic_stack 0
		.amdhsa_enable_private_segment 0
		.amdhsa_system_sgpr_workgroup_id_x 1
		.amdhsa_system_sgpr_workgroup_id_y 1
		.amdhsa_system_sgpr_workgroup_id_z 1
		.amdhsa_system_sgpr_workgroup_info 0
		.amdhsa_system_vgpr_workitem_id 1
		.amdhsa_next_free_vgpr 46
		.amdhsa_next_free_sgpr 44
		.amdhsa_reserve_vcc 1
		.amdhsa_float_round_mode_32 0
		.amdhsa_float_round_mode_16_64 0
		.amdhsa_float_denorm_mode_32 3
		.amdhsa_float_denorm_mode_16_64 3
		.amdhsa_fp16_overflow 0
		.amdhsa_workgroup_processor_mode 1
		.amdhsa_memory_ordered 1
		.amdhsa_forward_progress 1
		.amdhsa_inst_pref_size 15
		.amdhsa_round_robin_scheduling 0
		.amdhsa_exception_fp_ieee_invalid_op 0
		.amdhsa_exception_fp_denorm_src 0
		.amdhsa_exception_fp_ieee_div_zero 0
		.amdhsa_exception_fp_ieee_overflow 0
		.amdhsa_exception_fp_ieee_underflow 0
		.amdhsa_exception_fp_ieee_inexact 0
		.amdhsa_exception_int_div_zero 0
	.end_amdhsa_kernel
	.section	.text._ZN12_GLOBAL__N_127rocblas_gemm_batched_kernelIdLi16ELi16ELi32ELi32ELi8ELi32ELi8ELi8ELi32ELc67ELc78EKdS1_dEEvlllT_PT11_llS4_llS2_PT12_llPT13_lli,"axG",@progbits,_ZN12_GLOBAL__N_127rocblas_gemm_batched_kernelIdLi16ELi16ELi32ELi32ELi8ELi32ELi8ELi8ELi32ELc67ELc78EKdS1_dEEvlllT_PT11_llS4_llS2_PT12_llPT13_lli,comdat
.Lfunc_end74:
	.size	_ZN12_GLOBAL__N_127rocblas_gemm_batched_kernelIdLi16ELi16ELi32ELi32ELi8ELi32ELi8ELi8ELi32ELc67ELc78EKdS1_dEEvlllT_PT11_llS4_llS2_PT12_llPT13_lli, .Lfunc_end74-_ZN12_GLOBAL__N_127rocblas_gemm_batched_kernelIdLi16ELi16ELi32ELi32ELi8ELi32ELi8ELi8ELi32ELc67ELc78EKdS1_dEEvlllT_PT11_llS4_llS2_PT12_llPT13_lli
                                        ; -- End function
	.set _ZN12_GLOBAL__N_127rocblas_gemm_batched_kernelIdLi16ELi16ELi32ELi32ELi8ELi32ELi8ELi8ELi32ELc67ELc78EKdS1_dEEvlllT_PT11_llS4_llS2_PT12_llPT13_lli.num_vgpr, 46
	.set _ZN12_GLOBAL__N_127rocblas_gemm_batched_kernelIdLi16ELi16ELi32ELi32ELi8ELi32ELi8ELi8ELi32ELc67ELc78EKdS1_dEEvlllT_PT11_llS4_llS2_PT12_llPT13_lli.num_agpr, 0
	.set _ZN12_GLOBAL__N_127rocblas_gemm_batched_kernelIdLi16ELi16ELi32ELi32ELi8ELi32ELi8ELi8ELi32ELc67ELc78EKdS1_dEEvlllT_PT11_llS4_llS2_PT12_llPT13_lli.numbered_sgpr, 44
	.set _ZN12_GLOBAL__N_127rocblas_gemm_batched_kernelIdLi16ELi16ELi32ELi32ELi8ELi32ELi8ELi8ELi32ELc67ELc78EKdS1_dEEvlllT_PT11_llS4_llS2_PT12_llPT13_lli.num_named_barrier, 0
	.set _ZN12_GLOBAL__N_127rocblas_gemm_batched_kernelIdLi16ELi16ELi32ELi32ELi8ELi32ELi8ELi8ELi32ELc67ELc78EKdS1_dEEvlllT_PT11_llS4_llS2_PT12_llPT13_lli.private_seg_size, 0
	.set _ZN12_GLOBAL__N_127rocblas_gemm_batched_kernelIdLi16ELi16ELi32ELi32ELi8ELi32ELi8ELi8ELi32ELc67ELc78EKdS1_dEEvlllT_PT11_llS4_llS2_PT12_llPT13_lli.uses_vcc, 1
	.set _ZN12_GLOBAL__N_127rocblas_gemm_batched_kernelIdLi16ELi16ELi32ELi32ELi8ELi32ELi8ELi8ELi32ELc67ELc78EKdS1_dEEvlllT_PT11_llS4_llS2_PT12_llPT13_lli.uses_flat_scratch, 0
	.set _ZN12_GLOBAL__N_127rocblas_gemm_batched_kernelIdLi16ELi16ELi32ELi32ELi8ELi32ELi8ELi8ELi32ELc67ELc78EKdS1_dEEvlllT_PT11_llS4_llS2_PT12_llPT13_lli.has_dyn_sized_stack, 0
	.set _ZN12_GLOBAL__N_127rocblas_gemm_batched_kernelIdLi16ELi16ELi32ELi32ELi8ELi32ELi8ELi8ELi32ELc67ELc78EKdS1_dEEvlllT_PT11_llS4_llS2_PT12_llPT13_lli.has_recursion, 0
	.set _ZN12_GLOBAL__N_127rocblas_gemm_batched_kernelIdLi16ELi16ELi32ELi32ELi8ELi32ELi8ELi8ELi32ELc67ELc78EKdS1_dEEvlllT_PT11_llS4_llS2_PT12_llPT13_lli.has_indirect_call, 0
	.section	.AMDGPU.csdata,"",@progbits
; Kernel info:
; codeLenInByte = 1840
; TotalNumSgprs: 46
; NumVgprs: 46
; ScratchSize: 0
; MemoryBound: 0
; FloatMode: 240
; IeeeMode: 1
; LDSByteSize: 4096 bytes/workgroup (compile time only)
; SGPRBlocks: 0
; VGPRBlocks: 5
; NumSGPRsForWavesPerEU: 46
; NumVGPRsForWavesPerEU: 46
; Occupancy: 16
; WaveLimiterHint : 1
; COMPUTE_PGM_RSRC2:SCRATCH_EN: 0
; COMPUTE_PGM_RSRC2:USER_SGPR: 2
; COMPUTE_PGM_RSRC2:TRAP_HANDLER: 0
; COMPUTE_PGM_RSRC2:TGID_X_EN: 1
; COMPUTE_PGM_RSRC2:TGID_Y_EN: 1
; COMPUTE_PGM_RSRC2:TGID_Z_EN: 1
; COMPUTE_PGM_RSRC2:TIDIG_COMP_CNT: 1
	.section	.text._ZN12_GLOBAL__N_127rocblas_gemm_batched_kernelIdLi16ELi16ELi32ELi32ELi8ELi32ELi8ELi8ELi32ELc67ELc84EKdS1_dEEvlllT_PT11_llS4_llS2_PT12_llPT13_lli,"axG",@progbits,_ZN12_GLOBAL__N_127rocblas_gemm_batched_kernelIdLi16ELi16ELi32ELi32ELi8ELi32ELi8ELi8ELi32ELc67ELc84EKdS1_dEEvlllT_PT11_llS4_llS2_PT12_llPT13_lli,comdat
	.globl	_ZN12_GLOBAL__N_127rocblas_gemm_batched_kernelIdLi16ELi16ELi32ELi32ELi8ELi32ELi8ELi8ELi32ELc67ELc84EKdS1_dEEvlllT_PT11_llS4_llS2_PT12_llPT13_lli ; -- Begin function _ZN12_GLOBAL__N_127rocblas_gemm_batched_kernelIdLi16ELi16ELi32ELi32ELi8ELi32ELi8ELi8ELi32ELc67ELc84EKdS1_dEEvlllT_PT11_llS4_llS2_PT12_llPT13_lli
	.p2align	8
	.type	_ZN12_GLOBAL__N_127rocblas_gemm_batched_kernelIdLi16ELi16ELi32ELi32ELi8ELi32ELi8ELi8ELi32ELc67ELc84EKdS1_dEEvlllT_PT11_llS4_llS2_PT12_llPT13_lli,@function
_ZN12_GLOBAL__N_127rocblas_gemm_batched_kernelIdLi16ELi16ELi32ELi32ELi8ELi32ELi8ELi8ELi32ELc67ELc84EKdS1_dEEvlllT_PT11_llS4_llS2_PT12_llPT13_lli: ; @_ZN12_GLOBAL__N_127rocblas_gemm_batched_kernelIdLi16ELi16ELi32ELi32ELi8ELi32ELi8ELi8ELi32ELc67ELc84EKdS1_dEEvlllT_PT11_llS4_llS2_PT12_llPT13_lli
; %bb.0:
	s_load_b32 s28, s[0:1], 0x88
	s_lshr_b32 s2, ttmp7, 16
	s_wait_kmcnt 0x0
	s_cmp_ge_i32 s2, s28
	s_cbranch_scc1 .LBB75_11
; %bb.1:
	s_clause 0x2
	s_load_b256 s[20:27], s[0:1], 0x70
	s_load_b512 s[4:19], s[0:1], 0x10
	s_load_b256 s[36:43], s[0:1], 0x50
	v_dual_mov_b32 v1, 0 :: v_dual_and_b32 v8, 0x3ff, v0
	v_bfe_u32 v6, v0, 10, 10
	v_and_b32_e32 v9, 7, v0
	s_lshl_b32 s0, ttmp7, 5
	s_mov_b32 s30, ttmp9
	s_wait_kmcnt 0x0
	s_and_b32 s26, s0, 0x1fffe0
	v_lshl_add_u32 v2, v6, 4, v8
	v_add_nc_u32_e32 v7, s26, v6
	v_lshlrev_b32_e32 v3, 3, v9
	v_lshl_add_u32 v23, v6, 6, 0x800
	s_ashr_i32 s31, ttmp9, 31
	v_lshrrev_b32_e32 v0, 3, v2
	v_and_b32_e32 v10, 31, v2
	v_lshrrev_b32_e32 v12, 5, v2
	s_lshl_b64 s[0:1], s[30:31], 5
	v_lshlrev_b32_e32 v22, 3, v8
	v_mad_co_u64_u32 v[4:5], null, v7, s22, 0
	v_lshl_or_b32 v13, v0, 6, v3
	v_mad_co_u64_u32 v[2:3], null, v7, s40, 0
	v_mad_co_u64_u32 v[0:1], null, s16, v9, v[0:1]
	s_delay_alu instid0(VALU_DEP_3)
	v_add_nc_u32_e32 v21, 0x800, v13
	v_mad_co_u64_u32 v[5:6], null, v7, s23, v[5:6]
	s_lshl_b64 s[22:23], s[22:23], 4
	v_mad_co_u64_u32 v[6:7], null, v7, s41, v[3:4]
	v_add_co_u32 v0, vcc_lo, v0, s26
	v_add_co_u32 v7, s27, s0, v8
	s_wait_alu 0xf1ff
	v_add_co_ci_u32_e64 v8, null, s1, 0, s27
	s_delay_alu instid0(VALU_DEP_4) | instskip(SKIP_4) | instid1(VALU_DEP_2)
	v_mov_b32_e32 v3, v6
	v_lshlrev_b32_e32 v11, 3, v10
	v_lshlrev_b64_e32 v[4:5], 3, v[4:5]
	s_lshl_b64 s[26:27], s[40:41], 4
	s_mov_b32 s3, 0
	v_lshl_or_b32 v20, v12, 8, v11
	v_or_b32_e32 v11, s0, v10
	v_mad_co_u64_u32 v[9:10], null, s17, v9, v[1:2]
	v_lshlrev_b64_e32 v[2:3], 3, v[2:3]
	s_mul_i32 s0, s10, s1
	s_delay_alu instid0(VALU_DEP_3)
	v_mul_lo_u32 v6, s11, v11
	v_mad_co_u64_u32 v[10:11], null, s10, v11, 0
	s_lshl_b64 s[10:11], s[18:19], 3
	v_add_co_ci_u32_e64 v1, null, 0, v9, vcc_lo
	v_add_co_u32 v24, vcc_lo, s38, v2
	s_wait_alu 0xfffd
	v_add_co_ci_u32_e64 v25, null, s39, v3, vcc_lo
	s_wait_alu 0xfffe
	v_add3_u32 v11, v11, s0, v6
	v_lshlrev_b64_e32 v[0:1], 3, v[0:1]
	v_cmp_gt_i64_e64 s0, s[4:5], 0
	v_lshlrev_b32_e32 v6, 3, v12
	s_delay_alu instid0(VALU_DEP_4) | instskip(NEXT) | instid1(VALU_DEP_4)
	v_lshlrev_b64_e32 v[2:3], 3, v[10:11]
	v_add_co_u32 v0, vcc_lo, s14, v0
	s_wait_alu 0xfffd
	v_add_co_ci_u32_e64 v1, null, s15, v1, vcc_lo
	s_delay_alu instid0(VALU_DEP_3)
	v_add_co_u32 v2, vcc_lo, v2, v6
	s_wait_alu 0xf1ff
	v_cndmask_b32_e64 v6, 0, 1, s0
	v_cmp_eq_f64_e64 s0, s[36:37], 0
	s_wait_alu 0xfffd
	v_add_co_ci_u32_e64 v3, null, 0, v3, vcc_lo
	v_add_co_u32 v2, vcc_lo, s8, v2
	s_lshl_b64 s[14:15], s[16:17], 6
	s_wait_alu 0xfffd
	v_add_co_ci_u32_e64 v3, null, s9, v3, vcc_lo
	s_lshl_b64 s[8:9], s[12:13], 3
	s_lshl_b64 s[12:13], s[26:27], 3
	s_lshl_b64 s[16:17], s[22:23], 3
	v_cndmask_b32_e64 v9, 0, 1, s0
	v_cmp_ne_u32_e64 s0, 1, v6
	v_lshlrev_b64_e32 v[6:7], 3, v[7:8]
	s_delay_alu instid0(VALU_DEP_3)
	v_cmp_ne_u32_e64 s1, 1, v9
	s_branch .LBB75_3
.LBB75_2:                               ;   in Loop: Header=BB75_3 Depth=1
	s_add_co_i32 s2, s2, 0x10000
	s_wait_alu 0xfffe
	s_cmp_lt_i32 s2, s28
	s_cbranch_scc0 .LBB75_11
.LBB75_3:                               ; =>This Loop Header: Depth=1
                                        ;     Child Loop BB75_5 Depth 2
	s_delay_alu instid0(VALU_DEP_3)
	s_and_b32 vcc_lo, exec_lo, s0
	s_wait_alu 0xfffe
	s_cbranch_vccnz .LBB75_6
; %bb.4:                                ;   in Loop: Header=BB75_3 Depth=1
	v_mad_co_u64_u32 v[14:15], null, s10, s2, v[0:1]
	v_mad_co_u64_u32 v[16:17], null, s8, s2, v[2:3]
	v_mov_b32_e32 v12, 0
	v_mov_b32_e32 v13, 0
	s_mov_b64 s[18:19], 0
	s_delay_alu instid0(VALU_DEP_3) | instskip(NEXT) | instid1(VALU_DEP_1)
	v_dual_mov_b32 v8, v15 :: v_dual_mov_b32 v9, v17
	v_mad_co_u64_u32 v[17:18], null, s11, s2, v[8:9]
	v_mad_co_u64_u32 v[26:27], null, s9, s2, v[9:10]
	v_mov_b32_e32 v8, 0
	v_dual_mov_b32 v9, 0 :: v_dual_mov_b32 v10, 0
	v_dual_mov_b32 v18, 0 :: v_dual_mov_b32 v11, 0
	v_mov_b32_e32 v19, 0
	v_mov_b32_e32 v15, v17
	;; [unrolled: 1-line block ×3, first 2 shown]
.LBB75_5:                               ;   Parent Loop BB75_3 Depth=1
                                        ; =>  This Inner Loop Header: Depth=2
	global_load_b64 v[26:27], v[16:17], off
	global_load_b64 v[28:29], v[14:15], off
	s_wait_alu 0xfffe
	s_add_nc_u64 s[18:19], s[18:19], 8
	v_add_co_u32 v14, vcc_lo, v14, s14
	s_wait_alu 0xfffe
	v_cmp_lt_i64_e64 s22, s[18:19], s[4:5]
	s_wait_alu 0xfffd
	v_add_co_ci_u32_e64 v15, null, s15, v15, vcc_lo
	v_add_co_u32 v16, vcc_lo, v16, 64
	s_wait_alu 0xfffd
	v_add_co_ci_u32_e64 v17, null, 0, v17, vcc_lo
	s_and_b32 vcc_lo, exec_lo, s22
	s_wait_loadcnt 0x1
	ds_store_b64 v20, v[26:27]
	s_wait_loadcnt 0x0
	ds_store_b64 v21, v[28:29]
	s_wait_dscnt 0x0
	s_barrier_signal -1
	s_barrier_wait -1
	global_inv scope:SCOPE_SE
	ds_load_b128 v[26:29], v23
	ds_load_2addr_b64 v[30:33], v22 offset1:16
	ds_load_b128 v[34:37], v23 offset:1024
	ds_load_b128 v[38:41], v23 offset:16
	;; [unrolled: 1-line block ×3, first 2 shown]
	s_wait_dscnt 0x3
	v_fma_f64 v[18:19], v[30:31], v[26:27], v[18:19]
	v_fma_f64 v[12:13], v[32:33], v[26:27], v[12:13]
	s_wait_dscnt 0x2
	v_fma_f64 v[26:27], v[30:31], v[34:35], v[10:11]
	v_fma_f64 v[30:31], v[32:33], v[34:35], v[8:9]
	ds_load_2addr_b64 v[8:11], v22 offset0:32 offset1:48
	s_wait_dscnt 0x0
	v_fma_f64 v[18:19], v[8:9], v[28:29], v[18:19]
	v_fma_f64 v[12:13], v[10:11], v[28:29], v[12:13]
	v_fma_f64 v[26:27], v[8:9], v[36:37], v[26:27]
	v_fma_f64 v[28:29], v[10:11], v[36:37], v[30:31]
	ds_load_2addr_b64 v[8:11], v22 offset0:64 offset1:80
	s_wait_dscnt 0x0
	v_fma_f64 v[18:19], v[8:9], v[38:39], v[18:19]
	v_fma_f64 v[12:13], v[10:11], v[38:39], v[12:13]
	;; [unrolled: 6-line block ×3, first 2 shown]
	v_fma_f64 v[42:43], v[8:9], v[44:45], v[26:27]
	v_fma_f64 v[44:45], v[10:11], v[44:45], v[28:29]
	ds_load_b128 v[8:11], v23 offset:32
	ds_load_2addr_b64 v[26:29], v22 offset0:128 offset1:144
	ds_load_b128 v[30:33], v23 offset:1056
	ds_load_b128 v[34:37], v23 offset:48
	;; [unrolled: 1-line block ×3, first 2 shown]
	s_wait_dscnt 0x3
	v_fma_f64 v[18:19], v[26:27], v[8:9], v[18:19]
	v_fma_f64 v[8:9], v[28:29], v[8:9], v[12:13]
	s_wait_dscnt 0x2
	v_fma_f64 v[12:13], v[26:27], v[30:31], v[42:43]
	v_fma_f64 v[30:31], v[28:29], v[30:31], v[44:45]
	ds_load_2addr_b64 v[26:29], v22 offset0:160 offset1:176
	s_wait_dscnt 0x0
	v_fma_f64 v[18:19], v[26:27], v[10:11], v[18:19]
	v_fma_f64 v[42:43], v[28:29], v[10:11], v[8:9]
	;; [unrolled: 1-line block ×4, first 2 shown]
	ds_load_2addr_b64 v[8:11], v22 offset0:192 offset1:208
	s_wait_dscnt 0x0
	v_fma_f64 v[18:19], v[8:9], v[34:35], v[18:19]
	v_fma_f64 v[30:31], v[10:11], v[34:35], v[42:43]
	;; [unrolled: 1-line block ×4, first 2 shown]
	ds_load_2addr_b64 v[26:29], v22 offset0:224 offset1:240
	s_wait_loadcnt_dscnt 0x0
	s_barrier_signal -1
	s_barrier_wait -1
	global_inv scope:SCOPE_SE
	v_fma_f64 v[18:19], v[26:27], v[36:37], v[18:19]
	v_fma_f64 v[12:13], v[28:29], v[36:37], v[30:31]
	;; [unrolled: 1-line block ×4, first 2 shown]
	s_wait_alu 0xfffe
	s_cbranch_vccnz .LBB75_5
	s_branch .LBB75_7
.LBB75_6:                               ;   in Loop: Header=BB75_3 Depth=1
	v_mov_b32_e32 v18, 0
	v_dual_mov_b32 v10, 0 :: v_dual_mov_b32 v19, 0
	v_dual_mov_b32 v12, 0 :: v_dual_mov_b32 v11, 0
	;; [unrolled: 1-line block ×3, first 2 shown]
	v_mov_b32_e32 v9, 0
.LBB75_7:                               ;   in Loop: Header=BB75_3 Depth=1
	s_mul_u64 s[18:19], s[24:25], s[2:3]
	s_and_b32 vcc_lo, exec_lo, s1
	s_wait_alu 0xfffe
	s_lshl_b64 s[18:19], s[18:19], 3
	s_wait_alu 0xfffe
	s_add_nc_u64 s[18:19], s[20:21], s[18:19]
	s_cbranch_vccnz .LBB75_9
; %bb.8:                                ;   in Loop: Header=BB75_3 Depth=1
	s_delay_alu instid0(VALU_DEP_4) | instskip(NEXT) | instid1(VALU_DEP_3)
	v_mul_f64_e32 v[14:15], s[6:7], v[18:19]
	v_mul_f64_e32 v[16:17], s[6:7], v[12:13]
	s_delay_alu instid0(VALU_DEP_4) | instskip(NEXT) | instid1(VALU_DEP_4)
	v_mul_f64_e32 v[26:27], s[6:7], v[10:11]
	v_mul_f64_e32 v[28:29], s[6:7], v[8:9]
	s_wait_alu 0xfffe
	v_add_co_u32 v30, vcc_lo, s18, v4
	s_wait_alu 0xfffd
	v_add_co_ci_u32_e64 v31, null, s19, v5, vcc_lo
	s_delay_alu instid0(VALU_DEP_2) | instskip(SKIP_1) | instid1(VALU_DEP_2)
	v_add_co_u32 v32, vcc_lo, v30, s16
	s_wait_alu 0xfffd
	v_add_co_ci_u32_e64 v33, null, s17, v31, vcc_lo
	v_add_co_u32 v30, vcc_lo, v30, v6
	s_wait_alu 0xfffd
	v_add_co_ci_u32_e64 v31, null, v31, v7, vcc_lo
	;; [unrolled: 3-line block ×3, first 2 shown]
	s_clause 0x3
	global_store_b64 v[30:31], v[14:15], off
	global_store_b64 v[30:31], v[16:17], off offset:128
	global_store_b64 v[32:33], v[26:27], off
	global_store_b64 v[32:33], v[28:29], off offset:128
	s_cbranch_execnz .LBB75_2
	s_branch .LBB75_10
.LBB75_9:                               ;   in Loop: Header=BB75_3 Depth=1
.LBB75_10:                              ;   in Loop: Header=BB75_3 Depth=1
	s_mul_u64 s[22:23], s[42:43], s[2:3]
	s_wait_alu 0xfffe
	s_lshl_b64 s[22:23], s[22:23], 3
	s_wait_alu 0xfffe
	v_add_co_u32 v26, vcc_lo, v24, s22
	s_wait_alu 0xfffd
	v_add_co_ci_u32_e64 v27, null, s23, v25, vcc_lo
	s_delay_alu instid0(VALU_DEP_2) | instskip(SKIP_1) | instid1(VALU_DEP_2)
	v_add_co_u32 v14, vcc_lo, v26, v6
	s_wait_alu 0xfffd
	v_add_co_ci_u32_e64 v15, null, v27, v7, vcc_lo
	v_add_co_u32 v28, vcc_lo, s18, v4
	s_wait_alu 0xfffd
	v_add_co_ci_u32_e64 v29, null, s19, v5, vcc_lo
	global_load_b64 v[16:17], v[14:15], off
	s_wait_loadcnt 0x0
	v_mul_f64_e32 v[16:17], s[36:37], v[16:17]
	s_delay_alu instid0(VALU_DEP_1)
	v_fma_f64 v[16:17], s[6:7], v[18:19], v[16:17]
	v_add_co_u32 v18, vcc_lo, v28, v6
	s_wait_alu 0xfffd
	v_add_co_ci_u32_e64 v19, null, v29, v7, vcc_lo
	global_store_b64 v[18:19], v[16:17], off
	global_load_b64 v[14:15], v[14:15], off offset:128
	s_wait_loadcnt 0x0
	v_mul_f64_e32 v[14:15], s[36:37], v[14:15]
	s_delay_alu instid0(VALU_DEP_1) | instskip(SKIP_3) | instid1(VALU_DEP_2)
	v_fma_f64 v[12:13], s[6:7], v[12:13], v[14:15]
	v_add_co_u32 v14, vcc_lo, v26, s12
	s_wait_alu 0xfffd
	v_add_co_ci_u32_e64 v15, null, s13, v27, vcc_lo
	v_add_co_u32 v14, vcc_lo, v14, v6
	s_wait_alu 0xfffd
	s_delay_alu instid0(VALU_DEP_2) | instskip(SKIP_4) | instid1(VALU_DEP_1)
	v_add_co_ci_u32_e64 v15, null, v15, v7, vcc_lo
	global_store_b64 v[18:19], v[12:13], off offset:128
	global_load_b64 v[12:13], v[14:15], off
	s_wait_loadcnt 0x0
	v_mul_f64_e32 v[12:13], s[36:37], v[12:13]
	v_fma_f64 v[10:11], s[6:7], v[10:11], v[12:13]
	v_add_co_u32 v12, vcc_lo, v28, s16
	s_wait_alu 0xfffd
	v_add_co_ci_u32_e64 v13, null, s17, v29, vcc_lo
	s_delay_alu instid0(VALU_DEP_2) | instskip(SKIP_1) | instid1(VALU_DEP_2)
	v_add_co_u32 v12, vcc_lo, v12, v6
	s_wait_alu 0xfffd
	v_add_co_ci_u32_e64 v13, null, v13, v7, vcc_lo
	global_store_b64 v[12:13], v[10:11], off
	global_load_b64 v[10:11], v[14:15], off offset:128
	s_wait_loadcnt 0x0
	v_mul_f64_e32 v[10:11], s[36:37], v[10:11]
	s_delay_alu instid0(VALU_DEP_1)
	v_fma_f64 v[8:9], s[6:7], v[8:9], v[10:11]
	global_store_b64 v[12:13], v[8:9], off offset:128
	s_branch .LBB75_2
.LBB75_11:
	s_endpgm
	.section	.rodata,"a",@progbits
	.p2align	6, 0x0
	.amdhsa_kernel _ZN12_GLOBAL__N_127rocblas_gemm_batched_kernelIdLi16ELi16ELi32ELi32ELi8ELi32ELi8ELi8ELi32ELc67ELc84EKdS1_dEEvlllT_PT11_llS4_llS2_PT12_llPT13_lli
		.amdhsa_group_segment_fixed_size 4096
		.amdhsa_private_segment_fixed_size 0
		.amdhsa_kernarg_size 140
		.amdhsa_user_sgpr_count 2
		.amdhsa_user_sgpr_dispatch_ptr 0
		.amdhsa_user_sgpr_queue_ptr 0
		.amdhsa_user_sgpr_kernarg_segment_ptr 1
		.amdhsa_user_sgpr_dispatch_id 0
		.amdhsa_user_sgpr_private_segment_size 0
		.amdhsa_wavefront_size32 1
		.amdhsa_uses_dynamic_stack 0
		.amdhsa_enable_private_segment 0
		.amdhsa_system_sgpr_workgroup_id_x 1
		.amdhsa_system_sgpr_workgroup_id_y 1
		.amdhsa_system_sgpr_workgroup_id_z 1
		.amdhsa_system_sgpr_workgroup_info 0
		.amdhsa_system_vgpr_workitem_id 1
		.amdhsa_next_free_vgpr 46
		.amdhsa_next_free_sgpr 44
		.amdhsa_reserve_vcc 1
		.amdhsa_float_round_mode_32 0
		.amdhsa_float_round_mode_16_64 0
		.amdhsa_float_denorm_mode_32 3
		.amdhsa_float_denorm_mode_16_64 3
		.amdhsa_fp16_overflow 0
		.amdhsa_workgroup_processor_mode 1
		.amdhsa_memory_ordered 1
		.amdhsa_forward_progress 1
		.amdhsa_inst_pref_size 15
		.amdhsa_round_robin_scheduling 0
		.amdhsa_exception_fp_ieee_invalid_op 0
		.amdhsa_exception_fp_denorm_src 0
		.amdhsa_exception_fp_ieee_div_zero 0
		.amdhsa_exception_fp_ieee_overflow 0
		.amdhsa_exception_fp_ieee_underflow 0
		.amdhsa_exception_fp_ieee_inexact 0
		.amdhsa_exception_int_div_zero 0
	.end_amdhsa_kernel
	.section	.text._ZN12_GLOBAL__N_127rocblas_gemm_batched_kernelIdLi16ELi16ELi32ELi32ELi8ELi32ELi8ELi8ELi32ELc67ELc84EKdS1_dEEvlllT_PT11_llS4_llS2_PT12_llPT13_lli,"axG",@progbits,_ZN12_GLOBAL__N_127rocblas_gemm_batched_kernelIdLi16ELi16ELi32ELi32ELi8ELi32ELi8ELi8ELi32ELc67ELc84EKdS1_dEEvlllT_PT11_llS4_llS2_PT12_llPT13_lli,comdat
.Lfunc_end75:
	.size	_ZN12_GLOBAL__N_127rocblas_gemm_batched_kernelIdLi16ELi16ELi32ELi32ELi8ELi32ELi8ELi8ELi32ELc67ELc84EKdS1_dEEvlllT_PT11_llS4_llS2_PT12_llPT13_lli, .Lfunc_end75-_ZN12_GLOBAL__N_127rocblas_gemm_batched_kernelIdLi16ELi16ELi32ELi32ELi8ELi32ELi8ELi8ELi32ELc67ELc84EKdS1_dEEvlllT_PT11_llS4_llS2_PT12_llPT13_lli
                                        ; -- End function
	.set _ZN12_GLOBAL__N_127rocblas_gemm_batched_kernelIdLi16ELi16ELi32ELi32ELi8ELi32ELi8ELi8ELi32ELc67ELc84EKdS1_dEEvlllT_PT11_llS4_llS2_PT12_llPT13_lli.num_vgpr, 46
	.set _ZN12_GLOBAL__N_127rocblas_gemm_batched_kernelIdLi16ELi16ELi32ELi32ELi8ELi32ELi8ELi8ELi32ELc67ELc84EKdS1_dEEvlllT_PT11_llS4_llS2_PT12_llPT13_lli.num_agpr, 0
	.set _ZN12_GLOBAL__N_127rocblas_gemm_batched_kernelIdLi16ELi16ELi32ELi32ELi8ELi32ELi8ELi8ELi32ELc67ELc84EKdS1_dEEvlllT_PT11_llS4_llS2_PT12_llPT13_lli.numbered_sgpr, 44
	.set _ZN12_GLOBAL__N_127rocblas_gemm_batched_kernelIdLi16ELi16ELi32ELi32ELi8ELi32ELi8ELi8ELi32ELc67ELc84EKdS1_dEEvlllT_PT11_llS4_llS2_PT12_llPT13_lli.num_named_barrier, 0
	.set _ZN12_GLOBAL__N_127rocblas_gemm_batched_kernelIdLi16ELi16ELi32ELi32ELi8ELi32ELi8ELi8ELi32ELc67ELc84EKdS1_dEEvlllT_PT11_llS4_llS2_PT12_llPT13_lli.private_seg_size, 0
	.set _ZN12_GLOBAL__N_127rocblas_gemm_batched_kernelIdLi16ELi16ELi32ELi32ELi8ELi32ELi8ELi8ELi32ELc67ELc84EKdS1_dEEvlllT_PT11_llS4_llS2_PT12_llPT13_lli.uses_vcc, 1
	.set _ZN12_GLOBAL__N_127rocblas_gemm_batched_kernelIdLi16ELi16ELi32ELi32ELi8ELi32ELi8ELi8ELi32ELc67ELc84EKdS1_dEEvlllT_PT11_llS4_llS2_PT12_llPT13_lli.uses_flat_scratch, 0
	.set _ZN12_GLOBAL__N_127rocblas_gemm_batched_kernelIdLi16ELi16ELi32ELi32ELi8ELi32ELi8ELi8ELi32ELc67ELc84EKdS1_dEEvlllT_PT11_llS4_llS2_PT12_llPT13_lli.has_dyn_sized_stack, 0
	.set _ZN12_GLOBAL__N_127rocblas_gemm_batched_kernelIdLi16ELi16ELi32ELi32ELi8ELi32ELi8ELi8ELi32ELc67ELc84EKdS1_dEEvlllT_PT11_llS4_llS2_PT12_llPT13_lli.has_recursion, 0
	.set _ZN12_GLOBAL__N_127rocblas_gemm_batched_kernelIdLi16ELi16ELi32ELi32ELi8ELi32ELi8ELi8ELi32ELc67ELc84EKdS1_dEEvlllT_PT11_llS4_llS2_PT12_llPT13_lli.has_indirect_call, 0
	.section	.AMDGPU.csdata,"",@progbits
; Kernel info:
; codeLenInByte = 1832
; TotalNumSgprs: 46
; NumVgprs: 46
; ScratchSize: 0
; MemoryBound: 0
; FloatMode: 240
; IeeeMode: 1
; LDSByteSize: 4096 bytes/workgroup (compile time only)
; SGPRBlocks: 0
; VGPRBlocks: 5
; NumSGPRsForWavesPerEU: 46
; NumVGPRsForWavesPerEU: 46
; Occupancy: 16
; WaveLimiterHint : 1
; COMPUTE_PGM_RSRC2:SCRATCH_EN: 0
; COMPUTE_PGM_RSRC2:USER_SGPR: 2
; COMPUTE_PGM_RSRC2:TRAP_HANDLER: 0
; COMPUTE_PGM_RSRC2:TGID_X_EN: 1
; COMPUTE_PGM_RSRC2:TGID_Y_EN: 1
; COMPUTE_PGM_RSRC2:TGID_Z_EN: 1
; COMPUTE_PGM_RSRC2:TIDIG_COMP_CNT: 1
	.section	.text._ZN12_GLOBAL__N_127rocblas_gemm_batched_kernelIdLi16ELi16ELi32ELi32ELi8ELi32ELi8ELi8ELi32ELc78ELc67EKdS1_dEEvlllT_PT11_llS4_llS2_PT12_llPT13_lli,"axG",@progbits,_ZN12_GLOBAL__N_127rocblas_gemm_batched_kernelIdLi16ELi16ELi32ELi32ELi8ELi32ELi8ELi8ELi32ELc78ELc67EKdS1_dEEvlllT_PT11_llS4_llS2_PT12_llPT13_lli,comdat
	.globl	_ZN12_GLOBAL__N_127rocblas_gemm_batched_kernelIdLi16ELi16ELi32ELi32ELi8ELi32ELi8ELi8ELi32ELc78ELc67EKdS1_dEEvlllT_PT11_llS4_llS2_PT12_llPT13_lli ; -- Begin function _ZN12_GLOBAL__N_127rocblas_gemm_batched_kernelIdLi16ELi16ELi32ELi32ELi8ELi32ELi8ELi8ELi32ELc78ELc67EKdS1_dEEvlllT_PT11_llS4_llS2_PT12_llPT13_lli
	.p2align	8
	.type	_ZN12_GLOBAL__N_127rocblas_gemm_batched_kernelIdLi16ELi16ELi32ELi32ELi8ELi32ELi8ELi8ELi32ELc78ELc67EKdS1_dEEvlllT_PT11_llS4_llS2_PT12_llPT13_lli,@function
_ZN12_GLOBAL__N_127rocblas_gemm_batched_kernelIdLi16ELi16ELi32ELi32ELi8ELi32ELi8ELi8ELi32ELc78ELc67EKdS1_dEEvlllT_PT11_llS4_llS2_PT12_llPT13_lli: ; @_ZN12_GLOBAL__N_127rocblas_gemm_batched_kernelIdLi16ELi16ELi32ELi32ELi8ELi32ELi8ELi8ELi32ELc78ELc67EKdS1_dEEvlllT_PT11_llS4_llS2_PT12_llPT13_lli
; %bb.0:
	s_load_b32 s28, s[0:1], 0x88
	s_lshr_b32 s2, ttmp7, 16
	s_wait_kmcnt 0x0
	s_cmp_ge_i32 s2, s28
	s_cbranch_scc1 .LBB76_11
; %bb.1:
	s_clause 0x1
	s_load_b256 s[20:27], s[0:1], 0x70
	s_load_b256 s[36:43], s[0:1], 0x50
	v_and_b32_e32 v8, 0x3ff, v0
	v_bfe_u32 v6, v0, 10, 10
	s_load_b512 s[4:19], s[0:1], 0x10
	v_and_b32_e32 v11, 7, v0
	s_lshl_b32 s0, ttmp7, 5
	s_mov_b32 s30, ttmp9
	v_lshl_add_u32 v1, v6, 4, v8
	s_and_b32 s29, s0, 0x1fffe0
	v_lshlrev_b32_e32 v2, 3, v11
	v_add_nc_u32_e32 v7, s29, v6
	s_ashr_i32 s31, ttmp9, 31
	v_lshrrev_b32_e32 v0, 3, v1
	v_and_b32_e32 v14, 31, v1
	v_lshrrev_b32_e32 v13, 5, v1
	v_lshl_add_u32 v23, v6, 6, 0x800
	s_lshl_b64 s[0:1], s[30:31], 5
	v_lshl_or_b32 v10, v0, 6, v2
	v_lshlrev_b32_e32 v9, 3, v14
	s_wait_kmcnt 0x0
	v_mad_co_u64_u32 v[4:5], null, v7, s22, 0
	v_mad_co_u64_u32 v[2:3], null, v7, s40, 0
	v_mov_b32_e32 v1, 0
	v_lshl_or_b32 v20, v13, 8, v9
	v_add_nc_u32_e32 v21, 0x800, v10
	v_mad_co_u64_u32 v[9:10], null, s10, v13, s[0:1]
	v_mad_co_u64_u32 v[5:6], null, v7, s23, v[5:6]
	;; [unrolled: 1-line block ×3, first 2 shown]
	v_add_co_u32 v7, s26, s0, v8
	v_cmp_gt_i64_e64 s0, s[4:5], 0
	v_mad_co_u64_u32 v[0:1], null, s16, v11, v[0:1]
	s_delay_alu instid0(VALU_DEP_4) | instskip(SKIP_2) | instid1(VALU_DEP_4)
	v_dual_mov_b32 v3, v6 :: v_dual_lshlrev_b32 v22, 3, v8
	v_add_co_ci_u32_e64 v8, null, s1, 0, s26
	s_wait_alu 0xf1ff
	v_cndmask_b32_e64 v6, 0, 1, s0
	v_cmp_eq_f64_e64 s0, s[36:37], 0
	v_mad_co_u64_u32 v[11:12], null, s17, v11, v[1:2]
	v_lshlrev_b64_e32 v[1:2], 3, v[2:3]
	v_mov_b32_e32 v3, v10
	v_add_co_u32 v10, vcc_lo, v0, s29
	s_lshl_b64 s[22:23], s[22:23], 4
	s_lshl_b64 s[26:27], s[40:41], 4
	v_mad_co_u64_u32 v[12:13], null, s11, v13, v[3:4]
	v_add_co_ci_u32_e64 v11, null, 0, v11, vcc_lo
	v_add_co_u32 v24, vcc_lo, s38, v1
	s_wait_alu 0xfffd
	v_add_co_ci_u32_e64 v25, null, s39, v2, vcc_lo
	v_add_co_u32 v2, vcc_lo, v9, v14
	s_wait_alu 0xfffd
	v_add_co_ci_u32_e64 v3, null, 0, v12, vcc_lo
	v_lshlrev_b64_e32 v[0:1], 3, v[10:11]
	v_lshlrev_b64_e32 v[4:5], 3, v[4:5]
	s_mov_b32 s3, 0
	s_delay_alu instid0(VALU_DEP_3)
	v_lshlrev_b64_e32 v[2:3], 3, v[2:3]
	s_lshl_b64 s[16:17], s[16:17], 6
	s_lshl_b64 s[10:11], s[10:11], 6
	v_add_co_u32 v0, vcc_lo, s14, v0
	s_wait_alu 0xfffd
	v_add_co_ci_u32_e64 v1, null, s15, v1, vcc_lo
	v_add_co_u32 v2, vcc_lo, s8, v2
	s_wait_alu 0xfffd
	v_add_co_ci_u32_e64 v3, null, s9, v3, vcc_lo
	s_lshl_b64 s[14:15], s[18:19], 3
	s_lshl_b64 s[8:9], s[12:13], 3
	s_wait_alu 0xfffe
	s_lshl_b64 s[12:13], s[26:27], 3
	v_cndmask_b32_e64 v9, 0, 1, s0
	v_cmp_ne_u32_e64 s0, 1, v6
	v_lshlrev_b64_e32 v[6:7], 3, v[7:8]
	s_lshl_b64 s[18:19], s[22:23], 3
	v_cmp_ne_u32_e64 s1, 1, v9
	s_branch .LBB76_3
.LBB76_2:                               ;   in Loop: Header=BB76_3 Depth=1
	s_add_co_i32 s2, s2, 0x10000
	s_wait_alu 0xfffe
	s_cmp_lt_i32 s2, s28
	s_cbranch_scc0 .LBB76_11
.LBB76_3:                               ; =>This Loop Header: Depth=1
                                        ;     Child Loop BB76_5 Depth 2
	s_and_b32 vcc_lo, exec_lo, s0
	s_wait_alu 0xfffe
	s_cbranch_vccnz .LBB76_6
; %bb.4:                                ;   in Loop: Header=BB76_3 Depth=1
	v_mad_co_u64_u32 v[14:15], null, s14, s2, v[0:1]
	v_mad_co_u64_u32 v[16:17], null, s8, s2, v[2:3]
	v_mov_b32_e32 v12, 0
	v_mov_b32_e32 v13, 0
	s_mov_b64 s[22:23], 0
	s_delay_alu instid0(VALU_DEP_3) | instskip(NEXT) | instid1(VALU_DEP_1)
	v_dual_mov_b32 v8, v15 :: v_dual_mov_b32 v9, v17
	v_mad_co_u64_u32 v[17:18], null, s15, s2, v[8:9]
	v_mad_co_u64_u32 v[26:27], null, s9, s2, v[9:10]
	v_mov_b32_e32 v8, 0
	v_dual_mov_b32 v9, 0 :: v_dual_mov_b32 v10, 0
	v_dual_mov_b32 v18, 0 :: v_dual_mov_b32 v11, 0
	v_mov_b32_e32 v19, 0
	v_mov_b32_e32 v15, v17
	;; [unrolled: 1-line block ×3, first 2 shown]
.LBB76_5:                               ;   Parent Loop BB76_3 Depth=1
                                        ; =>  This Inner Loop Header: Depth=2
	global_load_b64 v[26:27], v[16:17], off
	global_load_b64 v[28:29], v[14:15], off
	s_wait_alu 0xfffe
	s_add_nc_u64 s[22:23], s[22:23], 8
	v_add_co_u32 v14, vcc_lo, v14, s16
	s_wait_alu 0xfffe
	v_cmp_lt_i64_e64 s26, s[22:23], s[4:5]
	s_wait_alu 0xfffd
	v_add_co_ci_u32_e64 v15, null, s17, v15, vcc_lo
	v_add_co_u32 v16, vcc_lo, v16, s10
	s_wait_alu 0xfffd
	v_add_co_ci_u32_e64 v17, null, s11, v17, vcc_lo
	s_and_b32 vcc_lo, exec_lo, s26
	s_wait_loadcnt 0x1
	ds_store_b64 v20, v[26:27]
	s_wait_loadcnt 0x0
	ds_store_b64 v21, v[28:29]
	s_wait_dscnt 0x0
	s_barrier_signal -1
	s_barrier_wait -1
	global_inv scope:SCOPE_SE
	ds_load_b128 v[26:29], v23
	ds_load_2addr_b64 v[30:33], v22 offset1:16
	ds_load_b128 v[34:37], v23 offset:1024
	ds_load_b128 v[38:41], v23 offset:16
	;; [unrolled: 1-line block ×3, first 2 shown]
	s_wait_dscnt 0x3
	v_fma_f64 v[18:19], v[30:31], v[26:27], v[18:19]
	v_fma_f64 v[12:13], v[32:33], v[26:27], v[12:13]
	s_wait_dscnt 0x2
	v_fma_f64 v[26:27], v[30:31], v[34:35], v[10:11]
	v_fma_f64 v[30:31], v[32:33], v[34:35], v[8:9]
	ds_load_2addr_b64 v[8:11], v22 offset0:32 offset1:48
	s_wait_dscnt 0x0
	v_fma_f64 v[18:19], v[8:9], v[28:29], v[18:19]
	v_fma_f64 v[12:13], v[10:11], v[28:29], v[12:13]
	v_fma_f64 v[26:27], v[8:9], v[36:37], v[26:27]
	v_fma_f64 v[28:29], v[10:11], v[36:37], v[30:31]
	ds_load_2addr_b64 v[8:11], v22 offset0:64 offset1:80
	s_wait_dscnt 0x0
	v_fma_f64 v[18:19], v[8:9], v[38:39], v[18:19]
	v_fma_f64 v[12:13], v[10:11], v[38:39], v[12:13]
	;; [unrolled: 6-line block ×3, first 2 shown]
	v_fma_f64 v[42:43], v[8:9], v[44:45], v[26:27]
	v_fma_f64 v[44:45], v[10:11], v[44:45], v[28:29]
	ds_load_b128 v[8:11], v23 offset:32
	ds_load_2addr_b64 v[26:29], v22 offset0:128 offset1:144
	ds_load_b128 v[30:33], v23 offset:1056
	ds_load_b128 v[34:37], v23 offset:48
	;; [unrolled: 1-line block ×3, first 2 shown]
	s_wait_dscnt 0x3
	v_fma_f64 v[18:19], v[26:27], v[8:9], v[18:19]
	v_fma_f64 v[8:9], v[28:29], v[8:9], v[12:13]
	s_wait_dscnt 0x2
	v_fma_f64 v[12:13], v[26:27], v[30:31], v[42:43]
	v_fma_f64 v[30:31], v[28:29], v[30:31], v[44:45]
	ds_load_2addr_b64 v[26:29], v22 offset0:160 offset1:176
	s_wait_dscnt 0x0
	v_fma_f64 v[18:19], v[26:27], v[10:11], v[18:19]
	v_fma_f64 v[42:43], v[28:29], v[10:11], v[8:9]
	;; [unrolled: 1-line block ×4, first 2 shown]
	ds_load_2addr_b64 v[8:11], v22 offset0:192 offset1:208
	s_wait_dscnt 0x0
	v_fma_f64 v[18:19], v[8:9], v[34:35], v[18:19]
	v_fma_f64 v[30:31], v[10:11], v[34:35], v[42:43]
	;; [unrolled: 1-line block ×4, first 2 shown]
	ds_load_2addr_b64 v[26:29], v22 offset0:224 offset1:240
	s_wait_loadcnt_dscnt 0x0
	s_barrier_signal -1
	s_barrier_wait -1
	global_inv scope:SCOPE_SE
	v_fma_f64 v[18:19], v[26:27], v[36:37], v[18:19]
	v_fma_f64 v[12:13], v[28:29], v[36:37], v[30:31]
	;; [unrolled: 1-line block ×4, first 2 shown]
	s_wait_alu 0xfffe
	s_cbranch_vccnz .LBB76_5
	s_branch .LBB76_7
.LBB76_6:                               ;   in Loop: Header=BB76_3 Depth=1
	v_mov_b32_e32 v18, 0
	v_dual_mov_b32 v10, 0 :: v_dual_mov_b32 v19, 0
	v_dual_mov_b32 v12, 0 :: v_dual_mov_b32 v11, 0
	;; [unrolled: 1-line block ×3, first 2 shown]
	v_mov_b32_e32 v9, 0
.LBB76_7:                               ;   in Loop: Header=BB76_3 Depth=1
	s_mul_u64 s[22:23], s[24:25], s[2:3]
	s_and_b32 vcc_lo, exec_lo, s1
	s_wait_alu 0xfffe
	s_lshl_b64 s[22:23], s[22:23], 3
	s_wait_alu 0xfffe
	s_add_nc_u64 s[22:23], s[20:21], s[22:23]
	s_cbranch_vccnz .LBB76_9
; %bb.8:                                ;   in Loop: Header=BB76_3 Depth=1
	s_delay_alu instid0(VALU_DEP_4) | instskip(NEXT) | instid1(VALU_DEP_3)
	v_mul_f64_e32 v[14:15], s[6:7], v[18:19]
	v_mul_f64_e32 v[16:17], s[6:7], v[12:13]
	s_delay_alu instid0(VALU_DEP_4) | instskip(NEXT) | instid1(VALU_DEP_4)
	v_mul_f64_e32 v[26:27], s[6:7], v[10:11]
	v_mul_f64_e32 v[28:29], s[6:7], v[8:9]
	s_wait_alu 0xfffe
	v_add_co_u32 v30, vcc_lo, s22, v4
	s_wait_alu 0xfffd
	v_add_co_ci_u32_e64 v31, null, s23, v5, vcc_lo
	s_delay_alu instid0(VALU_DEP_2) | instskip(SKIP_1) | instid1(VALU_DEP_2)
	v_add_co_u32 v32, vcc_lo, v30, s18
	s_wait_alu 0xfffd
	v_add_co_ci_u32_e64 v33, null, s19, v31, vcc_lo
	v_add_co_u32 v30, vcc_lo, v30, v6
	s_wait_alu 0xfffd
	v_add_co_ci_u32_e64 v31, null, v31, v7, vcc_lo
	;; [unrolled: 3-line block ×3, first 2 shown]
	s_clause 0x3
	global_store_b64 v[30:31], v[14:15], off
	global_store_b64 v[30:31], v[16:17], off offset:128
	global_store_b64 v[32:33], v[26:27], off
	global_store_b64 v[32:33], v[28:29], off offset:128
	s_cbranch_execnz .LBB76_2
	s_branch .LBB76_10
.LBB76_9:                               ;   in Loop: Header=BB76_3 Depth=1
.LBB76_10:                              ;   in Loop: Header=BB76_3 Depth=1
	s_mul_u64 s[26:27], s[42:43], s[2:3]
	s_wait_alu 0xfffe
	s_lshl_b64 s[26:27], s[26:27], 3
	s_wait_alu 0xfffe
	v_add_co_u32 v26, vcc_lo, v24, s26
	s_wait_alu 0xfffd
	v_add_co_ci_u32_e64 v27, null, s27, v25, vcc_lo
	s_delay_alu instid0(VALU_DEP_2) | instskip(SKIP_1) | instid1(VALU_DEP_2)
	v_add_co_u32 v14, vcc_lo, v26, v6
	s_wait_alu 0xfffd
	v_add_co_ci_u32_e64 v15, null, v27, v7, vcc_lo
	v_add_co_u32 v28, vcc_lo, s22, v4
	s_wait_alu 0xfffd
	v_add_co_ci_u32_e64 v29, null, s23, v5, vcc_lo
	global_load_b64 v[16:17], v[14:15], off
	s_wait_loadcnt 0x0
	v_mul_f64_e32 v[16:17], s[36:37], v[16:17]
	s_delay_alu instid0(VALU_DEP_1)
	v_fma_f64 v[16:17], s[6:7], v[18:19], v[16:17]
	v_add_co_u32 v18, vcc_lo, v28, v6
	s_wait_alu 0xfffd
	v_add_co_ci_u32_e64 v19, null, v29, v7, vcc_lo
	global_store_b64 v[18:19], v[16:17], off
	global_load_b64 v[14:15], v[14:15], off offset:128
	s_wait_loadcnt 0x0
	v_mul_f64_e32 v[14:15], s[36:37], v[14:15]
	s_delay_alu instid0(VALU_DEP_1) | instskip(SKIP_3) | instid1(VALU_DEP_2)
	v_fma_f64 v[12:13], s[6:7], v[12:13], v[14:15]
	v_add_co_u32 v14, vcc_lo, v26, s12
	s_wait_alu 0xfffd
	v_add_co_ci_u32_e64 v15, null, s13, v27, vcc_lo
	v_add_co_u32 v14, vcc_lo, v14, v6
	s_wait_alu 0xfffd
	s_delay_alu instid0(VALU_DEP_2) | instskip(SKIP_4) | instid1(VALU_DEP_1)
	v_add_co_ci_u32_e64 v15, null, v15, v7, vcc_lo
	global_store_b64 v[18:19], v[12:13], off offset:128
	global_load_b64 v[12:13], v[14:15], off
	s_wait_loadcnt 0x0
	v_mul_f64_e32 v[12:13], s[36:37], v[12:13]
	v_fma_f64 v[10:11], s[6:7], v[10:11], v[12:13]
	v_add_co_u32 v12, vcc_lo, v28, s18
	s_wait_alu 0xfffd
	v_add_co_ci_u32_e64 v13, null, s19, v29, vcc_lo
	s_delay_alu instid0(VALU_DEP_2) | instskip(SKIP_1) | instid1(VALU_DEP_2)
	v_add_co_u32 v12, vcc_lo, v12, v6
	s_wait_alu 0xfffd
	v_add_co_ci_u32_e64 v13, null, v13, v7, vcc_lo
	global_store_b64 v[12:13], v[10:11], off
	global_load_b64 v[10:11], v[14:15], off offset:128
	s_wait_loadcnt 0x0
	v_mul_f64_e32 v[10:11], s[36:37], v[10:11]
	s_delay_alu instid0(VALU_DEP_1)
	v_fma_f64 v[8:9], s[6:7], v[8:9], v[10:11]
	global_store_b64 v[12:13], v[8:9], off offset:128
	s_branch .LBB76_2
.LBB76_11:
	s_endpgm
	.section	.rodata,"a",@progbits
	.p2align	6, 0x0
	.amdhsa_kernel _ZN12_GLOBAL__N_127rocblas_gemm_batched_kernelIdLi16ELi16ELi32ELi32ELi8ELi32ELi8ELi8ELi32ELc78ELc67EKdS1_dEEvlllT_PT11_llS4_llS2_PT12_llPT13_lli
		.amdhsa_group_segment_fixed_size 4096
		.amdhsa_private_segment_fixed_size 0
		.amdhsa_kernarg_size 140
		.amdhsa_user_sgpr_count 2
		.amdhsa_user_sgpr_dispatch_ptr 0
		.amdhsa_user_sgpr_queue_ptr 0
		.amdhsa_user_sgpr_kernarg_segment_ptr 1
		.amdhsa_user_sgpr_dispatch_id 0
		.amdhsa_user_sgpr_private_segment_size 0
		.amdhsa_wavefront_size32 1
		.amdhsa_uses_dynamic_stack 0
		.amdhsa_enable_private_segment 0
		.amdhsa_system_sgpr_workgroup_id_x 1
		.amdhsa_system_sgpr_workgroup_id_y 1
		.amdhsa_system_sgpr_workgroup_id_z 1
		.amdhsa_system_sgpr_workgroup_info 0
		.amdhsa_system_vgpr_workitem_id 1
		.amdhsa_next_free_vgpr 46
		.amdhsa_next_free_sgpr 44
		.amdhsa_reserve_vcc 1
		.amdhsa_float_round_mode_32 0
		.amdhsa_float_round_mode_16_64 0
		.amdhsa_float_denorm_mode_32 3
		.amdhsa_float_denorm_mode_16_64 3
		.amdhsa_fp16_overflow 0
		.amdhsa_workgroup_processor_mode 1
		.amdhsa_memory_ordered 1
		.amdhsa_forward_progress 1
		.amdhsa_inst_pref_size 15
		.amdhsa_round_robin_scheduling 0
		.amdhsa_exception_fp_ieee_invalid_op 0
		.amdhsa_exception_fp_denorm_src 0
		.amdhsa_exception_fp_ieee_div_zero 0
		.amdhsa_exception_fp_ieee_overflow 0
		.amdhsa_exception_fp_ieee_underflow 0
		.amdhsa_exception_fp_ieee_inexact 0
		.amdhsa_exception_int_div_zero 0
	.end_amdhsa_kernel
	.section	.text._ZN12_GLOBAL__N_127rocblas_gemm_batched_kernelIdLi16ELi16ELi32ELi32ELi8ELi32ELi8ELi8ELi32ELc78ELc67EKdS1_dEEvlllT_PT11_llS4_llS2_PT12_llPT13_lli,"axG",@progbits,_ZN12_GLOBAL__N_127rocblas_gemm_batched_kernelIdLi16ELi16ELi32ELi32ELi8ELi32ELi8ELi8ELi32ELc78ELc67EKdS1_dEEvlllT_PT11_llS4_llS2_PT12_llPT13_lli,comdat
.Lfunc_end76:
	.size	_ZN12_GLOBAL__N_127rocblas_gemm_batched_kernelIdLi16ELi16ELi32ELi32ELi8ELi32ELi8ELi8ELi32ELc78ELc67EKdS1_dEEvlllT_PT11_llS4_llS2_PT12_llPT13_lli, .Lfunc_end76-_ZN12_GLOBAL__N_127rocblas_gemm_batched_kernelIdLi16ELi16ELi32ELi32ELi8ELi32ELi8ELi8ELi32ELc78ELc67EKdS1_dEEvlllT_PT11_llS4_llS2_PT12_llPT13_lli
                                        ; -- End function
	.set _ZN12_GLOBAL__N_127rocblas_gemm_batched_kernelIdLi16ELi16ELi32ELi32ELi8ELi32ELi8ELi8ELi32ELc78ELc67EKdS1_dEEvlllT_PT11_llS4_llS2_PT12_llPT13_lli.num_vgpr, 46
	.set _ZN12_GLOBAL__N_127rocblas_gemm_batched_kernelIdLi16ELi16ELi32ELi32ELi8ELi32ELi8ELi8ELi32ELc78ELc67EKdS1_dEEvlllT_PT11_llS4_llS2_PT12_llPT13_lli.num_agpr, 0
	.set _ZN12_GLOBAL__N_127rocblas_gemm_batched_kernelIdLi16ELi16ELi32ELi32ELi8ELi32ELi8ELi8ELi32ELc78ELc67EKdS1_dEEvlllT_PT11_llS4_llS2_PT12_llPT13_lli.numbered_sgpr, 44
	.set _ZN12_GLOBAL__N_127rocblas_gemm_batched_kernelIdLi16ELi16ELi32ELi32ELi8ELi32ELi8ELi8ELi32ELc78ELc67EKdS1_dEEvlllT_PT11_llS4_llS2_PT12_llPT13_lli.num_named_barrier, 0
	.set _ZN12_GLOBAL__N_127rocblas_gemm_batched_kernelIdLi16ELi16ELi32ELi32ELi8ELi32ELi8ELi8ELi32ELc78ELc67EKdS1_dEEvlllT_PT11_llS4_llS2_PT12_llPT13_lli.private_seg_size, 0
	.set _ZN12_GLOBAL__N_127rocblas_gemm_batched_kernelIdLi16ELi16ELi32ELi32ELi8ELi32ELi8ELi8ELi32ELc78ELc67EKdS1_dEEvlllT_PT11_llS4_llS2_PT12_llPT13_lli.uses_vcc, 1
	.set _ZN12_GLOBAL__N_127rocblas_gemm_batched_kernelIdLi16ELi16ELi32ELi32ELi8ELi32ELi8ELi8ELi32ELc78ELc67EKdS1_dEEvlllT_PT11_llS4_llS2_PT12_llPT13_lli.uses_flat_scratch, 0
	.set _ZN12_GLOBAL__N_127rocblas_gemm_batched_kernelIdLi16ELi16ELi32ELi32ELi8ELi32ELi8ELi8ELi32ELc78ELc67EKdS1_dEEvlllT_PT11_llS4_llS2_PT12_llPT13_lli.has_dyn_sized_stack, 0
	.set _ZN12_GLOBAL__N_127rocblas_gemm_batched_kernelIdLi16ELi16ELi32ELi32ELi8ELi32ELi8ELi8ELi32ELc78ELc67EKdS1_dEEvlllT_PT11_llS4_llS2_PT12_llPT13_lli.has_recursion, 0
	.set _ZN12_GLOBAL__N_127rocblas_gemm_batched_kernelIdLi16ELi16ELi32ELi32ELi8ELi32ELi8ELi8ELi32ELc78ELc67EKdS1_dEEvlllT_PT11_llS4_llS2_PT12_llPT13_lli.has_indirect_call, 0
	.section	.AMDGPU.csdata,"",@progbits
; Kernel info:
; codeLenInByte = 1796
; TotalNumSgprs: 46
; NumVgprs: 46
; ScratchSize: 0
; MemoryBound: 0
; FloatMode: 240
; IeeeMode: 1
; LDSByteSize: 4096 bytes/workgroup (compile time only)
; SGPRBlocks: 0
; VGPRBlocks: 5
; NumSGPRsForWavesPerEU: 46
; NumVGPRsForWavesPerEU: 46
; Occupancy: 16
; WaveLimiterHint : 1
; COMPUTE_PGM_RSRC2:SCRATCH_EN: 0
; COMPUTE_PGM_RSRC2:USER_SGPR: 2
; COMPUTE_PGM_RSRC2:TRAP_HANDLER: 0
; COMPUTE_PGM_RSRC2:TGID_X_EN: 1
; COMPUTE_PGM_RSRC2:TGID_Y_EN: 1
; COMPUTE_PGM_RSRC2:TGID_Z_EN: 1
; COMPUTE_PGM_RSRC2:TIDIG_COMP_CNT: 1
	.section	.text._ZN12_GLOBAL__N_127rocblas_gemm_batched_kernelIdLi16ELi16ELi32ELi32ELi8ELi32ELi8ELi8ELi32ELc84ELc67EKdS1_dEEvlllT_PT11_llS4_llS2_PT12_llPT13_lli,"axG",@progbits,_ZN12_GLOBAL__N_127rocblas_gemm_batched_kernelIdLi16ELi16ELi32ELi32ELi8ELi32ELi8ELi8ELi32ELc84ELc67EKdS1_dEEvlllT_PT11_llS4_llS2_PT12_llPT13_lli,comdat
	.globl	_ZN12_GLOBAL__N_127rocblas_gemm_batched_kernelIdLi16ELi16ELi32ELi32ELi8ELi32ELi8ELi8ELi32ELc84ELc67EKdS1_dEEvlllT_PT11_llS4_llS2_PT12_llPT13_lli ; -- Begin function _ZN12_GLOBAL__N_127rocblas_gemm_batched_kernelIdLi16ELi16ELi32ELi32ELi8ELi32ELi8ELi8ELi32ELc84ELc67EKdS1_dEEvlllT_PT11_llS4_llS2_PT12_llPT13_lli
	.p2align	8
	.type	_ZN12_GLOBAL__N_127rocblas_gemm_batched_kernelIdLi16ELi16ELi32ELi32ELi8ELi32ELi8ELi8ELi32ELc84ELc67EKdS1_dEEvlllT_PT11_llS4_llS2_PT12_llPT13_lli,@function
_ZN12_GLOBAL__N_127rocblas_gemm_batched_kernelIdLi16ELi16ELi32ELi32ELi8ELi32ELi8ELi8ELi32ELc84ELc67EKdS1_dEEvlllT_PT11_llS4_llS2_PT12_llPT13_lli: ; @_ZN12_GLOBAL__N_127rocblas_gemm_batched_kernelIdLi16ELi16ELi32ELi32ELi8ELi32ELi8ELi8ELi32ELc84ELc67EKdS1_dEEvlllT_PT11_llS4_llS2_PT12_llPT13_lli
; %bb.0:
	s_load_b32 s28, s[0:1], 0x88
	s_lshr_b32 s2, ttmp7, 16
	s_wait_kmcnt 0x0
	s_cmp_ge_i32 s2, s28
	s_cbranch_scc1 .LBB77_11
; %bb.1:
	s_clause 0x2
	s_load_b256 s[20:27], s[0:1], 0x70
	s_load_b512 s[4:19], s[0:1], 0x10
	s_load_b256 s[36:43], s[0:1], 0x50
	v_dual_mov_b32 v1, 0 :: v_dual_and_b32 v8, 0x3ff, v0
	v_bfe_u32 v6, v0, 10, 10
	v_and_b32_e32 v9, 7, v0
	s_lshl_b32 s0, ttmp7, 5
	s_mov_b32 s30, ttmp9
	s_wait_kmcnt 0x0
	s_and_b32 s26, s0, 0x1fffe0
	v_lshl_add_u32 v2, v6, 4, v8
	v_add_nc_u32_e32 v7, s26, v6
	v_lshlrev_b32_e32 v3, 3, v9
	v_lshl_add_u32 v23, v6, 6, 0x800
	s_ashr_i32 s31, ttmp9, 31
	v_lshrrev_b32_e32 v0, 3, v2
	v_and_b32_e32 v10, 31, v2
	v_lshrrev_b32_e32 v12, 5, v2
	s_lshl_b64 s[0:1], s[30:31], 5
	v_lshlrev_b32_e32 v22, 3, v8
	v_mad_co_u64_u32 v[4:5], null, v7, s22, 0
	v_lshl_or_b32 v13, v0, 6, v3
	v_mad_co_u64_u32 v[2:3], null, v7, s40, 0
	v_mad_co_u64_u32 v[0:1], null, s16, v9, v[0:1]
	s_delay_alu instid0(VALU_DEP_3)
	v_add_nc_u32_e32 v21, 0x800, v13
	v_mad_co_u64_u32 v[5:6], null, v7, s23, v[5:6]
	s_lshl_b64 s[22:23], s[22:23], 4
	v_mad_co_u64_u32 v[6:7], null, v7, s41, v[3:4]
	v_add_co_u32 v0, vcc_lo, v0, s26
	v_add_co_u32 v7, s27, s0, v8
	s_wait_alu 0xf1ff
	v_add_co_ci_u32_e64 v8, null, s1, 0, s27
	s_delay_alu instid0(VALU_DEP_4) | instskip(SKIP_4) | instid1(VALU_DEP_2)
	v_mov_b32_e32 v3, v6
	v_lshlrev_b32_e32 v11, 3, v10
	v_lshlrev_b64_e32 v[4:5], 3, v[4:5]
	s_lshl_b64 s[26:27], s[40:41], 4
	s_mov_b32 s3, 0
	v_lshl_or_b32 v20, v12, 8, v11
	v_or_b32_e32 v11, s0, v10
	v_mad_co_u64_u32 v[9:10], null, s17, v9, v[1:2]
	v_lshlrev_b64_e32 v[2:3], 3, v[2:3]
	s_mul_i32 s0, s10, s1
	s_delay_alu instid0(VALU_DEP_3)
	v_mul_lo_u32 v6, s11, v11
	v_mad_co_u64_u32 v[10:11], null, s10, v11, 0
	s_lshl_b64 s[10:11], s[18:19], 3
	v_add_co_ci_u32_e64 v1, null, 0, v9, vcc_lo
	v_add_co_u32 v24, vcc_lo, s38, v2
	s_wait_alu 0xfffd
	v_add_co_ci_u32_e64 v25, null, s39, v3, vcc_lo
	s_wait_alu 0xfffe
	v_add3_u32 v11, v11, s0, v6
	v_lshlrev_b64_e32 v[0:1], 3, v[0:1]
	v_cmp_gt_i64_e64 s0, s[4:5], 0
	v_lshlrev_b32_e32 v6, 3, v12
	s_delay_alu instid0(VALU_DEP_4) | instskip(NEXT) | instid1(VALU_DEP_4)
	v_lshlrev_b64_e32 v[2:3], 3, v[10:11]
	v_add_co_u32 v0, vcc_lo, s14, v0
	s_wait_alu 0xfffd
	v_add_co_ci_u32_e64 v1, null, s15, v1, vcc_lo
	s_delay_alu instid0(VALU_DEP_3)
	v_add_co_u32 v2, vcc_lo, v2, v6
	s_wait_alu 0xf1ff
	v_cndmask_b32_e64 v6, 0, 1, s0
	v_cmp_eq_f64_e64 s0, s[36:37], 0
	s_wait_alu 0xfffd
	v_add_co_ci_u32_e64 v3, null, 0, v3, vcc_lo
	v_add_co_u32 v2, vcc_lo, s8, v2
	s_lshl_b64 s[14:15], s[16:17], 6
	s_wait_alu 0xfffd
	v_add_co_ci_u32_e64 v3, null, s9, v3, vcc_lo
	s_lshl_b64 s[8:9], s[12:13], 3
	s_lshl_b64 s[12:13], s[26:27], 3
	;; [unrolled: 1-line block ×3, first 2 shown]
	v_cndmask_b32_e64 v9, 0, 1, s0
	v_cmp_ne_u32_e64 s0, 1, v6
	v_lshlrev_b64_e32 v[6:7], 3, v[7:8]
	s_delay_alu instid0(VALU_DEP_3)
	v_cmp_ne_u32_e64 s1, 1, v9
	s_branch .LBB77_3
.LBB77_2:                               ;   in Loop: Header=BB77_3 Depth=1
	s_add_co_i32 s2, s2, 0x10000
	s_wait_alu 0xfffe
	s_cmp_lt_i32 s2, s28
	s_cbranch_scc0 .LBB77_11
.LBB77_3:                               ; =>This Loop Header: Depth=1
                                        ;     Child Loop BB77_5 Depth 2
	s_delay_alu instid0(VALU_DEP_3)
	s_and_b32 vcc_lo, exec_lo, s0
	s_wait_alu 0xfffe
	s_cbranch_vccnz .LBB77_6
; %bb.4:                                ;   in Loop: Header=BB77_3 Depth=1
	v_mad_co_u64_u32 v[14:15], null, s10, s2, v[0:1]
	v_mad_co_u64_u32 v[16:17], null, s8, s2, v[2:3]
	v_mov_b32_e32 v12, 0
	v_mov_b32_e32 v13, 0
	s_mov_b64 s[18:19], 0
	s_delay_alu instid0(VALU_DEP_3) | instskip(NEXT) | instid1(VALU_DEP_1)
	v_dual_mov_b32 v8, v15 :: v_dual_mov_b32 v9, v17
	v_mad_co_u64_u32 v[17:18], null, s11, s2, v[8:9]
	v_mad_co_u64_u32 v[26:27], null, s9, s2, v[9:10]
	v_mov_b32_e32 v8, 0
	v_dual_mov_b32 v9, 0 :: v_dual_mov_b32 v10, 0
	v_dual_mov_b32 v18, 0 :: v_dual_mov_b32 v11, 0
	v_mov_b32_e32 v19, 0
	v_mov_b32_e32 v15, v17
	;; [unrolled: 1-line block ×3, first 2 shown]
.LBB77_5:                               ;   Parent Loop BB77_3 Depth=1
                                        ; =>  This Inner Loop Header: Depth=2
	global_load_b64 v[26:27], v[16:17], off
	global_load_b64 v[28:29], v[14:15], off
	s_wait_alu 0xfffe
	s_add_nc_u64 s[18:19], s[18:19], 8
	v_add_co_u32 v14, vcc_lo, v14, s14
	s_wait_alu 0xfffe
	v_cmp_lt_i64_e64 s22, s[18:19], s[4:5]
	s_wait_alu 0xfffd
	v_add_co_ci_u32_e64 v15, null, s15, v15, vcc_lo
	v_add_co_u32 v16, vcc_lo, v16, 64
	s_wait_alu 0xfffd
	v_add_co_ci_u32_e64 v17, null, 0, v17, vcc_lo
	s_and_b32 vcc_lo, exec_lo, s22
	s_wait_loadcnt 0x1
	ds_store_b64 v20, v[26:27]
	s_wait_loadcnt 0x0
	ds_store_b64 v21, v[28:29]
	s_wait_dscnt 0x0
	s_barrier_signal -1
	s_barrier_wait -1
	global_inv scope:SCOPE_SE
	ds_load_b128 v[26:29], v23
	ds_load_2addr_b64 v[30:33], v22 offset1:16
	ds_load_b128 v[34:37], v23 offset:1024
	ds_load_b128 v[38:41], v23 offset:16
	;; [unrolled: 1-line block ×3, first 2 shown]
	s_wait_dscnt 0x3
	v_fma_f64 v[18:19], v[30:31], v[26:27], v[18:19]
	v_fma_f64 v[12:13], v[32:33], v[26:27], v[12:13]
	s_wait_dscnt 0x2
	v_fma_f64 v[26:27], v[30:31], v[34:35], v[10:11]
	v_fma_f64 v[30:31], v[32:33], v[34:35], v[8:9]
	ds_load_2addr_b64 v[8:11], v22 offset0:32 offset1:48
	s_wait_dscnt 0x0
	v_fma_f64 v[18:19], v[8:9], v[28:29], v[18:19]
	v_fma_f64 v[12:13], v[10:11], v[28:29], v[12:13]
	v_fma_f64 v[26:27], v[8:9], v[36:37], v[26:27]
	v_fma_f64 v[28:29], v[10:11], v[36:37], v[30:31]
	ds_load_2addr_b64 v[8:11], v22 offset0:64 offset1:80
	s_wait_dscnt 0x0
	v_fma_f64 v[18:19], v[8:9], v[38:39], v[18:19]
	v_fma_f64 v[12:13], v[10:11], v[38:39], v[12:13]
	;; [unrolled: 6-line block ×3, first 2 shown]
	v_fma_f64 v[42:43], v[8:9], v[44:45], v[26:27]
	v_fma_f64 v[44:45], v[10:11], v[44:45], v[28:29]
	ds_load_b128 v[8:11], v23 offset:32
	ds_load_2addr_b64 v[26:29], v22 offset0:128 offset1:144
	ds_load_b128 v[30:33], v23 offset:1056
	ds_load_b128 v[34:37], v23 offset:48
	ds_load_b128 v[38:41], v23 offset:1072
	s_wait_dscnt 0x3
	v_fma_f64 v[18:19], v[26:27], v[8:9], v[18:19]
	v_fma_f64 v[8:9], v[28:29], v[8:9], v[12:13]
	s_wait_dscnt 0x2
	v_fma_f64 v[12:13], v[26:27], v[30:31], v[42:43]
	v_fma_f64 v[30:31], v[28:29], v[30:31], v[44:45]
	ds_load_2addr_b64 v[26:29], v22 offset0:160 offset1:176
	s_wait_dscnt 0x0
	v_fma_f64 v[18:19], v[26:27], v[10:11], v[18:19]
	v_fma_f64 v[42:43], v[28:29], v[10:11], v[8:9]
	;; [unrolled: 1-line block ×4, first 2 shown]
	ds_load_2addr_b64 v[8:11], v22 offset0:192 offset1:208
	s_wait_dscnt 0x0
	v_fma_f64 v[18:19], v[8:9], v[34:35], v[18:19]
	v_fma_f64 v[30:31], v[10:11], v[34:35], v[42:43]
	;; [unrolled: 1-line block ×4, first 2 shown]
	ds_load_2addr_b64 v[26:29], v22 offset0:224 offset1:240
	s_wait_loadcnt_dscnt 0x0
	s_barrier_signal -1
	s_barrier_wait -1
	global_inv scope:SCOPE_SE
	v_fma_f64 v[18:19], v[26:27], v[36:37], v[18:19]
	v_fma_f64 v[12:13], v[28:29], v[36:37], v[30:31]
	;; [unrolled: 1-line block ×4, first 2 shown]
	s_wait_alu 0xfffe
	s_cbranch_vccnz .LBB77_5
	s_branch .LBB77_7
.LBB77_6:                               ;   in Loop: Header=BB77_3 Depth=1
	v_mov_b32_e32 v18, 0
	v_dual_mov_b32 v10, 0 :: v_dual_mov_b32 v19, 0
	v_dual_mov_b32 v12, 0 :: v_dual_mov_b32 v11, 0
	;; [unrolled: 1-line block ×3, first 2 shown]
	v_mov_b32_e32 v9, 0
.LBB77_7:                               ;   in Loop: Header=BB77_3 Depth=1
	s_mul_u64 s[18:19], s[24:25], s[2:3]
	s_and_b32 vcc_lo, exec_lo, s1
	s_wait_alu 0xfffe
	s_lshl_b64 s[18:19], s[18:19], 3
	s_wait_alu 0xfffe
	s_add_nc_u64 s[18:19], s[20:21], s[18:19]
	s_cbranch_vccnz .LBB77_9
; %bb.8:                                ;   in Loop: Header=BB77_3 Depth=1
	s_delay_alu instid0(VALU_DEP_4) | instskip(NEXT) | instid1(VALU_DEP_3)
	v_mul_f64_e32 v[14:15], s[6:7], v[18:19]
	v_mul_f64_e32 v[16:17], s[6:7], v[12:13]
	s_delay_alu instid0(VALU_DEP_4) | instskip(NEXT) | instid1(VALU_DEP_4)
	v_mul_f64_e32 v[26:27], s[6:7], v[10:11]
	v_mul_f64_e32 v[28:29], s[6:7], v[8:9]
	s_wait_alu 0xfffe
	v_add_co_u32 v30, vcc_lo, s18, v4
	s_wait_alu 0xfffd
	v_add_co_ci_u32_e64 v31, null, s19, v5, vcc_lo
	s_delay_alu instid0(VALU_DEP_2) | instskip(SKIP_1) | instid1(VALU_DEP_2)
	v_add_co_u32 v32, vcc_lo, v30, s16
	s_wait_alu 0xfffd
	v_add_co_ci_u32_e64 v33, null, s17, v31, vcc_lo
	v_add_co_u32 v30, vcc_lo, v30, v6
	s_wait_alu 0xfffd
	v_add_co_ci_u32_e64 v31, null, v31, v7, vcc_lo
	;; [unrolled: 3-line block ×3, first 2 shown]
	s_clause 0x3
	global_store_b64 v[30:31], v[14:15], off
	global_store_b64 v[30:31], v[16:17], off offset:128
	global_store_b64 v[32:33], v[26:27], off
	global_store_b64 v[32:33], v[28:29], off offset:128
	s_cbranch_execnz .LBB77_2
	s_branch .LBB77_10
.LBB77_9:                               ;   in Loop: Header=BB77_3 Depth=1
.LBB77_10:                              ;   in Loop: Header=BB77_3 Depth=1
	s_mul_u64 s[22:23], s[42:43], s[2:3]
	s_wait_alu 0xfffe
	s_lshl_b64 s[22:23], s[22:23], 3
	s_wait_alu 0xfffe
	v_add_co_u32 v26, vcc_lo, v24, s22
	s_wait_alu 0xfffd
	v_add_co_ci_u32_e64 v27, null, s23, v25, vcc_lo
	s_delay_alu instid0(VALU_DEP_2) | instskip(SKIP_1) | instid1(VALU_DEP_2)
	v_add_co_u32 v14, vcc_lo, v26, v6
	s_wait_alu 0xfffd
	v_add_co_ci_u32_e64 v15, null, v27, v7, vcc_lo
	v_add_co_u32 v28, vcc_lo, s18, v4
	s_wait_alu 0xfffd
	v_add_co_ci_u32_e64 v29, null, s19, v5, vcc_lo
	global_load_b64 v[16:17], v[14:15], off
	s_wait_loadcnt 0x0
	v_mul_f64_e32 v[16:17], s[36:37], v[16:17]
	s_delay_alu instid0(VALU_DEP_1)
	v_fma_f64 v[16:17], s[6:7], v[18:19], v[16:17]
	v_add_co_u32 v18, vcc_lo, v28, v6
	s_wait_alu 0xfffd
	v_add_co_ci_u32_e64 v19, null, v29, v7, vcc_lo
	global_store_b64 v[18:19], v[16:17], off
	global_load_b64 v[14:15], v[14:15], off offset:128
	s_wait_loadcnt 0x0
	v_mul_f64_e32 v[14:15], s[36:37], v[14:15]
	s_delay_alu instid0(VALU_DEP_1) | instskip(SKIP_3) | instid1(VALU_DEP_2)
	v_fma_f64 v[12:13], s[6:7], v[12:13], v[14:15]
	v_add_co_u32 v14, vcc_lo, v26, s12
	s_wait_alu 0xfffd
	v_add_co_ci_u32_e64 v15, null, s13, v27, vcc_lo
	v_add_co_u32 v14, vcc_lo, v14, v6
	s_wait_alu 0xfffd
	s_delay_alu instid0(VALU_DEP_2) | instskip(SKIP_4) | instid1(VALU_DEP_1)
	v_add_co_ci_u32_e64 v15, null, v15, v7, vcc_lo
	global_store_b64 v[18:19], v[12:13], off offset:128
	global_load_b64 v[12:13], v[14:15], off
	s_wait_loadcnt 0x0
	v_mul_f64_e32 v[12:13], s[36:37], v[12:13]
	v_fma_f64 v[10:11], s[6:7], v[10:11], v[12:13]
	v_add_co_u32 v12, vcc_lo, v28, s16
	s_wait_alu 0xfffd
	v_add_co_ci_u32_e64 v13, null, s17, v29, vcc_lo
	s_delay_alu instid0(VALU_DEP_2) | instskip(SKIP_1) | instid1(VALU_DEP_2)
	v_add_co_u32 v12, vcc_lo, v12, v6
	s_wait_alu 0xfffd
	v_add_co_ci_u32_e64 v13, null, v13, v7, vcc_lo
	global_store_b64 v[12:13], v[10:11], off
	global_load_b64 v[10:11], v[14:15], off offset:128
	s_wait_loadcnt 0x0
	v_mul_f64_e32 v[10:11], s[36:37], v[10:11]
	s_delay_alu instid0(VALU_DEP_1)
	v_fma_f64 v[8:9], s[6:7], v[8:9], v[10:11]
	global_store_b64 v[12:13], v[8:9], off offset:128
	s_branch .LBB77_2
.LBB77_11:
	s_endpgm
	.section	.rodata,"a",@progbits
	.p2align	6, 0x0
	.amdhsa_kernel _ZN12_GLOBAL__N_127rocblas_gemm_batched_kernelIdLi16ELi16ELi32ELi32ELi8ELi32ELi8ELi8ELi32ELc84ELc67EKdS1_dEEvlllT_PT11_llS4_llS2_PT12_llPT13_lli
		.amdhsa_group_segment_fixed_size 4096
		.amdhsa_private_segment_fixed_size 0
		.amdhsa_kernarg_size 140
		.amdhsa_user_sgpr_count 2
		.amdhsa_user_sgpr_dispatch_ptr 0
		.amdhsa_user_sgpr_queue_ptr 0
		.amdhsa_user_sgpr_kernarg_segment_ptr 1
		.amdhsa_user_sgpr_dispatch_id 0
		.amdhsa_user_sgpr_private_segment_size 0
		.amdhsa_wavefront_size32 1
		.amdhsa_uses_dynamic_stack 0
		.amdhsa_enable_private_segment 0
		.amdhsa_system_sgpr_workgroup_id_x 1
		.amdhsa_system_sgpr_workgroup_id_y 1
		.amdhsa_system_sgpr_workgroup_id_z 1
		.amdhsa_system_sgpr_workgroup_info 0
		.amdhsa_system_vgpr_workitem_id 1
		.amdhsa_next_free_vgpr 46
		.amdhsa_next_free_sgpr 44
		.amdhsa_reserve_vcc 1
		.amdhsa_float_round_mode_32 0
		.amdhsa_float_round_mode_16_64 0
		.amdhsa_float_denorm_mode_32 3
		.amdhsa_float_denorm_mode_16_64 3
		.amdhsa_fp16_overflow 0
		.amdhsa_workgroup_processor_mode 1
		.amdhsa_memory_ordered 1
		.amdhsa_forward_progress 1
		.amdhsa_inst_pref_size 15
		.amdhsa_round_robin_scheduling 0
		.amdhsa_exception_fp_ieee_invalid_op 0
		.amdhsa_exception_fp_denorm_src 0
		.amdhsa_exception_fp_ieee_div_zero 0
		.amdhsa_exception_fp_ieee_overflow 0
		.amdhsa_exception_fp_ieee_underflow 0
		.amdhsa_exception_fp_ieee_inexact 0
		.amdhsa_exception_int_div_zero 0
	.end_amdhsa_kernel
	.section	.text._ZN12_GLOBAL__N_127rocblas_gemm_batched_kernelIdLi16ELi16ELi32ELi32ELi8ELi32ELi8ELi8ELi32ELc84ELc67EKdS1_dEEvlllT_PT11_llS4_llS2_PT12_llPT13_lli,"axG",@progbits,_ZN12_GLOBAL__N_127rocblas_gemm_batched_kernelIdLi16ELi16ELi32ELi32ELi8ELi32ELi8ELi8ELi32ELc84ELc67EKdS1_dEEvlllT_PT11_llS4_llS2_PT12_llPT13_lli,comdat
.Lfunc_end77:
	.size	_ZN12_GLOBAL__N_127rocblas_gemm_batched_kernelIdLi16ELi16ELi32ELi32ELi8ELi32ELi8ELi8ELi32ELc84ELc67EKdS1_dEEvlllT_PT11_llS4_llS2_PT12_llPT13_lli, .Lfunc_end77-_ZN12_GLOBAL__N_127rocblas_gemm_batched_kernelIdLi16ELi16ELi32ELi32ELi8ELi32ELi8ELi8ELi32ELc84ELc67EKdS1_dEEvlllT_PT11_llS4_llS2_PT12_llPT13_lli
                                        ; -- End function
	.set _ZN12_GLOBAL__N_127rocblas_gemm_batched_kernelIdLi16ELi16ELi32ELi32ELi8ELi32ELi8ELi8ELi32ELc84ELc67EKdS1_dEEvlllT_PT11_llS4_llS2_PT12_llPT13_lli.num_vgpr, 46
	.set _ZN12_GLOBAL__N_127rocblas_gemm_batched_kernelIdLi16ELi16ELi32ELi32ELi8ELi32ELi8ELi8ELi32ELc84ELc67EKdS1_dEEvlllT_PT11_llS4_llS2_PT12_llPT13_lli.num_agpr, 0
	.set _ZN12_GLOBAL__N_127rocblas_gemm_batched_kernelIdLi16ELi16ELi32ELi32ELi8ELi32ELi8ELi8ELi32ELc84ELc67EKdS1_dEEvlllT_PT11_llS4_llS2_PT12_llPT13_lli.numbered_sgpr, 44
	.set _ZN12_GLOBAL__N_127rocblas_gemm_batched_kernelIdLi16ELi16ELi32ELi32ELi8ELi32ELi8ELi8ELi32ELc84ELc67EKdS1_dEEvlllT_PT11_llS4_llS2_PT12_llPT13_lli.num_named_barrier, 0
	.set _ZN12_GLOBAL__N_127rocblas_gemm_batched_kernelIdLi16ELi16ELi32ELi32ELi8ELi32ELi8ELi8ELi32ELc84ELc67EKdS1_dEEvlllT_PT11_llS4_llS2_PT12_llPT13_lli.private_seg_size, 0
	.set _ZN12_GLOBAL__N_127rocblas_gemm_batched_kernelIdLi16ELi16ELi32ELi32ELi8ELi32ELi8ELi8ELi32ELc84ELc67EKdS1_dEEvlllT_PT11_llS4_llS2_PT12_llPT13_lli.uses_vcc, 1
	.set _ZN12_GLOBAL__N_127rocblas_gemm_batched_kernelIdLi16ELi16ELi32ELi32ELi8ELi32ELi8ELi8ELi32ELc84ELc67EKdS1_dEEvlllT_PT11_llS4_llS2_PT12_llPT13_lli.uses_flat_scratch, 0
	.set _ZN12_GLOBAL__N_127rocblas_gemm_batched_kernelIdLi16ELi16ELi32ELi32ELi8ELi32ELi8ELi8ELi32ELc84ELc67EKdS1_dEEvlllT_PT11_llS4_llS2_PT12_llPT13_lli.has_dyn_sized_stack, 0
	.set _ZN12_GLOBAL__N_127rocblas_gemm_batched_kernelIdLi16ELi16ELi32ELi32ELi8ELi32ELi8ELi8ELi32ELc84ELc67EKdS1_dEEvlllT_PT11_llS4_llS2_PT12_llPT13_lli.has_recursion, 0
	.set _ZN12_GLOBAL__N_127rocblas_gemm_batched_kernelIdLi16ELi16ELi32ELi32ELi8ELi32ELi8ELi8ELi32ELc84ELc67EKdS1_dEEvlllT_PT11_llS4_llS2_PT12_llPT13_lli.has_indirect_call, 0
	.section	.AMDGPU.csdata,"",@progbits
; Kernel info:
; codeLenInByte = 1832
; TotalNumSgprs: 46
; NumVgprs: 46
; ScratchSize: 0
; MemoryBound: 0
; FloatMode: 240
; IeeeMode: 1
; LDSByteSize: 4096 bytes/workgroup (compile time only)
; SGPRBlocks: 0
; VGPRBlocks: 5
; NumSGPRsForWavesPerEU: 46
; NumVGPRsForWavesPerEU: 46
; Occupancy: 16
; WaveLimiterHint : 1
; COMPUTE_PGM_RSRC2:SCRATCH_EN: 0
; COMPUTE_PGM_RSRC2:USER_SGPR: 2
; COMPUTE_PGM_RSRC2:TRAP_HANDLER: 0
; COMPUTE_PGM_RSRC2:TGID_X_EN: 1
; COMPUTE_PGM_RSRC2:TGID_Y_EN: 1
; COMPUTE_PGM_RSRC2:TGID_Z_EN: 1
; COMPUTE_PGM_RSRC2:TIDIG_COMP_CNT: 1
	.section	.text._ZN12_GLOBAL__N_135rocblas_gemm_batched_general_kernelIdLi16ELi16ELi32ELi32ELi8ELi32ELi8ELi8ELi32ELc78ELc78EKdS1_dEEvlllT_PT11_llS4_llS2_PT12_llPT13_lli,"axG",@progbits,_ZN12_GLOBAL__N_135rocblas_gemm_batched_general_kernelIdLi16ELi16ELi32ELi32ELi8ELi32ELi8ELi8ELi32ELc78ELc78EKdS1_dEEvlllT_PT11_llS4_llS2_PT12_llPT13_lli,comdat
	.globl	_ZN12_GLOBAL__N_135rocblas_gemm_batched_general_kernelIdLi16ELi16ELi32ELi32ELi8ELi32ELi8ELi8ELi32ELc78ELc78EKdS1_dEEvlllT_PT11_llS4_llS2_PT12_llPT13_lli ; -- Begin function _ZN12_GLOBAL__N_135rocblas_gemm_batched_general_kernelIdLi16ELi16ELi32ELi32ELi8ELi32ELi8ELi8ELi32ELc78ELc78EKdS1_dEEvlllT_PT11_llS4_llS2_PT12_llPT13_lli
	.p2align	8
	.type	_ZN12_GLOBAL__N_135rocblas_gemm_batched_general_kernelIdLi16ELi16ELi32ELi32ELi8ELi32ELi8ELi8ELi32ELc78ELc78EKdS1_dEEvlllT_PT11_llS4_llS2_PT12_llPT13_lli,@function
_ZN12_GLOBAL__N_135rocblas_gemm_batched_general_kernelIdLi16ELi16ELi32ELi32ELi8ELi32ELi8ELi8ELi32ELc78ELc78EKdS1_dEEvlllT_PT11_llS4_llS2_PT12_llPT13_lli: ; @_ZN12_GLOBAL__N_135rocblas_gemm_batched_general_kernelIdLi16ELi16ELi32ELi32ELi8ELi32ELi8ELi8ELi32ELc78ELc78EKdS1_dEEvlllT_PT11_llS4_llS2_PT12_llPT13_lli
; %bb.0:
	s_load_b32 s26, s[0:1], 0x88
	s_lshr_b32 s20, ttmp7, 16
	s_wait_kmcnt 0x0
	s_cmp_ge_i32 s20, s26
	s_cbranch_scc1 .LBB78_35
; %bb.1:
	v_bfe_u32 v2, v0, 10, 10
	v_and_b32_e32 v3, 0x3ff, v0
	s_clause 0x2
	s_load_b512 s[4:19], s[0:1], 0x0
	s_load_b512 s[36:51], s[0:1], 0x40
	s_load_b64 s[22:23], s[0:1], 0x80
	s_and_b32 s0, ttmp7, 0xffff
	s_mov_b32 s24, ttmp9
	v_lshl_add_u32 v4, v2, 4, v3
	s_ashr_i32 s25, ttmp9, 31
	s_lshl_b32 s27, s0, 5
	s_lshl_b64 s[2:3], s[24:25], 5
	s_delay_alu instid0(SALU_CYCLE_1)
	v_dual_mov_b32 v1, s3 :: v_dual_and_b32 v24, 7, v0
	v_lshrrev_b32_e32 v6, 3, v4
	v_and_b32_e32 v5, 31, v4
	v_lshrrev_b32_e32 v25, 5, v4
	v_lshlrev_b32_e32 v28, 3, v3
	v_lshl_add_u32 v29, v2, 6, 0x800
	v_add_co_u32 v4, s0, v6, s27
	v_or_b32_e32 v0, s2, v5
	v_lshlrev_b32_e32 v18, 3, v5
	v_add_co_ci_u32_e64 v5, null, 0, 0, s0
	s_wait_kmcnt 0x0
	v_mad_co_u64_u32 v[11:12], null, s36, v4, 0
	v_cmp_gt_i64_e64 s0, s[4:5], v[0:1]
	s_delay_alu instid0(VALU_DEP_3) | instskip(SKIP_4) | instid1(VALU_DEP_3)
	v_cmp_gt_i64_e64 s1, s[6:7], v[4:5]
	v_add_co_u32 v5, s27, s27, v2
	v_add_co_u32 v0, s2, s2, v3
	s_wait_alu 0xf1ff
	v_add_co_ci_u32_e64 v1, null, s3, 0, s2
	v_mad_co_u64_u32 v[2:3], null, v5, s50, 0
	s_delay_alu instid0(VALU_DEP_3) | instskip(NEXT) | instid1(VALU_DEP_1)
	v_add_co_u32 v9, vcc_lo, v0, 16
	v_add_co_ci_u32_e64 v10, null, 0, v1, vcc_lo
	v_mad_co_u64_u32 v[7:8], null, v5, s44, 0
	v_cmp_gt_i64_e64 s3, s[4:5], v[0:1]
	s_delay_alu instid0(VALU_DEP_3)
	v_cmp_gt_i64_e64 s4, s[4:5], v[9:10]
	v_mad_co_u64_u32 v[9:10], null, s14, v25, 0
	v_mad_co_u64_u32 v[13:14], null, v5, s51, v[3:4]
	s_lshl_b64 s[24:25], s[24:25], 8
	v_cmp_gt_i64_e64 s28, s[8:9], 0
	s_lshl_b64 s[30:31], s[44:45], 4
	s_mov_b32 s21, 0
	v_mad_co_u64_u32 v[14:15], null, v5, s45, v[8:9]
	v_mad_co_u64_u32 v[15:16], null, s37, v4, v[12:13]
	v_mov_b32_e32 v3, v10
	v_add_co_u32 v4, vcc_lo, v5, 16
	v_lshl_or_b32 v26, v25, 8, v18
	v_mov_b32_e32 v8, v14
	s_delay_alu instid0(VALU_DEP_3) | instskip(SKIP_3) | instid1(VALU_DEP_3)
	v_mad_co_u64_u32 v[16:17], null, s15, v25, v[3:4]
	v_dual_mov_b32 v12, v15 :: v_dual_lshlrev_b32 v19, 3, v24
	v_mov_b32_e32 v3, v13
	s_lshl_b64 s[14:15], s[14:15], 6
	v_mov_b32_e32 v10, v16
	s_delay_alu instid0(VALU_DEP_3) | instskip(NEXT) | instid1(VALU_DEP_1)
	v_lshl_or_b32 v6, v6, 6, v19
	v_add_nc_u32_e32 v27, 0x800, v6
	v_add_co_ci_u32_e64 v6, null, 0, 0, s27
	v_cmp_eq_f64_e64 s27, s[40:41], 0
	s_delay_alu instid0(VALU_DEP_2) | instskip(SKIP_2) | instid1(VALU_DEP_1)
	v_cmp_gt_i64_e64 s2, s[6:7], v[5:6]
	s_wait_alu 0xfffd
	v_add_co_ci_u32_e64 v5, null, 0, v6, vcc_lo
	v_cmp_gt_i64_e64 s5, s[6:7], v[4:5]
	v_lshlrev_b64_e32 v[4:5], 3, v[7:8]
	v_lshlrev_b64_e32 v[6:7], 3, v[11:12]
	s_lshl_b64 s[6:7], s[50:51], 4
	s_delay_alu instid0(VALU_DEP_2) | instskip(SKIP_1) | instid1(VALU_DEP_3)
	v_add_co_u32 v30, vcc_lo, s42, v4
	s_wait_alu 0xfffd
	v_add_co_ci_u32_e64 v31, null, s43, v5, vcc_lo
	v_lshlrev_b64_e32 v[4:5], 3, v[9:10]
	v_add_co_u32 v6, vcc_lo, v6, v19
	s_wait_alu 0xfffd
	v_add_co_ci_u32_e64 v7, null, 0, v7, vcc_lo
	s_delay_alu instid0(VALU_DEP_3)
	v_add_co_u32 v8, vcc_lo, v4, s24
	s_wait_alu 0xfffd
	v_add_co_ci_u32_e64 v9, null, s25, v5, vcc_lo
	v_add_co_u32 v4, vcc_lo, s18, v6
	s_wait_alu 0xfffd
	v_add_co_ci_u32_e64 v5, null, s19, v7, vcc_lo
	;; [unrolled: 3-line block ×3, first 2 shown]
	s_lshl_b64 s[18:19], s[38:39], 3
	v_add_co_u32 v6, vcc_lo, s12, v6
	s_wait_alu 0xfffd
	v_add_co_ci_u32_e64 v7, null, s13, v7, vcc_lo
	s_lshl_b64 s[12:13], s[16:17], 3
	s_lshl_b64 s[16:17], s[30:31], 3
	s_branch .LBB78_4
.LBB78_2:                               ;   in Loop: Header=BB78_4 Depth=1
	s_wait_alu 0xfffe
	s_or_b32 exec_lo, exec_lo, s29
.LBB78_3:                               ;   in Loop: Header=BB78_4 Depth=1
	s_add_co_i32 s20, s20, 0x10000
	s_wait_alu 0xfffe
	s_cmp_lt_i32 s20, s26
	s_cbranch_scc0 .LBB78_35
.LBB78_4:                               ; =>This Loop Header: Depth=1
                                        ;     Child Loop BB78_7 Depth 2
	s_and_not1_b32 vcc_lo, exec_lo, s28
	s_wait_alu 0xfffe
	s_cbranch_vccnz .LBB78_11
; %bb.5:                                ;   in Loop: Header=BB78_4 Depth=1
	v_mad_co_u64_u32 v[16:17], null, s18, s20, v[4:5]
	v_mad_co_u64_u32 v[18:19], null, s12, s20, v[6:7]
	v_mov_b32_e32 v12, 0
	v_dual_mov_b32 v13, 0 :: v_dual_mov_b32 v14, 0
	s_delay_alu instid0(VALU_DEP_4) | instskip(SKIP_1) | instid1(VALU_DEP_4)
	v_dual_mov_b32 v15, 0 :: v_dual_mov_b32 v8, v17
	s_mov_b64 s[24:25], 0
	v_mov_b32_e32 v9, v19
	s_delay_alu instid0(VALU_DEP_1)
	v_mad_co_u64_u32 v[19:20], null, s19, s20, v[8:9]
	v_mad_co_u64_u32 v[20:21], null, s13, s20, v[9:10]
	v_mov_b32_e32 v8, 0
	v_dual_mov_b32 v9, 0 :: v_dual_mov_b32 v10, 0
	v_mov_b32_e32 v11, 0
	v_mov_b32_e32 v17, v19
	;; [unrolled: 1-line block ×3, first 2 shown]
	s_branch .LBB78_7
.LBB78_6:                               ;   in Loop: Header=BB78_7 Depth=2
	s_wait_alu 0xfffe
	s_or_b32 exec_lo, exec_lo, s29
	s_wait_loadcnt 0x0
	ds_store_b64 v27, v[22:23]
	s_wait_dscnt 0x0
	s_barrier_signal -1
	s_barrier_wait -1
	global_inv scope:SCOPE_SE
	ds_load_b128 v[20:23], v29
	ds_load_2addr_b64 v[32:35], v28 offset1:16
	ds_load_b128 v[36:39], v29 offset:1024
	ds_load_b128 v[40:43], v29 offset:16
	;; [unrolled: 1-line block ×3, first 2 shown]
	s_add_nc_u64 s[24:25], s[24:25], 8
	v_add_co_u32 v16, vcc_lo, v16, 64
	s_wait_alu 0xfffe
	v_cmp_lt_i64_e64 s29, s[24:25], s[8:9]
	s_wait_alu 0xfffd
	v_add_co_ci_u32_e64 v17, null, 0, v17, vcc_lo
	v_add_co_u32 v18, vcc_lo, v18, s14
	s_wait_alu 0xfffd
	v_add_co_ci_u32_e64 v19, null, s15, v19, vcc_lo
	s_and_b32 vcc_lo, exec_lo, s29
	s_wait_dscnt 0x3
	v_fma_f64 v[14:15], v[32:33], v[20:21], v[14:15]
	v_fma_f64 v[12:13], v[34:35], v[20:21], v[12:13]
	s_wait_dscnt 0x2
	v_fma_f64 v[20:21], v[32:33], v[36:37], v[10:11]
	v_fma_f64 v[32:33], v[34:35], v[36:37], v[8:9]
	ds_load_2addr_b64 v[8:11], v28 offset0:32 offset1:48
	s_wait_dscnt 0x0
	v_fma_f64 v[14:15], v[8:9], v[22:23], v[14:15]
	v_fma_f64 v[12:13], v[10:11], v[22:23], v[12:13]
	v_fma_f64 v[20:21], v[8:9], v[38:39], v[20:21]
	v_fma_f64 v[22:23], v[10:11], v[38:39], v[32:33]
	ds_load_2addr_b64 v[8:11], v28 offset0:64 offset1:80
	s_wait_dscnt 0x0
	v_fma_f64 v[14:15], v[8:9], v[40:41], v[14:15]
	v_fma_f64 v[12:13], v[10:11], v[40:41], v[12:13]
	;; [unrolled: 6-line block ×3, first 2 shown]
	v_fma_f64 v[44:45], v[8:9], v[46:47], v[20:21]
	v_fma_f64 v[46:47], v[10:11], v[46:47], v[22:23]
	ds_load_b128 v[8:11], v29 offset:32
	ds_load_2addr_b64 v[12:15], v28 offset0:128 offset1:144
	ds_load_b128 v[20:23], v29 offset:1056
	ds_load_b128 v[32:35], v29 offset:48
	;; [unrolled: 1-line block ×3, first 2 shown]
	s_wait_dscnt 0x3
	v_fma_f64 v[40:41], v[12:13], v[8:9], v[40:41]
	v_fma_f64 v[8:9], v[14:15], v[8:9], v[42:43]
	s_wait_dscnt 0x2
	v_fma_f64 v[42:43], v[12:13], v[20:21], v[44:45]
	v_fma_f64 v[20:21], v[14:15], v[20:21], v[46:47]
	ds_load_2addr_b64 v[12:15], v28 offset0:160 offset1:176
	s_wait_dscnt 0x0
	v_fma_f64 v[40:41], v[12:13], v[10:11], v[40:41]
	v_fma_f64 v[44:45], v[14:15], v[10:11], v[8:9]
	;; [unrolled: 1-line block ×4, first 2 shown]
	ds_load_2addr_b64 v[8:11], v28 offset0:192 offset1:208
	ds_load_2addr_b64 v[20:23], v28 offset0:224 offset1:240
	s_wait_loadcnt_dscnt 0x0
	s_barrier_signal -1
	s_barrier_wait -1
	global_inv scope:SCOPE_SE
	v_fma_f64 v[40:41], v[8:9], v[32:33], v[40:41]
	v_fma_f64 v[32:33], v[10:11], v[32:33], v[44:45]
	;; [unrolled: 1-line block ×4, first 2 shown]
	s_delay_alu instid0(VALU_DEP_4) | instskip(NEXT) | instid1(VALU_DEP_4)
	v_fma_f64 v[14:15], v[20:21], v[34:35], v[40:41]
	v_fma_f64 v[12:13], v[22:23], v[34:35], v[32:33]
	s_delay_alu instid0(VALU_DEP_4) | instskip(NEXT) | instid1(VALU_DEP_4)
	v_fma_f64 v[10:11], v[20:21], v[38:39], v[8:9]
	v_fma_f64 v[8:9], v[22:23], v[38:39], v[36:37]
	s_wait_alu 0xfffe
	s_cbranch_vccz .LBB78_12
.LBB78_7:                               ;   Parent Loop BB78_4 Depth=1
                                        ; =>  This Inner Loop Header: Depth=2
	s_wait_alu 0xfffe
	v_add_co_u32 v20, s29, v25, s24
	s_wait_alu 0xf1ff
	v_add_co_ci_u32_e64 v21, null, 0, s25, s29
	s_delay_alu instid0(VALU_DEP_1)
	v_cmp_gt_i64_e32 vcc_lo, s[8:9], v[20:21]
	v_mov_b32_e32 v20, 0
	v_mov_b32_e32 v21, 0
	s_and_b32 s30, s0, vcc_lo
	s_wait_alu 0xfffe
	s_and_saveexec_b32 s29, s30
	s_cbranch_execz .LBB78_9
; %bb.8:                                ;   in Loop: Header=BB78_7 Depth=2
	global_load_b64 v[20:21], v[18:19], off
.LBB78_9:                               ;   in Loop: Header=BB78_7 Depth=2
	s_wait_alu 0xfffe
	s_or_b32 exec_lo, exec_lo, s29
	v_add_co_u32 v22, s29, v24, s24
	s_wait_alu 0xf1ff
	v_add_co_ci_u32_e64 v23, null, 0, s25, s29
	s_wait_loadcnt 0x0
	ds_store_b64 v26, v[20:21]
	v_cmp_gt_i64_e32 vcc_lo, s[8:9], v[22:23]
	v_mov_b32_e32 v22, 0
	v_mov_b32_e32 v23, 0
	s_and_b32 s30, vcc_lo, s1
	s_wait_alu 0xfffe
	s_and_saveexec_b32 s29, s30
	s_cbranch_execz .LBB78_6
; %bb.10:                               ;   in Loop: Header=BB78_7 Depth=2
	global_load_b64 v[22:23], v[16:17], off
	s_branch .LBB78_6
.LBB78_11:                              ;   in Loop: Header=BB78_4 Depth=1
	v_mov_b32_e32 v14, 0
	v_dual_mov_b32 v10, 0 :: v_dual_mov_b32 v15, 0
	v_dual_mov_b32 v12, 0 :: v_dual_mov_b32 v11, 0
	;; [unrolled: 1-line block ×3, first 2 shown]
	v_mov_b32_e32 v9, 0
.LBB78_12:                              ;   in Loop: Header=BB78_4 Depth=1
	s_mul_u64 s[24:25], s[22:23], s[20:21]
	s_and_not1_b32 vcc_lo, exec_lo, s27
	s_wait_alu 0xfffe
	s_lshl_b64 s[24:25], s[24:25], 3
	s_wait_alu 0xfffe
	s_add_nc_u64 s[24:25], s[48:49], s[24:25]
	s_cbranch_vccnz .LBB78_17
; %bb.13:                               ;   in Loop: Header=BB78_4 Depth=1
	s_and_saveexec_b32 s29, s2
	s_cbranch_execz .LBB78_24
; %bb.14:                               ;   in Loop: Header=BB78_4 Depth=1
	v_lshlrev_b64_e32 v[16:17], 3, v[2:3]
	s_wait_alu 0xfffe
	s_delay_alu instid0(VALU_DEP_1) | instskip(SKIP_1) | instid1(VALU_DEP_2)
	v_add_co_u32 v16, vcc_lo, s24, v16
	s_wait_alu 0xfffd
	v_add_co_ci_u32_e64 v17, null, s25, v17, vcc_lo
	s_and_saveexec_b32 s30, s3
	s_cbranch_execnz .LBB78_18
; %bb.15:                               ;   in Loop: Header=BB78_4 Depth=1
	s_wait_alu 0xfffe
	s_or_b32 exec_lo, exec_lo, s30
	s_and_saveexec_b32 s30, s4
	s_cbranch_execnz .LBB78_19
.LBB78_16:                              ;   in Loop: Header=BB78_4 Depth=1
	s_wait_alu 0xfffe
	s_or_b32 exec_lo, exec_lo, s30
	s_delay_alu instid0(SALU_CYCLE_1)
	s_and_b32 exec_lo, exec_lo, s5
	s_cbranch_execnz .LBB78_20
	s_branch .LBB78_24
.LBB78_17:                              ;   in Loop: Header=BB78_4 Depth=1
	s_branch .LBB78_25
.LBB78_18:                              ;   in Loop: Header=BB78_4 Depth=1
	v_mul_f64_e32 v[18:19], s[10:11], v[14:15]
	v_lshlrev_b64_e32 v[20:21], 3, v[0:1]
	s_delay_alu instid0(VALU_DEP_1) | instskip(SKIP_1) | instid1(VALU_DEP_2)
	v_add_co_u32 v20, vcc_lo, v16, v20
	s_wait_alu 0xfffd
	v_add_co_ci_u32_e64 v21, null, v17, v21, vcc_lo
	global_store_b64 v[20:21], v[18:19], off
	s_wait_alu 0xfffe
	s_or_b32 exec_lo, exec_lo, s30
	s_and_saveexec_b32 s30, s4
	s_cbranch_execz .LBB78_16
.LBB78_19:                              ;   in Loop: Header=BB78_4 Depth=1
	v_mul_f64_e32 v[18:19], s[10:11], v[12:13]
	v_lshlrev_b64_e32 v[20:21], 3, v[0:1]
	s_delay_alu instid0(VALU_DEP_1) | instskip(SKIP_1) | instid1(VALU_DEP_2)
	v_add_co_u32 v20, vcc_lo, v16, v20
	s_wait_alu 0xfffd
	v_add_co_ci_u32_e64 v21, null, v17, v21, vcc_lo
	global_store_b64 v[20:21], v[18:19], off offset:128
	s_wait_alu 0xfffe
	s_or_b32 exec_lo, exec_lo, s30
	s_delay_alu instid0(SALU_CYCLE_1)
	s_and_b32 exec_lo, exec_lo, s5
	s_cbranch_execz .LBB78_24
.LBB78_20:                              ;   in Loop: Header=BB78_4 Depth=1
	s_lshl_b64 s[30:31], s[6:7], 3
	v_lshlrev_b64_e32 v[18:19], 3, v[0:1]
	s_wait_alu 0xfffe
	v_add_co_u32 v16, vcc_lo, v16, s30
	s_wait_alu 0xfffd
	v_add_co_ci_u32_e64 v17, null, s31, v17, vcc_lo
	s_delay_alu instid0(VALU_DEP_2) | instskip(SKIP_1) | instid1(VALU_DEP_2)
	v_add_co_u32 v16, vcc_lo, v16, v18
	s_wait_alu 0xfffd
	v_add_co_ci_u32_e64 v17, null, v17, v19, vcc_lo
	s_and_saveexec_b32 s30, s3
	s_cbranch_execz .LBB78_22
; %bb.21:                               ;   in Loop: Header=BB78_4 Depth=1
	v_mul_f64_e32 v[18:19], s[10:11], v[10:11]
	global_store_b64 v[16:17], v[18:19], off
.LBB78_22:                              ;   in Loop: Header=BB78_4 Depth=1
	s_wait_alu 0xfffe
	s_or_b32 exec_lo, exec_lo, s30
	s_delay_alu instid0(SALU_CYCLE_1)
	s_and_b32 exec_lo, exec_lo, s4
	s_cbranch_execz .LBB78_24
; %bb.23:                               ;   in Loop: Header=BB78_4 Depth=1
	v_mul_f64_e32 v[18:19], s[10:11], v[8:9]
	global_store_b64 v[16:17], v[18:19], off offset:128
.LBB78_24:                              ;   in Loop: Header=BB78_4 Depth=1
	s_wait_alu 0xfffe
	s_or_b32 exec_lo, exec_lo, s29
	s_cbranch_execnz .LBB78_3
.LBB78_25:                              ;   in Loop: Header=BB78_4 Depth=1
	s_and_saveexec_b32 s29, s2
	s_cbranch_execz .LBB78_2
; %bb.26:                               ;   in Loop: Header=BB78_4 Depth=1
	s_mul_u64 s[30:31], s[46:47], s[20:21]
	v_lshlrev_b64_e32 v[20:21], 3, v[2:3]
	s_wait_alu 0xfffe
	s_lshl_b64 s[30:31], s[30:31], 3
	v_lshlrev_b64_e32 v[16:17], 3, v[0:1]
	s_wait_alu 0xfffe
	v_add_co_u32 v18, vcc_lo, v30, s30
	s_wait_alu 0xfffd
	v_add_co_ci_u32_e64 v19, null, s31, v31, vcc_lo
	v_add_co_u32 v20, vcc_lo, s24, v20
	s_wait_alu 0xfffd
	v_add_co_ci_u32_e64 v21, null, s25, v21, vcc_lo
	s_and_saveexec_b32 s24, s3
	s_cbranch_execnz .LBB78_29
; %bb.27:                               ;   in Loop: Header=BB78_4 Depth=1
	s_wait_alu 0xfffe
	s_or_b32 exec_lo, exec_lo, s24
	s_and_saveexec_b32 s24, s4
	s_cbranch_execnz .LBB78_30
.LBB78_28:                              ;   in Loop: Header=BB78_4 Depth=1
	s_wait_alu 0xfffe
	s_or_b32 exec_lo, exec_lo, s24
	s_delay_alu instid0(SALU_CYCLE_1)
	s_and_b32 exec_lo, exec_lo, s5
	s_cbranch_execz .LBB78_2
	s_branch .LBB78_31
.LBB78_29:                              ;   in Loop: Header=BB78_4 Depth=1
	v_add_co_u32 v22, vcc_lo, v18, v16
	s_wait_alu 0xfffd
	v_add_co_ci_u32_e64 v23, null, v19, v17, vcc_lo
	global_load_b64 v[22:23], v[22:23], off
	s_wait_loadcnt 0x0
	v_mul_f64_e32 v[22:23], s[40:41], v[22:23]
	s_delay_alu instid0(VALU_DEP_1)
	v_fma_f64 v[14:15], s[10:11], v[14:15], v[22:23]
	v_add_co_u32 v22, vcc_lo, v20, v16
	s_wait_alu 0xfffd
	v_add_co_ci_u32_e64 v23, null, v21, v17, vcc_lo
	global_store_b64 v[22:23], v[14:15], off
	s_wait_alu 0xfffe
	s_or_b32 exec_lo, exec_lo, s24
	s_and_saveexec_b32 s24, s4
	s_cbranch_execz .LBB78_28
.LBB78_30:                              ;   in Loop: Header=BB78_4 Depth=1
	v_add_co_u32 v14, vcc_lo, v18, v16
	s_wait_alu 0xfffd
	v_add_co_ci_u32_e64 v15, null, v19, v17, vcc_lo
	global_load_b64 v[14:15], v[14:15], off offset:128
	s_wait_loadcnt 0x0
	v_mul_f64_e32 v[14:15], s[40:41], v[14:15]
	s_delay_alu instid0(VALU_DEP_1)
	v_fma_f64 v[12:13], s[10:11], v[12:13], v[14:15]
	v_add_co_u32 v14, vcc_lo, v20, v16
	s_wait_alu 0xfffd
	v_add_co_ci_u32_e64 v15, null, v21, v17, vcc_lo
	global_store_b64 v[14:15], v[12:13], off offset:128
	s_wait_alu 0xfffe
	s_or_b32 exec_lo, exec_lo, s24
	s_delay_alu instid0(SALU_CYCLE_1)
	s_and_b32 exec_lo, exec_lo, s5
	s_cbranch_execz .LBB78_2
.LBB78_31:                              ;   in Loop: Header=BB78_4 Depth=1
	v_add_co_u32 v12, vcc_lo, v18, s16
	s_lshl_b64 s[24:25], s[6:7], 3
	s_wait_alu 0xfffd
	v_add_co_ci_u32_e64 v13, null, s17, v19, vcc_lo
	s_wait_alu 0xfffe
	v_add_co_u32 v14, vcc_lo, v20, s24
	s_wait_alu 0xfffd
	v_add_co_ci_u32_e64 v15, null, s25, v21, vcc_lo
	v_add_co_u32 v12, vcc_lo, v12, v16
	s_wait_alu 0xfffd
	v_add_co_ci_u32_e64 v13, null, v13, v17, vcc_lo
	;; [unrolled: 3-line block ×3, first 2 shown]
	s_and_saveexec_b32 s24, s3
	s_cbranch_execz .LBB78_33
; %bb.32:                               ;   in Loop: Header=BB78_4 Depth=1
	global_load_b64 v[16:17], v[12:13], off
	s_wait_loadcnt 0x0
	v_mul_f64_e32 v[16:17], s[40:41], v[16:17]
	s_delay_alu instid0(VALU_DEP_1)
	v_fma_f64 v[10:11], s[10:11], v[10:11], v[16:17]
	global_store_b64 v[14:15], v[10:11], off
.LBB78_33:                              ;   in Loop: Header=BB78_4 Depth=1
	s_wait_alu 0xfffe
	s_or_b32 exec_lo, exec_lo, s24
	s_delay_alu instid0(SALU_CYCLE_1)
	s_and_b32 exec_lo, exec_lo, s4
	s_cbranch_execz .LBB78_2
; %bb.34:                               ;   in Loop: Header=BB78_4 Depth=1
	global_load_b64 v[10:11], v[12:13], off offset:128
	s_wait_loadcnt 0x0
	v_mul_f64_e32 v[10:11], s[40:41], v[10:11]
	s_delay_alu instid0(VALU_DEP_1)
	v_fma_f64 v[8:9], s[10:11], v[8:9], v[10:11]
	global_store_b64 v[14:15], v[8:9], off offset:128
	s_branch .LBB78_2
.LBB78_35:
	s_endpgm
	.section	.rodata,"a",@progbits
	.p2align	6, 0x0
	.amdhsa_kernel _ZN12_GLOBAL__N_135rocblas_gemm_batched_general_kernelIdLi16ELi16ELi32ELi32ELi8ELi32ELi8ELi8ELi32ELc78ELc78EKdS1_dEEvlllT_PT11_llS4_llS2_PT12_llPT13_lli
		.amdhsa_group_segment_fixed_size 4096
		.amdhsa_private_segment_fixed_size 0
		.amdhsa_kernarg_size 140
		.amdhsa_user_sgpr_count 2
		.amdhsa_user_sgpr_dispatch_ptr 0
		.amdhsa_user_sgpr_queue_ptr 0
		.amdhsa_user_sgpr_kernarg_segment_ptr 1
		.amdhsa_user_sgpr_dispatch_id 0
		.amdhsa_user_sgpr_private_segment_size 0
		.amdhsa_wavefront_size32 1
		.amdhsa_uses_dynamic_stack 0
		.amdhsa_enable_private_segment 0
		.amdhsa_system_sgpr_workgroup_id_x 1
		.amdhsa_system_sgpr_workgroup_id_y 1
		.amdhsa_system_sgpr_workgroup_id_z 1
		.amdhsa_system_sgpr_workgroup_info 0
		.amdhsa_system_vgpr_workitem_id 1
		.amdhsa_next_free_vgpr 48
		.amdhsa_next_free_sgpr 52
		.amdhsa_reserve_vcc 1
		.amdhsa_float_round_mode_32 0
		.amdhsa_float_round_mode_16_64 0
		.amdhsa_float_denorm_mode_32 3
		.amdhsa_float_denorm_mode_16_64 3
		.amdhsa_fp16_overflow 0
		.amdhsa_workgroup_processor_mode 1
		.amdhsa_memory_ordered 1
		.amdhsa_forward_progress 1
		.amdhsa_inst_pref_size 19
		.amdhsa_round_robin_scheduling 0
		.amdhsa_exception_fp_ieee_invalid_op 0
		.amdhsa_exception_fp_denorm_src 0
		.amdhsa_exception_fp_ieee_div_zero 0
		.amdhsa_exception_fp_ieee_overflow 0
		.amdhsa_exception_fp_ieee_underflow 0
		.amdhsa_exception_fp_ieee_inexact 0
		.amdhsa_exception_int_div_zero 0
	.end_amdhsa_kernel
	.section	.text._ZN12_GLOBAL__N_135rocblas_gemm_batched_general_kernelIdLi16ELi16ELi32ELi32ELi8ELi32ELi8ELi8ELi32ELc78ELc78EKdS1_dEEvlllT_PT11_llS4_llS2_PT12_llPT13_lli,"axG",@progbits,_ZN12_GLOBAL__N_135rocblas_gemm_batched_general_kernelIdLi16ELi16ELi32ELi32ELi8ELi32ELi8ELi8ELi32ELc78ELc78EKdS1_dEEvlllT_PT11_llS4_llS2_PT12_llPT13_lli,comdat
.Lfunc_end78:
	.size	_ZN12_GLOBAL__N_135rocblas_gemm_batched_general_kernelIdLi16ELi16ELi32ELi32ELi8ELi32ELi8ELi8ELi32ELc78ELc78EKdS1_dEEvlllT_PT11_llS4_llS2_PT12_llPT13_lli, .Lfunc_end78-_ZN12_GLOBAL__N_135rocblas_gemm_batched_general_kernelIdLi16ELi16ELi32ELi32ELi8ELi32ELi8ELi8ELi32ELc78ELc78EKdS1_dEEvlllT_PT11_llS4_llS2_PT12_llPT13_lli
                                        ; -- End function
	.set _ZN12_GLOBAL__N_135rocblas_gemm_batched_general_kernelIdLi16ELi16ELi32ELi32ELi8ELi32ELi8ELi8ELi32ELc78ELc78EKdS1_dEEvlllT_PT11_llS4_llS2_PT12_llPT13_lli.num_vgpr, 48
	.set _ZN12_GLOBAL__N_135rocblas_gemm_batched_general_kernelIdLi16ELi16ELi32ELi32ELi8ELi32ELi8ELi8ELi32ELc78ELc78EKdS1_dEEvlllT_PT11_llS4_llS2_PT12_llPT13_lli.num_agpr, 0
	.set _ZN12_GLOBAL__N_135rocblas_gemm_batched_general_kernelIdLi16ELi16ELi32ELi32ELi8ELi32ELi8ELi8ELi32ELc78ELc78EKdS1_dEEvlllT_PT11_llS4_llS2_PT12_llPT13_lli.numbered_sgpr, 52
	.set _ZN12_GLOBAL__N_135rocblas_gemm_batched_general_kernelIdLi16ELi16ELi32ELi32ELi8ELi32ELi8ELi8ELi32ELc78ELc78EKdS1_dEEvlllT_PT11_llS4_llS2_PT12_llPT13_lli.num_named_barrier, 0
	.set _ZN12_GLOBAL__N_135rocblas_gemm_batched_general_kernelIdLi16ELi16ELi32ELi32ELi8ELi32ELi8ELi8ELi32ELc78ELc78EKdS1_dEEvlllT_PT11_llS4_llS2_PT12_llPT13_lli.private_seg_size, 0
	.set _ZN12_GLOBAL__N_135rocblas_gemm_batched_general_kernelIdLi16ELi16ELi32ELi32ELi8ELi32ELi8ELi8ELi32ELc78ELc78EKdS1_dEEvlllT_PT11_llS4_llS2_PT12_llPT13_lli.uses_vcc, 1
	.set _ZN12_GLOBAL__N_135rocblas_gemm_batched_general_kernelIdLi16ELi16ELi32ELi32ELi8ELi32ELi8ELi8ELi32ELc78ELc78EKdS1_dEEvlllT_PT11_llS4_llS2_PT12_llPT13_lli.uses_flat_scratch, 0
	.set _ZN12_GLOBAL__N_135rocblas_gemm_batched_general_kernelIdLi16ELi16ELi32ELi32ELi8ELi32ELi8ELi8ELi32ELc78ELc78EKdS1_dEEvlllT_PT11_llS4_llS2_PT12_llPT13_lli.has_dyn_sized_stack, 0
	.set _ZN12_GLOBAL__N_135rocblas_gemm_batched_general_kernelIdLi16ELi16ELi32ELi32ELi8ELi32ELi8ELi8ELi32ELc78ELc78EKdS1_dEEvlllT_PT11_llS4_llS2_PT12_llPT13_lli.has_recursion, 0
	.set _ZN12_GLOBAL__N_135rocblas_gemm_batched_general_kernelIdLi16ELi16ELi32ELi32ELi8ELi32ELi8ELi8ELi32ELc78ELc78EKdS1_dEEvlllT_PT11_llS4_llS2_PT12_llPT13_lli.has_indirect_call, 0
	.section	.AMDGPU.csdata,"",@progbits
; Kernel info:
; codeLenInByte = 2404
; TotalNumSgprs: 54
; NumVgprs: 48
; ScratchSize: 0
; MemoryBound: 0
; FloatMode: 240
; IeeeMode: 1
; LDSByteSize: 4096 bytes/workgroup (compile time only)
; SGPRBlocks: 0
; VGPRBlocks: 5
; NumSGPRsForWavesPerEU: 54
; NumVGPRsForWavesPerEU: 48
; Occupancy: 16
; WaveLimiterHint : 0
; COMPUTE_PGM_RSRC2:SCRATCH_EN: 0
; COMPUTE_PGM_RSRC2:USER_SGPR: 2
; COMPUTE_PGM_RSRC2:TRAP_HANDLER: 0
; COMPUTE_PGM_RSRC2:TGID_X_EN: 1
; COMPUTE_PGM_RSRC2:TGID_Y_EN: 1
; COMPUTE_PGM_RSRC2:TGID_Z_EN: 1
; COMPUTE_PGM_RSRC2:TIDIG_COMP_CNT: 1
	.section	.text._ZN12_GLOBAL__N_135rocblas_gemm_batched_general_kernelIdLi16ELi16ELi32ELi32ELi8ELi32ELi8ELi8ELi32ELc84ELc78EKdS1_dEEvlllT_PT11_llS4_llS2_PT12_llPT13_lli,"axG",@progbits,_ZN12_GLOBAL__N_135rocblas_gemm_batched_general_kernelIdLi16ELi16ELi32ELi32ELi8ELi32ELi8ELi8ELi32ELc84ELc78EKdS1_dEEvlllT_PT11_llS4_llS2_PT12_llPT13_lli,comdat
	.globl	_ZN12_GLOBAL__N_135rocblas_gemm_batched_general_kernelIdLi16ELi16ELi32ELi32ELi8ELi32ELi8ELi8ELi32ELc84ELc78EKdS1_dEEvlllT_PT11_llS4_llS2_PT12_llPT13_lli ; -- Begin function _ZN12_GLOBAL__N_135rocblas_gemm_batched_general_kernelIdLi16ELi16ELi32ELi32ELi8ELi32ELi8ELi8ELi32ELc84ELc78EKdS1_dEEvlllT_PT11_llS4_llS2_PT12_llPT13_lli
	.p2align	8
	.type	_ZN12_GLOBAL__N_135rocblas_gemm_batched_general_kernelIdLi16ELi16ELi32ELi32ELi8ELi32ELi8ELi8ELi32ELc84ELc78EKdS1_dEEvlllT_PT11_llS4_llS2_PT12_llPT13_lli,@function
_ZN12_GLOBAL__N_135rocblas_gemm_batched_general_kernelIdLi16ELi16ELi32ELi32ELi8ELi32ELi8ELi8ELi32ELc84ELc78EKdS1_dEEvlllT_PT11_llS4_llS2_PT12_llPT13_lli: ; @_ZN12_GLOBAL__N_135rocblas_gemm_batched_general_kernelIdLi16ELi16ELi32ELi32ELi8ELi32ELi8ELi8ELi32ELc84ELc78EKdS1_dEEvlllT_PT11_llS4_llS2_PT12_llPT13_lli
; %bb.0:
	s_load_b32 s26, s[0:1], 0x88
	s_lshr_b32 s20, ttmp7, 16
	s_wait_kmcnt 0x0
	s_cmp_ge_i32 s20, s26
	s_cbranch_scc1 .LBB79_35
; %bb.1:
	v_bfe_u32 v2, v0, 10, 10
	v_and_b32_e32 v3, 0x3ff, v0
	s_clause 0x1
	s_load_b512 s[4:19], s[0:1], 0x0
	s_load_b512 s[36:51], s[0:1], 0x40
	s_mov_b32 s2, ttmp9
	s_ashr_i32 s3, ttmp9, 31
	s_load_b64 s[22:23], s[0:1], 0x80
	v_lshl_add_u32 v1, v2, 4, v3
	s_lshl_b64 s[24:25], s[2:3], 5
	s_delay_alu instid0(SALU_CYCLE_1) | instskip(SKIP_1) | instid1(VALU_DEP_2)
	v_dual_mov_b32 v5, s25 :: v_dual_and_b32 v24, 7, v0
	s_and_b32 s0, ttmp7, 0xffff
	v_and_b32_e32 v0, 31, v1
	v_lshrrev_b32_e32 v25, 5, v1
	v_lshrrev_b32_e32 v1, 3, v1
	s_lshl_b32 s2, s0, 5
	v_lshl_add_u32 v29, v2, 6, 0x800
	v_or_b32_e32 v4, s24, v0
	s_mov_b32 s21, 0
	v_add_co_u32 v6, s0, v1, s2
	s_delay_alu instid0(VALU_DEP_1) | instskip(SKIP_2) | instid1(VALU_DEP_3)
	v_add_co_ci_u32_e64 v7, null, 0, 0, s0
	s_wait_kmcnt 0x0
	v_cmp_gt_i64_e64 s0, s[4:5], v[4:5]
	v_mad_co_u64_u32 v[11:12], null, s36, v6, 0
	v_lshlrev_b32_e32 v0, 3, v0
	v_cmp_gt_i64_e64 s1, s[6:7], v[6:7]
	v_add_co_u32 v7, s2, s2, v2
	s_wait_alu 0xf1ff
	v_add_co_ci_u32_e64 v8, null, 0, 0, s2
	v_mov_b32_e32 v5, v12
	v_lshl_or_b32 v26, v25, 8, v0
	v_add_co_u32 v2, s2, s24, v3
	v_mad_co_u64_u32 v[9:10], null, v7, s44, 0
	s_delay_alu instid0(VALU_DEP_4) | instskip(SKIP_1) | instid1(VALU_DEP_4)
	v_mad_co_u64_u32 v[5:6], null, s37, v6, v[5:6]
	v_lshlrev_b32_e32 v17, 3, v24
	v_add_co_u32 v13, vcc_lo, v2, 16
	v_cmp_eq_f64_e64 s27, s[40:41], 0
	v_cmp_gt_i64_e64 s24, s[8:9], 0
	s_delay_alu instid0(VALU_DEP_4) | instskip(SKIP_1) | instid1(VALU_DEP_1)
	v_lshl_or_b32 v1, v1, 6, v17
	s_lshl_b64 s[28:29], s[44:45], 4
	v_add_nc_u32_e32 v27, 0x800, v1
	v_mad_co_u64_u32 v[0:1], null, v7, s50, 0
	s_delay_alu instid0(VALU_DEP_1) | instskip(SKIP_4) | instid1(VALU_DEP_3)
	v_mad_co_u64_u32 v[15:16], null, v7, s51, v[1:2]
	v_lshlrev_b32_e32 v28, 3, v3
	v_add_co_ci_u32_e64 v3, null, s25, 0, s2
	v_mov_b32_e32 v1, v10
	v_cmp_gt_i64_e64 s2, s[6:7], v[7:8]
	v_add_co_ci_u32_e64 v14, null, 0, v3, vcc_lo
	v_cmp_gt_i64_e64 s3, s[4:5], v[2:3]
	v_add_co_u32 v6, vcc_lo, v7, 16
	s_delay_alu instid0(VALU_DEP_3)
	v_cmp_gt_i64_e64 s4, s[4:5], v[13:14]
	v_mad_co_u64_u32 v[12:13], null, v7, s45, v[1:2]
	s_wait_alu 0xfffd
	v_add_co_ci_u32_e64 v7, null, 0, v8, vcc_lo
	v_mul_lo_u32 v8, s15, v4
	v_mad_co_u64_u32 v[13:14], null, s14, v4, 0
	s_mul_i32 s14, s14, s25
	v_mov_b32_e32 v10, v12
	v_mov_b32_e32 v12, v5
	v_cmp_gt_i64_e64 s5, s[6:7], v[6:7]
	v_mov_b32_e32 v1, v15
	s_lshl_b64 s[6:7], s[50:51], 4
	v_lshlrev_b64_e32 v[4:5], 3, v[9:10]
	s_wait_alu 0xfffe
	v_add3_u32 v14, v14, s14, v8
	v_lshlrev_b64_e32 v[6:7], 3, v[11:12]
	v_lshlrev_b32_e32 v8, 3, v25
	s_lshl_b64 s[14:15], s[16:17], 3
	s_lshl_b64 s[16:17], s[28:29], 3
	v_add_co_u32 v30, vcc_lo, s42, v4
	s_wait_alu 0xfffd
	v_add_co_ci_u32_e64 v31, null, s43, v5, vcc_lo
	v_lshlrev_b64_e32 v[4:5], 3, v[13:14]
	v_add_co_u32 v6, vcc_lo, v6, v17
	s_wait_alu 0xfffd
	v_add_co_ci_u32_e64 v7, null, 0, v7, vcc_lo
	s_delay_alu instid0(VALU_DEP_3)
	v_add_co_u32 v8, vcc_lo, v4, v8
	s_wait_alu 0xfffd
	v_add_co_ci_u32_e64 v9, null, 0, v5, vcc_lo
	v_add_co_u32 v4, vcc_lo, s18, v6
	s_wait_alu 0xfffd
	v_add_co_ci_u32_e64 v5, null, s19, v7, vcc_lo
	;; [unrolled: 3-line block ×3, first 2 shown]
	s_lshl_b64 s[12:13], s[38:39], 3
	s_branch .LBB79_4
.LBB79_2:                               ;   in Loop: Header=BB79_4 Depth=1
	s_wait_alu 0xfffe
	s_or_b32 exec_lo, exec_lo, s25
.LBB79_3:                               ;   in Loop: Header=BB79_4 Depth=1
	s_add_co_i32 s20, s20, 0x10000
	s_wait_alu 0xfffe
	s_cmp_lt_i32 s20, s26
	s_cbranch_scc0 .LBB79_35
.LBB79_4:                               ; =>This Loop Header: Depth=1
                                        ;     Child Loop BB79_7 Depth 2
	s_and_not1_b32 vcc_lo, exec_lo, s24
	s_wait_alu 0xfffe
	s_cbranch_vccnz .LBB79_11
; %bb.5:                                ;   in Loop: Header=BB79_4 Depth=1
	v_mad_co_u64_u32 v[16:17], null, s12, s20, v[4:5]
	v_mad_co_u64_u32 v[18:19], null, s14, s20, v[6:7]
	v_mov_b32_e32 v12, 0
	v_dual_mov_b32 v13, 0 :: v_dual_mov_b32 v14, 0
	s_delay_alu instid0(VALU_DEP_4) | instskip(SKIP_1) | instid1(VALU_DEP_4)
	v_dual_mov_b32 v15, 0 :: v_dual_mov_b32 v8, v17
	s_mov_b64 s[18:19], 0
	v_mov_b32_e32 v9, v19
	s_delay_alu instid0(VALU_DEP_1)
	v_mad_co_u64_u32 v[19:20], null, s13, s20, v[8:9]
	v_mad_co_u64_u32 v[20:21], null, s15, s20, v[9:10]
	v_mov_b32_e32 v8, 0
	v_dual_mov_b32 v9, 0 :: v_dual_mov_b32 v10, 0
	v_mov_b32_e32 v11, 0
	v_mov_b32_e32 v17, v19
	;; [unrolled: 1-line block ×3, first 2 shown]
	s_branch .LBB79_7
.LBB79_6:                               ;   in Loop: Header=BB79_7 Depth=2
	s_wait_alu 0xfffe
	s_or_b32 exec_lo, exec_lo, s25
	s_wait_loadcnt 0x0
	ds_store_b64 v27, v[22:23]
	s_wait_dscnt 0x0
	s_barrier_signal -1
	s_barrier_wait -1
	global_inv scope:SCOPE_SE
	ds_load_b128 v[20:23], v29
	ds_load_2addr_b64 v[32:35], v28 offset1:16
	ds_load_b128 v[36:39], v29 offset:1024
	ds_load_b128 v[40:43], v29 offset:16
	;; [unrolled: 1-line block ×3, first 2 shown]
	s_add_nc_u64 s[18:19], s[18:19], 8
	v_add_co_u32 v16, vcc_lo, v16, 64
	s_wait_alu 0xfffe
	v_cmp_lt_i64_e64 s25, s[18:19], s[8:9]
	s_wait_alu 0xfffd
	v_add_co_ci_u32_e64 v17, null, 0, v17, vcc_lo
	v_add_co_u32 v18, vcc_lo, v18, 64
	s_wait_alu 0xfffd
	v_add_co_ci_u32_e64 v19, null, 0, v19, vcc_lo
	s_and_b32 vcc_lo, exec_lo, s25
	s_wait_dscnt 0x3
	v_fma_f64 v[14:15], v[32:33], v[20:21], v[14:15]
	v_fma_f64 v[12:13], v[34:35], v[20:21], v[12:13]
	s_wait_dscnt 0x2
	v_fma_f64 v[20:21], v[32:33], v[36:37], v[10:11]
	v_fma_f64 v[32:33], v[34:35], v[36:37], v[8:9]
	ds_load_2addr_b64 v[8:11], v28 offset0:32 offset1:48
	s_wait_dscnt 0x0
	v_fma_f64 v[14:15], v[8:9], v[22:23], v[14:15]
	v_fma_f64 v[12:13], v[10:11], v[22:23], v[12:13]
	v_fma_f64 v[20:21], v[8:9], v[38:39], v[20:21]
	v_fma_f64 v[22:23], v[10:11], v[38:39], v[32:33]
	ds_load_2addr_b64 v[8:11], v28 offset0:64 offset1:80
	s_wait_dscnt 0x0
	v_fma_f64 v[14:15], v[8:9], v[40:41], v[14:15]
	v_fma_f64 v[12:13], v[10:11], v[40:41], v[12:13]
	;; [unrolled: 6-line block ×3, first 2 shown]
	v_fma_f64 v[44:45], v[8:9], v[46:47], v[20:21]
	v_fma_f64 v[46:47], v[10:11], v[46:47], v[22:23]
	ds_load_b128 v[8:11], v29 offset:32
	ds_load_2addr_b64 v[12:15], v28 offset0:128 offset1:144
	ds_load_b128 v[20:23], v29 offset:1056
	ds_load_b128 v[32:35], v29 offset:48
	;; [unrolled: 1-line block ×3, first 2 shown]
	s_wait_dscnt 0x3
	v_fma_f64 v[40:41], v[12:13], v[8:9], v[40:41]
	v_fma_f64 v[8:9], v[14:15], v[8:9], v[42:43]
	s_wait_dscnt 0x2
	v_fma_f64 v[42:43], v[12:13], v[20:21], v[44:45]
	v_fma_f64 v[20:21], v[14:15], v[20:21], v[46:47]
	ds_load_2addr_b64 v[12:15], v28 offset0:160 offset1:176
	s_wait_dscnt 0x0
	v_fma_f64 v[40:41], v[12:13], v[10:11], v[40:41]
	v_fma_f64 v[44:45], v[14:15], v[10:11], v[8:9]
	v_fma_f64 v[12:13], v[12:13], v[22:23], v[42:43]
	v_fma_f64 v[14:15], v[14:15], v[22:23], v[20:21]
	ds_load_2addr_b64 v[8:11], v28 offset0:192 offset1:208
	ds_load_2addr_b64 v[20:23], v28 offset0:224 offset1:240
	s_wait_loadcnt_dscnt 0x0
	s_barrier_signal -1
	s_barrier_wait -1
	global_inv scope:SCOPE_SE
	v_fma_f64 v[40:41], v[8:9], v[32:33], v[40:41]
	v_fma_f64 v[32:33], v[10:11], v[32:33], v[44:45]
	;; [unrolled: 1-line block ×4, first 2 shown]
	s_delay_alu instid0(VALU_DEP_4) | instskip(NEXT) | instid1(VALU_DEP_4)
	v_fma_f64 v[14:15], v[20:21], v[34:35], v[40:41]
	v_fma_f64 v[12:13], v[22:23], v[34:35], v[32:33]
	s_delay_alu instid0(VALU_DEP_4) | instskip(NEXT) | instid1(VALU_DEP_4)
	v_fma_f64 v[10:11], v[20:21], v[38:39], v[8:9]
	v_fma_f64 v[8:9], v[22:23], v[38:39], v[36:37]
	s_wait_alu 0xfffe
	s_cbranch_vccz .LBB79_12
.LBB79_7:                               ;   Parent Loop BB79_4 Depth=1
                                        ; =>  This Inner Loop Header: Depth=2
	s_wait_alu 0xfffe
	v_add_co_u32 v20, s25, v25, s18
	s_wait_alu 0xf1ff
	v_add_co_ci_u32_e64 v21, null, 0, s19, s25
	s_delay_alu instid0(VALU_DEP_1)
	v_cmp_gt_i64_e32 vcc_lo, s[8:9], v[20:21]
	v_mov_b32_e32 v20, 0
	v_mov_b32_e32 v21, 0
	s_and_b32 s28, s0, vcc_lo
	s_wait_alu 0xfffe
	s_and_saveexec_b32 s25, s28
	s_cbranch_execz .LBB79_9
; %bb.8:                                ;   in Loop: Header=BB79_7 Depth=2
	global_load_b64 v[20:21], v[18:19], off
.LBB79_9:                               ;   in Loop: Header=BB79_7 Depth=2
	s_wait_alu 0xfffe
	s_or_b32 exec_lo, exec_lo, s25
	v_add_co_u32 v22, s25, v24, s18
	s_wait_alu 0xf1ff
	v_add_co_ci_u32_e64 v23, null, 0, s19, s25
	s_wait_loadcnt 0x0
	ds_store_b64 v26, v[20:21]
	v_cmp_gt_i64_e32 vcc_lo, s[8:9], v[22:23]
	v_mov_b32_e32 v22, 0
	v_mov_b32_e32 v23, 0
	s_and_b32 s28, vcc_lo, s1
	s_wait_alu 0xfffe
	s_and_saveexec_b32 s25, s28
	s_cbranch_execz .LBB79_6
; %bb.10:                               ;   in Loop: Header=BB79_7 Depth=2
	global_load_b64 v[22:23], v[16:17], off
	s_branch .LBB79_6
.LBB79_11:                              ;   in Loop: Header=BB79_4 Depth=1
	v_mov_b32_e32 v14, 0
	v_dual_mov_b32 v10, 0 :: v_dual_mov_b32 v15, 0
	v_dual_mov_b32 v12, 0 :: v_dual_mov_b32 v11, 0
	;; [unrolled: 1-line block ×3, first 2 shown]
	v_mov_b32_e32 v9, 0
.LBB79_12:                              ;   in Loop: Header=BB79_4 Depth=1
	s_mul_u64 s[18:19], s[22:23], s[20:21]
	s_and_not1_b32 vcc_lo, exec_lo, s27
	s_wait_alu 0xfffe
	s_lshl_b64 s[18:19], s[18:19], 3
	s_wait_alu 0xfffe
	s_add_nc_u64 s[18:19], s[48:49], s[18:19]
	s_cbranch_vccnz .LBB79_17
; %bb.13:                               ;   in Loop: Header=BB79_4 Depth=1
	s_and_saveexec_b32 s25, s2
	s_cbranch_execz .LBB79_24
; %bb.14:                               ;   in Loop: Header=BB79_4 Depth=1
	v_lshlrev_b64_e32 v[16:17], 3, v[0:1]
	s_wait_alu 0xfffe
	s_delay_alu instid0(VALU_DEP_1) | instskip(SKIP_1) | instid1(VALU_DEP_2)
	v_add_co_u32 v16, vcc_lo, s18, v16
	s_wait_alu 0xfffd
	v_add_co_ci_u32_e64 v17, null, s19, v17, vcc_lo
	s_and_saveexec_b32 s28, s3
	s_cbranch_execnz .LBB79_18
; %bb.15:                               ;   in Loop: Header=BB79_4 Depth=1
	s_wait_alu 0xfffe
	s_or_b32 exec_lo, exec_lo, s28
	s_and_saveexec_b32 s28, s4
	s_cbranch_execnz .LBB79_19
.LBB79_16:                              ;   in Loop: Header=BB79_4 Depth=1
	s_wait_alu 0xfffe
	s_or_b32 exec_lo, exec_lo, s28
	s_delay_alu instid0(SALU_CYCLE_1)
	s_and_b32 exec_lo, exec_lo, s5
	s_cbranch_execnz .LBB79_20
	s_branch .LBB79_24
.LBB79_17:                              ;   in Loop: Header=BB79_4 Depth=1
	s_branch .LBB79_25
.LBB79_18:                              ;   in Loop: Header=BB79_4 Depth=1
	v_mul_f64_e32 v[18:19], s[10:11], v[14:15]
	v_lshlrev_b64_e32 v[20:21], 3, v[2:3]
	s_delay_alu instid0(VALU_DEP_1) | instskip(SKIP_1) | instid1(VALU_DEP_2)
	v_add_co_u32 v20, vcc_lo, v16, v20
	s_wait_alu 0xfffd
	v_add_co_ci_u32_e64 v21, null, v17, v21, vcc_lo
	global_store_b64 v[20:21], v[18:19], off
	s_wait_alu 0xfffe
	s_or_b32 exec_lo, exec_lo, s28
	s_and_saveexec_b32 s28, s4
	s_cbranch_execz .LBB79_16
.LBB79_19:                              ;   in Loop: Header=BB79_4 Depth=1
	v_mul_f64_e32 v[18:19], s[10:11], v[12:13]
	v_lshlrev_b64_e32 v[20:21], 3, v[2:3]
	s_delay_alu instid0(VALU_DEP_1) | instskip(SKIP_1) | instid1(VALU_DEP_2)
	v_add_co_u32 v20, vcc_lo, v16, v20
	s_wait_alu 0xfffd
	v_add_co_ci_u32_e64 v21, null, v17, v21, vcc_lo
	global_store_b64 v[20:21], v[18:19], off offset:128
	s_wait_alu 0xfffe
	s_or_b32 exec_lo, exec_lo, s28
	s_delay_alu instid0(SALU_CYCLE_1)
	s_and_b32 exec_lo, exec_lo, s5
	s_cbranch_execz .LBB79_24
.LBB79_20:                              ;   in Loop: Header=BB79_4 Depth=1
	s_lshl_b64 s[28:29], s[6:7], 3
	v_lshlrev_b64_e32 v[18:19], 3, v[2:3]
	s_wait_alu 0xfffe
	v_add_co_u32 v16, vcc_lo, v16, s28
	s_wait_alu 0xfffd
	v_add_co_ci_u32_e64 v17, null, s29, v17, vcc_lo
	s_delay_alu instid0(VALU_DEP_2) | instskip(SKIP_1) | instid1(VALU_DEP_2)
	v_add_co_u32 v16, vcc_lo, v16, v18
	s_wait_alu 0xfffd
	v_add_co_ci_u32_e64 v17, null, v17, v19, vcc_lo
	s_and_saveexec_b32 s28, s3
	s_cbranch_execz .LBB79_22
; %bb.21:                               ;   in Loop: Header=BB79_4 Depth=1
	v_mul_f64_e32 v[18:19], s[10:11], v[10:11]
	global_store_b64 v[16:17], v[18:19], off
.LBB79_22:                              ;   in Loop: Header=BB79_4 Depth=1
	s_wait_alu 0xfffe
	s_or_b32 exec_lo, exec_lo, s28
	s_delay_alu instid0(SALU_CYCLE_1)
	s_and_b32 exec_lo, exec_lo, s4
	s_cbranch_execz .LBB79_24
; %bb.23:                               ;   in Loop: Header=BB79_4 Depth=1
	v_mul_f64_e32 v[18:19], s[10:11], v[8:9]
	global_store_b64 v[16:17], v[18:19], off offset:128
.LBB79_24:                              ;   in Loop: Header=BB79_4 Depth=1
	s_wait_alu 0xfffe
	s_or_b32 exec_lo, exec_lo, s25
	s_cbranch_execnz .LBB79_3
.LBB79_25:                              ;   in Loop: Header=BB79_4 Depth=1
	s_and_saveexec_b32 s25, s2
	s_cbranch_execz .LBB79_2
; %bb.26:                               ;   in Loop: Header=BB79_4 Depth=1
	s_mul_u64 s[28:29], s[46:47], s[20:21]
	v_lshlrev_b64_e32 v[20:21], 3, v[0:1]
	s_wait_alu 0xfffe
	s_lshl_b64 s[28:29], s[28:29], 3
	v_lshlrev_b64_e32 v[16:17], 3, v[2:3]
	s_wait_alu 0xfffe
	v_add_co_u32 v18, vcc_lo, v30, s28
	s_wait_alu 0xfffd
	v_add_co_ci_u32_e64 v19, null, s29, v31, vcc_lo
	v_add_co_u32 v20, vcc_lo, s18, v20
	s_wait_alu 0xfffd
	v_add_co_ci_u32_e64 v21, null, s19, v21, vcc_lo
	s_and_saveexec_b32 s18, s3
	s_cbranch_execnz .LBB79_29
; %bb.27:                               ;   in Loop: Header=BB79_4 Depth=1
	s_wait_alu 0xfffe
	s_or_b32 exec_lo, exec_lo, s18
	s_and_saveexec_b32 s18, s4
	s_cbranch_execnz .LBB79_30
.LBB79_28:                              ;   in Loop: Header=BB79_4 Depth=1
	s_wait_alu 0xfffe
	s_or_b32 exec_lo, exec_lo, s18
	s_delay_alu instid0(SALU_CYCLE_1)
	s_and_b32 exec_lo, exec_lo, s5
	s_cbranch_execz .LBB79_2
	s_branch .LBB79_31
.LBB79_29:                              ;   in Loop: Header=BB79_4 Depth=1
	v_add_co_u32 v22, vcc_lo, v18, v16
	s_wait_alu 0xfffd
	v_add_co_ci_u32_e64 v23, null, v19, v17, vcc_lo
	global_load_b64 v[22:23], v[22:23], off
	s_wait_loadcnt 0x0
	v_mul_f64_e32 v[22:23], s[40:41], v[22:23]
	s_delay_alu instid0(VALU_DEP_1)
	v_fma_f64 v[14:15], s[10:11], v[14:15], v[22:23]
	v_add_co_u32 v22, vcc_lo, v20, v16
	s_wait_alu 0xfffd
	v_add_co_ci_u32_e64 v23, null, v21, v17, vcc_lo
	global_store_b64 v[22:23], v[14:15], off
	s_wait_alu 0xfffe
	s_or_b32 exec_lo, exec_lo, s18
	s_and_saveexec_b32 s18, s4
	s_cbranch_execz .LBB79_28
.LBB79_30:                              ;   in Loop: Header=BB79_4 Depth=1
	v_add_co_u32 v14, vcc_lo, v18, v16
	s_wait_alu 0xfffd
	v_add_co_ci_u32_e64 v15, null, v19, v17, vcc_lo
	global_load_b64 v[14:15], v[14:15], off offset:128
	s_wait_loadcnt 0x0
	v_mul_f64_e32 v[14:15], s[40:41], v[14:15]
	s_delay_alu instid0(VALU_DEP_1)
	v_fma_f64 v[12:13], s[10:11], v[12:13], v[14:15]
	v_add_co_u32 v14, vcc_lo, v20, v16
	s_wait_alu 0xfffd
	v_add_co_ci_u32_e64 v15, null, v21, v17, vcc_lo
	global_store_b64 v[14:15], v[12:13], off offset:128
	s_wait_alu 0xfffe
	s_or_b32 exec_lo, exec_lo, s18
	s_delay_alu instid0(SALU_CYCLE_1)
	s_and_b32 exec_lo, exec_lo, s5
	s_cbranch_execz .LBB79_2
.LBB79_31:                              ;   in Loop: Header=BB79_4 Depth=1
	v_add_co_u32 v12, vcc_lo, v18, s16
	s_lshl_b64 s[18:19], s[6:7], 3
	s_wait_alu 0xfffd
	v_add_co_ci_u32_e64 v13, null, s17, v19, vcc_lo
	s_wait_alu 0xfffe
	v_add_co_u32 v14, vcc_lo, v20, s18
	s_wait_alu 0xfffd
	v_add_co_ci_u32_e64 v15, null, s19, v21, vcc_lo
	v_add_co_u32 v12, vcc_lo, v12, v16
	s_wait_alu 0xfffd
	v_add_co_ci_u32_e64 v13, null, v13, v17, vcc_lo
	;; [unrolled: 3-line block ×3, first 2 shown]
	s_and_saveexec_b32 s18, s3
	s_cbranch_execz .LBB79_33
; %bb.32:                               ;   in Loop: Header=BB79_4 Depth=1
	global_load_b64 v[16:17], v[12:13], off
	s_wait_loadcnt 0x0
	v_mul_f64_e32 v[16:17], s[40:41], v[16:17]
	s_delay_alu instid0(VALU_DEP_1)
	v_fma_f64 v[10:11], s[10:11], v[10:11], v[16:17]
	global_store_b64 v[14:15], v[10:11], off
.LBB79_33:                              ;   in Loop: Header=BB79_4 Depth=1
	s_wait_alu 0xfffe
	s_or_b32 exec_lo, exec_lo, s18
	s_delay_alu instid0(SALU_CYCLE_1)
	s_and_b32 exec_lo, exec_lo, s4
	s_cbranch_execz .LBB79_2
; %bb.34:                               ;   in Loop: Header=BB79_4 Depth=1
	global_load_b64 v[10:11], v[12:13], off offset:128
	s_wait_loadcnt 0x0
	v_mul_f64_e32 v[10:11], s[40:41], v[10:11]
	s_delay_alu instid0(VALU_DEP_1)
	v_fma_f64 v[8:9], s[10:11], v[8:9], v[10:11]
	global_store_b64 v[14:15], v[8:9], off offset:128
	s_branch .LBB79_2
.LBB79_35:
	s_endpgm
	.section	.rodata,"a",@progbits
	.p2align	6, 0x0
	.amdhsa_kernel _ZN12_GLOBAL__N_135rocblas_gemm_batched_general_kernelIdLi16ELi16ELi32ELi32ELi8ELi32ELi8ELi8ELi32ELc84ELc78EKdS1_dEEvlllT_PT11_llS4_llS2_PT12_llPT13_lli
		.amdhsa_group_segment_fixed_size 4096
		.amdhsa_private_segment_fixed_size 0
		.amdhsa_kernarg_size 140
		.amdhsa_user_sgpr_count 2
		.amdhsa_user_sgpr_dispatch_ptr 0
		.amdhsa_user_sgpr_queue_ptr 0
		.amdhsa_user_sgpr_kernarg_segment_ptr 1
		.amdhsa_user_sgpr_dispatch_id 0
		.amdhsa_user_sgpr_private_segment_size 0
		.amdhsa_wavefront_size32 1
		.amdhsa_uses_dynamic_stack 0
		.amdhsa_enable_private_segment 0
		.amdhsa_system_sgpr_workgroup_id_x 1
		.amdhsa_system_sgpr_workgroup_id_y 1
		.amdhsa_system_sgpr_workgroup_id_z 1
		.amdhsa_system_sgpr_workgroup_info 0
		.amdhsa_system_vgpr_workitem_id 1
		.amdhsa_next_free_vgpr 48
		.amdhsa_next_free_sgpr 52
		.amdhsa_reserve_vcc 1
		.amdhsa_float_round_mode_32 0
		.amdhsa_float_round_mode_16_64 0
		.amdhsa_float_denorm_mode_32 3
		.amdhsa_float_denorm_mode_16_64 3
		.amdhsa_fp16_overflow 0
		.amdhsa_workgroup_processor_mode 1
		.amdhsa_memory_ordered 1
		.amdhsa_forward_progress 1
		.amdhsa_inst_pref_size 19
		.amdhsa_round_robin_scheduling 0
		.amdhsa_exception_fp_ieee_invalid_op 0
		.amdhsa_exception_fp_denorm_src 0
		.amdhsa_exception_fp_ieee_div_zero 0
		.amdhsa_exception_fp_ieee_overflow 0
		.amdhsa_exception_fp_ieee_underflow 0
		.amdhsa_exception_fp_ieee_inexact 0
		.amdhsa_exception_int_div_zero 0
	.end_amdhsa_kernel
	.section	.text._ZN12_GLOBAL__N_135rocblas_gemm_batched_general_kernelIdLi16ELi16ELi32ELi32ELi8ELi32ELi8ELi8ELi32ELc84ELc78EKdS1_dEEvlllT_PT11_llS4_llS2_PT12_llPT13_lli,"axG",@progbits,_ZN12_GLOBAL__N_135rocblas_gemm_batched_general_kernelIdLi16ELi16ELi32ELi32ELi8ELi32ELi8ELi8ELi32ELc84ELc78EKdS1_dEEvlllT_PT11_llS4_llS2_PT12_llPT13_lli,comdat
.Lfunc_end79:
	.size	_ZN12_GLOBAL__N_135rocblas_gemm_batched_general_kernelIdLi16ELi16ELi32ELi32ELi8ELi32ELi8ELi8ELi32ELc84ELc78EKdS1_dEEvlllT_PT11_llS4_llS2_PT12_llPT13_lli, .Lfunc_end79-_ZN12_GLOBAL__N_135rocblas_gemm_batched_general_kernelIdLi16ELi16ELi32ELi32ELi8ELi32ELi8ELi8ELi32ELc84ELc78EKdS1_dEEvlllT_PT11_llS4_llS2_PT12_llPT13_lli
                                        ; -- End function
	.set _ZN12_GLOBAL__N_135rocblas_gemm_batched_general_kernelIdLi16ELi16ELi32ELi32ELi8ELi32ELi8ELi8ELi32ELc84ELc78EKdS1_dEEvlllT_PT11_llS4_llS2_PT12_llPT13_lli.num_vgpr, 48
	.set _ZN12_GLOBAL__N_135rocblas_gemm_batched_general_kernelIdLi16ELi16ELi32ELi32ELi8ELi32ELi8ELi8ELi32ELc84ELc78EKdS1_dEEvlllT_PT11_llS4_llS2_PT12_llPT13_lli.num_agpr, 0
	.set _ZN12_GLOBAL__N_135rocblas_gemm_batched_general_kernelIdLi16ELi16ELi32ELi32ELi8ELi32ELi8ELi8ELi32ELc84ELc78EKdS1_dEEvlllT_PT11_llS4_llS2_PT12_llPT13_lli.numbered_sgpr, 52
	.set _ZN12_GLOBAL__N_135rocblas_gemm_batched_general_kernelIdLi16ELi16ELi32ELi32ELi8ELi32ELi8ELi8ELi32ELc84ELc78EKdS1_dEEvlllT_PT11_llS4_llS2_PT12_llPT13_lli.num_named_barrier, 0
	.set _ZN12_GLOBAL__N_135rocblas_gemm_batched_general_kernelIdLi16ELi16ELi32ELi32ELi8ELi32ELi8ELi8ELi32ELc84ELc78EKdS1_dEEvlllT_PT11_llS4_llS2_PT12_llPT13_lli.private_seg_size, 0
	.set _ZN12_GLOBAL__N_135rocblas_gemm_batched_general_kernelIdLi16ELi16ELi32ELi32ELi8ELi32ELi8ELi8ELi32ELc84ELc78EKdS1_dEEvlllT_PT11_llS4_llS2_PT12_llPT13_lli.uses_vcc, 1
	.set _ZN12_GLOBAL__N_135rocblas_gemm_batched_general_kernelIdLi16ELi16ELi32ELi32ELi8ELi32ELi8ELi8ELi32ELc84ELc78EKdS1_dEEvlllT_PT11_llS4_llS2_PT12_llPT13_lli.uses_flat_scratch, 0
	.set _ZN12_GLOBAL__N_135rocblas_gemm_batched_general_kernelIdLi16ELi16ELi32ELi32ELi8ELi32ELi8ELi8ELi32ELc84ELc78EKdS1_dEEvlllT_PT11_llS4_llS2_PT12_llPT13_lli.has_dyn_sized_stack, 0
	.set _ZN12_GLOBAL__N_135rocblas_gemm_batched_general_kernelIdLi16ELi16ELi32ELi32ELi8ELi32ELi8ELi8ELi32ELc84ELc78EKdS1_dEEvlllT_PT11_llS4_llS2_PT12_llPT13_lli.has_recursion, 0
	.set _ZN12_GLOBAL__N_135rocblas_gemm_batched_general_kernelIdLi16ELi16ELi32ELi32ELi8ELi32ELi8ELi8ELi32ELc84ELc78EKdS1_dEEvlllT_PT11_llS4_llS2_PT12_llPT13_lli.has_indirect_call, 0
	.section	.AMDGPU.csdata,"",@progbits
; Kernel info:
; codeLenInByte = 2388
; TotalNumSgprs: 54
; NumVgprs: 48
; ScratchSize: 0
; MemoryBound: 0
; FloatMode: 240
; IeeeMode: 1
; LDSByteSize: 4096 bytes/workgroup (compile time only)
; SGPRBlocks: 0
; VGPRBlocks: 5
; NumSGPRsForWavesPerEU: 54
; NumVGPRsForWavesPerEU: 48
; Occupancy: 16
; WaveLimiterHint : 0
; COMPUTE_PGM_RSRC2:SCRATCH_EN: 0
; COMPUTE_PGM_RSRC2:USER_SGPR: 2
; COMPUTE_PGM_RSRC2:TRAP_HANDLER: 0
; COMPUTE_PGM_RSRC2:TGID_X_EN: 1
; COMPUTE_PGM_RSRC2:TGID_Y_EN: 1
; COMPUTE_PGM_RSRC2:TGID_Z_EN: 1
; COMPUTE_PGM_RSRC2:TIDIG_COMP_CNT: 1
	.section	.text._ZN12_GLOBAL__N_135rocblas_gemm_batched_general_kernelIdLi16ELi16ELi32ELi32ELi8ELi32ELi8ELi8ELi32ELc78ELc84EKdS1_dEEvlllT_PT11_llS4_llS2_PT12_llPT13_lli,"axG",@progbits,_ZN12_GLOBAL__N_135rocblas_gemm_batched_general_kernelIdLi16ELi16ELi32ELi32ELi8ELi32ELi8ELi8ELi32ELc78ELc84EKdS1_dEEvlllT_PT11_llS4_llS2_PT12_llPT13_lli,comdat
	.globl	_ZN12_GLOBAL__N_135rocblas_gemm_batched_general_kernelIdLi16ELi16ELi32ELi32ELi8ELi32ELi8ELi8ELi32ELc78ELc84EKdS1_dEEvlllT_PT11_llS4_llS2_PT12_llPT13_lli ; -- Begin function _ZN12_GLOBAL__N_135rocblas_gemm_batched_general_kernelIdLi16ELi16ELi32ELi32ELi8ELi32ELi8ELi8ELi32ELc78ELc84EKdS1_dEEvlllT_PT11_llS4_llS2_PT12_llPT13_lli
	.p2align	8
	.type	_ZN12_GLOBAL__N_135rocblas_gemm_batched_general_kernelIdLi16ELi16ELi32ELi32ELi8ELi32ELi8ELi8ELi32ELc78ELc84EKdS1_dEEvlllT_PT11_llS4_llS2_PT12_llPT13_lli,@function
_ZN12_GLOBAL__N_135rocblas_gemm_batched_general_kernelIdLi16ELi16ELi32ELi32ELi8ELi32ELi8ELi8ELi32ELc78ELc84EKdS1_dEEvlllT_PT11_llS4_llS2_PT12_llPT13_lli: ; @_ZN12_GLOBAL__N_135rocblas_gemm_batched_general_kernelIdLi16ELi16ELi32ELi32ELi8ELi32ELi8ELi8ELi32ELc78ELc84EKdS1_dEEvlllT_PT11_llS4_llS2_PT12_llPT13_lli
; %bb.0:
	s_load_b32 s28, s[0:1], 0x88
	s_lshr_b32 s20, ttmp7, 16
	s_wait_kmcnt 0x0
	s_cmp_ge_i32 s20, s28
	s_cbranch_scc1 .LBB80_35
; %bb.1:
	v_bfe_u32 v6, v0, 10, 10
	v_and_b32_e32 v7, 0x3ff, v0
	s_mov_b32 s24, ttmp9
	s_ashr_i32 s25, ttmp9, 31
	s_clause 0x1
	s_load_b512 s[4:19], s[0:1], 0x0
	s_load_b512 s[36:51], s[0:1], 0x40
	s_lshl_b64 s[26:27], s[24:25], 5
	v_lshl_add_u32 v18, v6, 4, v7
	v_dual_mov_b32 v1, s27 :: v_dual_and_b32 v24, 7, v0
	s_and_b32 s30, ttmp7, 0xffff
	s_load_b64 s[22:23], s[0:1], 0x80
	s_delay_alu instid0(VALU_DEP_2)
	v_and_b32_e32 v2, 31, v18
	v_lshrrev_b32_e32 v4, 3, v18
	v_lshlrev_b32_e32 v5, 3, v24
	s_lshl_b32 s2, s30, 5
	v_lshl_add_u32 v29, v6, 6, 0x800
	v_or_b32_e32 v0, s26, v2
	v_lshlrev_b32_e32 v19, 3, v2
	v_add_co_u32 v2, s0, v4, s2
	v_lshl_or_b32 v4, v4, 6, v5
	v_add_co_ci_u32_e64 v3, null, 0, 0, s0
	s_wait_kmcnt 0x0
	v_cmp_gt_i64_e64 s0, s[4:5], v[0:1]
	v_mad_co_u64_u32 v[8:9], null, s36, v24, 0
	v_add_nc_u32_e32 v27, 0x800, v4
	v_add_co_u32 v4, s2, s2, v6
	v_cmp_gt_i64_e64 s1, s[6:7], v[2:3]
	v_lshlrev_b32_e32 v28, 3, v7
	v_add_co_u32 v2, s3, s26, v7
	s_delay_alu instid0(VALU_DEP_4) | instskip(SKIP_4) | instid1(VALU_DEP_4)
	v_mad_co_u64_u32 v[0:1], null, v4, s50, 0
	v_mad_co_u64_u32 v[6:7], null, v4, s44, 0
	s_wait_alu 0xf1ff
	v_add_co_ci_u32_e64 v3, null, s27, 0, s3
	v_add_co_ci_u32_e64 v5, null, 0, 0, s2
	v_mad_co_u64_u32 v[12:13], null, v4, s51, v[1:2]
	s_delay_alu instid0(VALU_DEP_4) | instskip(SKIP_1) | instid1(VALU_DEP_1)
	v_mov_b32_e32 v1, v7
	v_add_co_u32 v10, vcc_lo, v2, 16
	v_add_co_ci_u32_e64 v11, null, 0, v3, vcc_lo
	v_add_co_u32 v13, vcc_lo, v4, 16
	v_cmp_gt_i64_e64 s2, s[6:7], v[4:5]
	v_mov_b32_e32 v7, v9
	s_wait_alu 0xfffd
	v_add_co_ci_u32_e64 v14, null, 0, v5, vcc_lo
	v_mad_co_u64_u32 v[4:5], null, v4, s45, v[1:2]
	v_lshrrev_b32_e32 v25, 5, v18
	v_mad_co_u64_u32 v[15:16], null, s37, v24, v[7:8]
	v_cmp_eq_f64_e64 s29, s[40:41], 0
	v_cmp_gt_i64_e64 s3, s[4:5], v[2:3]
	s_delay_alu instid0(VALU_DEP_4)
	v_mad_co_u64_u32 v[16:17], null, s14, v25, 0
	v_mov_b32_e32 v7, v4
	v_cmp_gt_i64_e64 s4, s[4:5], v[10:11]
	v_mov_b32_e32 v9, v15
	s_lshl_b32 s30, s30, 8
	v_mov_b32_e32 v1, v12
	v_lshlrev_b64_e32 v[5:6], 3, v[6:7]
	v_mov_b32_e32 v4, v17
	v_lshlrev_b64_e32 v[7:8], 3, v[8:9]
	v_cmp_gt_i64_e64 s5, s[6:7], v[13:14]
	v_lshl_or_b32 v26, v25, 8, v19
	s_lshl_b64 s[26:27], s[44:45], 4
	v_mad_co_u64_u32 v[9:10], null, s15, v25, v[4:5]
	v_add_co_u32 v30, vcc_lo, s42, v5
	s_wait_alu 0xfffd
	v_add_co_ci_u32_e64 v31, null, s43, v6, vcc_lo
	v_and_b32_e32 v4, 0x1ff8, v18
	v_add_co_u32 v5, vcc_lo, v7, s30
	s_wait_alu 0xfffd
	v_add_co_ci_u32_e64 v6, null, 0, v8, vcc_lo
	v_mov_b32_e32 v17, v9
	s_delay_alu instid0(VALU_DEP_3) | instskip(SKIP_1) | instid1(VALU_DEP_3)
	v_add_co_u32 v4, vcc_lo, v5, v4
	s_wait_alu 0xfffd
	v_add_co_ci_u32_e64 v5, null, 0, v6, vcc_lo
	s_delay_alu instid0(VALU_DEP_3) | instskip(NEXT) | instid1(VALU_DEP_3)
	v_lshlrev_b64_e32 v[6:7], 3, v[16:17]
	v_add_co_u32 v4, vcc_lo, s18, v4
	s_wait_alu 0xfffd
	s_delay_alu instid0(VALU_DEP_3)
	v_add_co_ci_u32_e64 v5, null, s19, v5, vcc_lo
	s_lshl_b64 s[18:19], s[24:25], 8
	v_cmp_gt_i64_e64 s30, s[8:9], 0
	s_wait_alu 0xfffe
	v_add_co_u32 v6, vcc_lo, v6, s18
	s_wait_alu 0xfffd
	v_add_co_ci_u32_e64 v7, null, s19, v7, vcc_lo
	s_mov_b32 s21, 0
	v_add_co_u32 v6, vcc_lo, v6, v19
	s_wait_alu 0xfffd
	v_add_co_ci_u32_e64 v7, null, 0, v7, vcc_lo
	s_lshl_b64 s[6:7], s[50:51], 4
	v_add_co_u32 v6, vcc_lo, s12, v6
	s_wait_alu 0xfffd
	v_add_co_ci_u32_e64 v7, null, s13, v7, vcc_lo
	s_lshl_b64 s[18:19], s[38:39], 3
	s_lshl_b64 s[24:25], s[36:37], 6
	;; [unrolled: 1-line block ×5, first 2 shown]
	s_branch .LBB80_4
.LBB80_2:                               ;   in Loop: Header=BB80_4 Depth=1
	s_wait_alu 0xfffe
	s_or_b32 exec_lo, exec_lo, s31
.LBB80_3:                               ;   in Loop: Header=BB80_4 Depth=1
	s_add_co_i32 s20, s20, 0x10000
	s_wait_alu 0xfffe
	s_cmp_lt_i32 s20, s28
	s_cbranch_scc0 .LBB80_35
.LBB80_4:                               ; =>This Loop Header: Depth=1
                                        ;     Child Loop BB80_7 Depth 2
	s_and_not1_b32 vcc_lo, exec_lo, s30
	s_wait_alu 0xfffe
	s_cbranch_vccnz .LBB80_11
; %bb.5:                                ;   in Loop: Header=BB80_4 Depth=1
	v_mad_co_u64_u32 v[16:17], null, s18, s20, v[4:5]
	v_mad_co_u64_u32 v[18:19], null, s12, s20, v[6:7]
	v_mov_b32_e32 v12, 0
	v_dual_mov_b32 v13, 0 :: v_dual_mov_b32 v14, 0
	s_delay_alu instid0(VALU_DEP_4) | instskip(SKIP_1) | instid1(VALU_DEP_4)
	v_dual_mov_b32 v15, 0 :: v_dual_mov_b32 v8, v17
	s_mov_b64 s[26:27], 0
	v_mov_b32_e32 v9, v19
	s_delay_alu instid0(VALU_DEP_1)
	v_mad_co_u64_u32 v[19:20], null, s19, s20, v[8:9]
	v_mad_co_u64_u32 v[20:21], null, s13, s20, v[9:10]
	v_mov_b32_e32 v8, 0
	v_dual_mov_b32 v9, 0 :: v_dual_mov_b32 v10, 0
	v_mov_b32_e32 v11, 0
	v_mov_b32_e32 v17, v19
	;; [unrolled: 1-line block ×3, first 2 shown]
	s_branch .LBB80_7
.LBB80_6:                               ;   in Loop: Header=BB80_7 Depth=2
	s_wait_alu 0xfffe
	s_or_b32 exec_lo, exec_lo, s31
	s_wait_loadcnt 0x0
	ds_store_b64 v27, v[22:23]
	s_wait_dscnt 0x0
	s_barrier_signal -1
	s_barrier_wait -1
	global_inv scope:SCOPE_SE
	ds_load_b128 v[20:23], v29
	ds_load_2addr_b64 v[32:35], v28 offset1:16
	ds_load_b128 v[36:39], v29 offset:1024
	ds_load_b128 v[40:43], v29 offset:16
	;; [unrolled: 1-line block ×3, first 2 shown]
	s_add_nc_u64 s[26:27], s[26:27], 8
	v_add_co_u32 v16, vcc_lo, v16, s24
	s_wait_alu 0xfffe
	v_cmp_lt_i64_e64 s31, s[26:27], s[8:9]
	s_wait_alu 0xfffd
	v_add_co_ci_u32_e64 v17, null, s25, v17, vcc_lo
	v_add_co_u32 v18, vcc_lo, v18, s14
	s_wait_alu 0xfffd
	v_add_co_ci_u32_e64 v19, null, s15, v19, vcc_lo
	s_and_b32 vcc_lo, exec_lo, s31
	s_wait_dscnt 0x3
	v_fma_f64 v[14:15], v[32:33], v[20:21], v[14:15]
	v_fma_f64 v[12:13], v[34:35], v[20:21], v[12:13]
	s_wait_dscnt 0x2
	v_fma_f64 v[20:21], v[32:33], v[36:37], v[10:11]
	v_fma_f64 v[32:33], v[34:35], v[36:37], v[8:9]
	ds_load_2addr_b64 v[8:11], v28 offset0:32 offset1:48
	s_wait_dscnt 0x0
	v_fma_f64 v[14:15], v[8:9], v[22:23], v[14:15]
	v_fma_f64 v[12:13], v[10:11], v[22:23], v[12:13]
	v_fma_f64 v[20:21], v[8:9], v[38:39], v[20:21]
	v_fma_f64 v[22:23], v[10:11], v[38:39], v[32:33]
	ds_load_2addr_b64 v[8:11], v28 offset0:64 offset1:80
	s_wait_dscnt 0x0
	v_fma_f64 v[14:15], v[8:9], v[40:41], v[14:15]
	v_fma_f64 v[12:13], v[10:11], v[40:41], v[12:13]
	;; [unrolled: 6-line block ×3, first 2 shown]
	v_fma_f64 v[44:45], v[8:9], v[46:47], v[20:21]
	v_fma_f64 v[46:47], v[10:11], v[46:47], v[22:23]
	ds_load_b128 v[8:11], v29 offset:32
	ds_load_2addr_b64 v[12:15], v28 offset0:128 offset1:144
	ds_load_b128 v[20:23], v29 offset:1056
	ds_load_b128 v[32:35], v29 offset:48
	;; [unrolled: 1-line block ×3, first 2 shown]
	s_wait_dscnt 0x3
	v_fma_f64 v[40:41], v[12:13], v[8:9], v[40:41]
	v_fma_f64 v[8:9], v[14:15], v[8:9], v[42:43]
	s_wait_dscnt 0x2
	v_fma_f64 v[42:43], v[12:13], v[20:21], v[44:45]
	v_fma_f64 v[20:21], v[14:15], v[20:21], v[46:47]
	ds_load_2addr_b64 v[12:15], v28 offset0:160 offset1:176
	s_wait_dscnt 0x0
	v_fma_f64 v[40:41], v[12:13], v[10:11], v[40:41]
	v_fma_f64 v[44:45], v[14:15], v[10:11], v[8:9]
	;; [unrolled: 1-line block ×4, first 2 shown]
	ds_load_2addr_b64 v[8:11], v28 offset0:192 offset1:208
	ds_load_2addr_b64 v[20:23], v28 offset0:224 offset1:240
	s_wait_loadcnt_dscnt 0x0
	s_barrier_signal -1
	s_barrier_wait -1
	global_inv scope:SCOPE_SE
	v_fma_f64 v[40:41], v[8:9], v[32:33], v[40:41]
	v_fma_f64 v[32:33], v[10:11], v[32:33], v[44:45]
	;; [unrolled: 1-line block ×4, first 2 shown]
	s_delay_alu instid0(VALU_DEP_4) | instskip(NEXT) | instid1(VALU_DEP_4)
	v_fma_f64 v[14:15], v[20:21], v[34:35], v[40:41]
	v_fma_f64 v[12:13], v[22:23], v[34:35], v[32:33]
	s_delay_alu instid0(VALU_DEP_4) | instskip(NEXT) | instid1(VALU_DEP_4)
	v_fma_f64 v[10:11], v[20:21], v[38:39], v[8:9]
	v_fma_f64 v[8:9], v[22:23], v[38:39], v[36:37]
	s_wait_alu 0xfffe
	s_cbranch_vccz .LBB80_12
.LBB80_7:                               ;   Parent Loop BB80_4 Depth=1
                                        ; =>  This Inner Loop Header: Depth=2
	s_wait_alu 0xfffe
	v_add_co_u32 v20, s31, v25, s26
	s_wait_alu 0xf1ff
	v_add_co_ci_u32_e64 v21, null, 0, s27, s31
	s_delay_alu instid0(VALU_DEP_1) | instskip(SKIP_3) | instid1(SALU_CYCLE_1)
	v_cmp_gt_i64_e32 vcc_lo, s[8:9], v[20:21]
	v_mov_b32_e32 v20, 0
	v_mov_b32_e32 v21, 0
	s_and_b32 s33, s0, vcc_lo
	s_and_saveexec_b32 s31, s33
	s_cbranch_execz .LBB80_9
; %bb.8:                                ;   in Loop: Header=BB80_7 Depth=2
	global_load_b64 v[20:21], v[18:19], off
.LBB80_9:                               ;   in Loop: Header=BB80_7 Depth=2
	s_wait_alu 0xfffe
	s_or_b32 exec_lo, exec_lo, s31
	v_add_co_u32 v22, s31, v24, s26
	s_wait_alu 0xf1ff
	v_add_co_ci_u32_e64 v23, null, 0, s27, s31
	s_wait_loadcnt 0x0
	ds_store_b64 v26, v[20:21]
	v_cmp_gt_i64_e32 vcc_lo, s[8:9], v[22:23]
	v_mov_b32_e32 v22, 0
	v_mov_b32_e32 v23, 0
	s_and_b32 s33, vcc_lo, s1
	s_delay_alu instid0(SALU_CYCLE_1)
	s_and_saveexec_b32 s31, s33
	s_cbranch_execz .LBB80_6
; %bb.10:                               ;   in Loop: Header=BB80_7 Depth=2
	global_load_b64 v[22:23], v[16:17], off
	s_branch .LBB80_6
.LBB80_11:                              ;   in Loop: Header=BB80_4 Depth=1
	v_mov_b32_e32 v14, 0
	v_dual_mov_b32 v10, 0 :: v_dual_mov_b32 v15, 0
	v_dual_mov_b32 v12, 0 :: v_dual_mov_b32 v11, 0
	;; [unrolled: 1-line block ×3, first 2 shown]
	v_mov_b32_e32 v9, 0
.LBB80_12:                              ;   in Loop: Header=BB80_4 Depth=1
	s_mul_u64 s[26:27], s[22:23], s[20:21]
	s_and_not1_b32 vcc_lo, exec_lo, s29
	s_wait_alu 0xfffe
	s_lshl_b64 s[26:27], s[26:27], 3
	s_wait_alu 0xfffe
	s_add_nc_u64 s[26:27], s[48:49], s[26:27]
	s_cbranch_vccnz .LBB80_17
; %bb.13:                               ;   in Loop: Header=BB80_4 Depth=1
	s_and_saveexec_b32 s31, s2
	s_cbranch_execz .LBB80_24
; %bb.14:                               ;   in Loop: Header=BB80_4 Depth=1
	v_lshlrev_b64_e32 v[16:17], 3, v[0:1]
	s_wait_alu 0xfffe
	s_delay_alu instid0(VALU_DEP_1) | instskip(SKIP_1) | instid1(VALU_DEP_2)
	v_add_co_u32 v16, vcc_lo, s26, v16
	s_wait_alu 0xfffd
	v_add_co_ci_u32_e64 v17, null, s27, v17, vcc_lo
	s_and_saveexec_b32 s33, s3
	s_cbranch_execnz .LBB80_18
; %bb.15:                               ;   in Loop: Header=BB80_4 Depth=1
	s_or_b32 exec_lo, exec_lo, s33
	s_and_saveexec_b32 s33, s4
	s_cbranch_execnz .LBB80_19
.LBB80_16:                              ;   in Loop: Header=BB80_4 Depth=1
	s_or_b32 exec_lo, exec_lo, s33
	s_delay_alu instid0(SALU_CYCLE_1)
	s_and_b32 exec_lo, exec_lo, s5
	s_cbranch_execnz .LBB80_20
	s_branch .LBB80_24
.LBB80_17:                              ;   in Loop: Header=BB80_4 Depth=1
	s_branch .LBB80_25
.LBB80_18:                              ;   in Loop: Header=BB80_4 Depth=1
	v_mul_f64_e32 v[18:19], s[10:11], v[14:15]
	v_lshlrev_b64_e32 v[20:21], 3, v[2:3]
	s_delay_alu instid0(VALU_DEP_1) | instskip(SKIP_1) | instid1(VALU_DEP_2)
	v_add_co_u32 v20, vcc_lo, v16, v20
	s_wait_alu 0xfffd
	v_add_co_ci_u32_e64 v21, null, v17, v21, vcc_lo
	global_store_b64 v[20:21], v[18:19], off
	s_or_b32 exec_lo, exec_lo, s33
	s_and_saveexec_b32 s33, s4
	s_cbranch_execz .LBB80_16
.LBB80_19:                              ;   in Loop: Header=BB80_4 Depth=1
	v_mul_f64_e32 v[18:19], s[10:11], v[12:13]
	v_lshlrev_b64_e32 v[20:21], 3, v[2:3]
	s_delay_alu instid0(VALU_DEP_1) | instskip(SKIP_1) | instid1(VALU_DEP_2)
	v_add_co_u32 v20, vcc_lo, v16, v20
	s_wait_alu 0xfffd
	v_add_co_ci_u32_e64 v21, null, v17, v21, vcc_lo
	global_store_b64 v[20:21], v[18:19], off offset:128
	s_or_b32 exec_lo, exec_lo, s33
	s_delay_alu instid0(SALU_CYCLE_1)
	s_and_b32 exec_lo, exec_lo, s5
	s_cbranch_execz .LBB80_24
.LBB80_20:                              ;   in Loop: Header=BB80_4 Depth=1
	s_lshl_b64 s[34:35], s[6:7], 3
	v_lshlrev_b64_e32 v[18:19], 3, v[2:3]
	s_wait_alu 0xfffe
	v_add_co_u32 v16, vcc_lo, v16, s34
	s_wait_alu 0xfffd
	v_add_co_ci_u32_e64 v17, null, s35, v17, vcc_lo
	s_delay_alu instid0(VALU_DEP_2) | instskip(SKIP_1) | instid1(VALU_DEP_2)
	v_add_co_u32 v16, vcc_lo, v16, v18
	s_wait_alu 0xfffd
	v_add_co_ci_u32_e64 v17, null, v17, v19, vcc_lo
	s_and_saveexec_b32 s33, s3
	s_cbranch_execz .LBB80_22
; %bb.21:                               ;   in Loop: Header=BB80_4 Depth=1
	v_mul_f64_e32 v[18:19], s[10:11], v[10:11]
	global_store_b64 v[16:17], v[18:19], off
.LBB80_22:                              ;   in Loop: Header=BB80_4 Depth=1
	s_or_b32 exec_lo, exec_lo, s33
	s_delay_alu instid0(SALU_CYCLE_1)
	s_and_b32 exec_lo, exec_lo, s4
	s_cbranch_execz .LBB80_24
; %bb.23:                               ;   in Loop: Header=BB80_4 Depth=1
	v_mul_f64_e32 v[18:19], s[10:11], v[8:9]
	global_store_b64 v[16:17], v[18:19], off offset:128
.LBB80_24:                              ;   in Loop: Header=BB80_4 Depth=1
	s_wait_alu 0xfffe
	s_or_b32 exec_lo, exec_lo, s31
	s_cbranch_execnz .LBB80_3
.LBB80_25:                              ;   in Loop: Header=BB80_4 Depth=1
	s_and_saveexec_b32 s31, s2
	s_cbranch_execz .LBB80_2
; %bb.26:                               ;   in Loop: Header=BB80_4 Depth=1
	s_mul_u64 s[34:35], s[46:47], s[20:21]
	v_lshlrev_b64_e32 v[20:21], 3, v[0:1]
	s_wait_alu 0xfffe
	s_lshl_b64 s[34:35], s[34:35], 3
	v_lshlrev_b64_e32 v[16:17], 3, v[2:3]
	s_wait_alu 0xfffe
	v_add_co_u32 v18, vcc_lo, v30, s34
	s_wait_alu 0xfffd
	v_add_co_ci_u32_e64 v19, null, s35, v31, vcc_lo
	v_add_co_u32 v20, vcc_lo, s26, v20
	s_wait_alu 0xfffd
	v_add_co_ci_u32_e64 v21, null, s27, v21, vcc_lo
	s_and_saveexec_b32 s26, s3
	s_cbranch_execnz .LBB80_29
; %bb.27:                               ;   in Loop: Header=BB80_4 Depth=1
	s_wait_alu 0xfffe
	s_or_b32 exec_lo, exec_lo, s26
	s_and_saveexec_b32 s26, s4
	s_cbranch_execnz .LBB80_30
.LBB80_28:                              ;   in Loop: Header=BB80_4 Depth=1
	s_wait_alu 0xfffe
	s_or_b32 exec_lo, exec_lo, s26
	s_delay_alu instid0(SALU_CYCLE_1)
	s_and_b32 exec_lo, exec_lo, s5
	s_cbranch_execz .LBB80_2
	s_branch .LBB80_31
.LBB80_29:                              ;   in Loop: Header=BB80_4 Depth=1
	v_add_co_u32 v22, vcc_lo, v18, v16
	s_wait_alu 0xfffd
	v_add_co_ci_u32_e64 v23, null, v19, v17, vcc_lo
	global_load_b64 v[22:23], v[22:23], off
	s_wait_loadcnt 0x0
	v_mul_f64_e32 v[22:23], s[40:41], v[22:23]
	s_delay_alu instid0(VALU_DEP_1)
	v_fma_f64 v[14:15], s[10:11], v[14:15], v[22:23]
	v_add_co_u32 v22, vcc_lo, v20, v16
	s_wait_alu 0xfffd
	v_add_co_ci_u32_e64 v23, null, v21, v17, vcc_lo
	global_store_b64 v[22:23], v[14:15], off
	s_wait_alu 0xfffe
	s_or_b32 exec_lo, exec_lo, s26
	s_and_saveexec_b32 s26, s4
	s_cbranch_execz .LBB80_28
.LBB80_30:                              ;   in Loop: Header=BB80_4 Depth=1
	v_add_co_u32 v14, vcc_lo, v18, v16
	s_wait_alu 0xfffd
	v_add_co_ci_u32_e64 v15, null, v19, v17, vcc_lo
	global_load_b64 v[14:15], v[14:15], off offset:128
	s_wait_loadcnt 0x0
	v_mul_f64_e32 v[14:15], s[40:41], v[14:15]
	s_delay_alu instid0(VALU_DEP_1)
	v_fma_f64 v[12:13], s[10:11], v[12:13], v[14:15]
	v_add_co_u32 v14, vcc_lo, v20, v16
	s_wait_alu 0xfffd
	v_add_co_ci_u32_e64 v15, null, v21, v17, vcc_lo
	global_store_b64 v[14:15], v[12:13], off offset:128
	s_wait_alu 0xfffe
	s_or_b32 exec_lo, exec_lo, s26
	s_delay_alu instid0(SALU_CYCLE_1)
	s_and_b32 exec_lo, exec_lo, s5
	s_cbranch_execz .LBB80_2
.LBB80_31:                              ;   in Loop: Header=BB80_4 Depth=1
	v_add_co_u32 v12, vcc_lo, v18, s16
	s_lshl_b64 s[26:27], s[6:7], 3
	s_wait_alu 0xfffd
	v_add_co_ci_u32_e64 v13, null, s17, v19, vcc_lo
	s_wait_alu 0xfffe
	v_add_co_u32 v14, vcc_lo, v20, s26
	s_wait_alu 0xfffd
	v_add_co_ci_u32_e64 v15, null, s27, v21, vcc_lo
	v_add_co_u32 v12, vcc_lo, v12, v16
	s_wait_alu 0xfffd
	v_add_co_ci_u32_e64 v13, null, v13, v17, vcc_lo
	;; [unrolled: 3-line block ×3, first 2 shown]
	s_and_saveexec_b32 s26, s3
	s_cbranch_execz .LBB80_33
; %bb.32:                               ;   in Loop: Header=BB80_4 Depth=1
	global_load_b64 v[16:17], v[12:13], off
	s_wait_loadcnt 0x0
	v_mul_f64_e32 v[16:17], s[40:41], v[16:17]
	s_delay_alu instid0(VALU_DEP_1)
	v_fma_f64 v[10:11], s[10:11], v[10:11], v[16:17]
	global_store_b64 v[14:15], v[10:11], off
.LBB80_33:                              ;   in Loop: Header=BB80_4 Depth=1
	s_wait_alu 0xfffe
	s_or_b32 exec_lo, exec_lo, s26
	s_delay_alu instid0(SALU_CYCLE_1)
	s_and_b32 exec_lo, exec_lo, s4
	s_cbranch_execz .LBB80_2
; %bb.34:                               ;   in Loop: Header=BB80_4 Depth=1
	global_load_b64 v[10:11], v[12:13], off offset:128
	s_wait_loadcnt 0x0
	v_mul_f64_e32 v[10:11], s[40:41], v[10:11]
	s_delay_alu instid0(VALU_DEP_1)
	v_fma_f64 v[8:9], s[10:11], v[8:9], v[10:11]
	global_store_b64 v[14:15], v[8:9], off offset:128
	s_branch .LBB80_2
.LBB80_35:
	s_endpgm
	.section	.rodata,"a",@progbits
	.p2align	6, 0x0
	.amdhsa_kernel _ZN12_GLOBAL__N_135rocblas_gemm_batched_general_kernelIdLi16ELi16ELi32ELi32ELi8ELi32ELi8ELi8ELi32ELc78ELc84EKdS1_dEEvlllT_PT11_llS4_llS2_PT12_llPT13_lli
		.amdhsa_group_segment_fixed_size 4096
		.amdhsa_private_segment_fixed_size 0
		.amdhsa_kernarg_size 140
		.amdhsa_user_sgpr_count 2
		.amdhsa_user_sgpr_dispatch_ptr 0
		.amdhsa_user_sgpr_queue_ptr 0
		.amdhsa_user_sgpr_kernarg_segment_ptr 1
		.amdhsa_user_sgpr_dispatch_id 0
		.amdhsa_user_sgpr_private_segment_size 0
		.amdhsa_wavefront_size32 1
		.amdhsa_uses_dynamic_stack 0
		.amdhsa_enable_private_segment 0
		.amdhsa_system_sgpr_workgroup_id_x 1
		.amdhsa_system_sgpr_workgroup_id_y 1
		.amdhsa_system_sgpr_workgroup_id_z 1
		.amdhsa_system_sgpr_workgroup_info 0
		.amdhsa_system_vgpr_workitem_id 1
		.amdhsa_next_free_vgpr 48
		.amdhsa_next_free_sgpr 52
		.amdhsa_reserve_vcc 1
		.amdhsa_float_round_mode_32 0
		.amdhsa_float_round_mode_16_64 0
		.amdhsa_float_denorm_mode_32 3
		.amdhsa_float_denorm_mode_16_64 3
		.amdhsa_fp16_overflow 0
		.amdhsa_workgroup_processor_mode 1
		.amdhsa_memory_ordered 1
		.amdhsa_forward_progress 1
		.amdhsa_inst_pref_size 19
		.amdhsa_round_robin_scheduling 0
		.amdhsa_exception_fp_ieee_invalid_op 0
		.amdhsa_exception_fp_denorm_src 0
		.amdhsa_exception_fp_ieee_div_zero 0
		.amdhsa_exception_fp_ieee_overflow 0
		.amdhsa_exception_fp_ieee_underflow 0
		.amdhsa_exception_fp_ieee_inexact 0
		.amdhsa_exception_int_div_zero 0
	.end_amdhsa_kernel
	.section	.text._ZN12_GLOBAL__N_135rocblas_gemm_batched_general_kernelIdLi16ELi16ELi32ELi32ELi8ELi32ELi8ELi8ELi32ELc78ELc84EKdS1_dEEvlllT_PT11_llS4_llS2_PT12_llPT13_lli,"axG",@progbits,_ZN12_GLOBAL__N_135rocblas_gemm_batched_general_kernelIdLi16ELi16ELi32ELi32ELi8ELi32ELi8ELi8ELi32ELc78ELc84EKdS1_dEEvlllT_PT11_llS4_llS2_PT12_llPT13_lli,comdat
.Lfunc_end80:
	.size	_ZN12_GLOBAL__N_135rocblas_gemm_batched_general_kernelIdLi16ELi16ELi32ELi32ELi8ELi32ELi8ELi8ELi32ELc78ELc84EKdS1_dEEvlllT_PT11_llS4_llS2_PT12_llPT13_lli, .Lfunc_end80-_ZN12_GLOBAL__N_135rocblas_gemm_batched_general_kernelIdLi16ELi16ELi32ELi32ELi8ELi32ELi8ELi8ELi32ELc78ELc84EKdS1_dEEvlllT_PT11_llS4_llS2_PT12_llPT13_lli
                                        ; -- End function
	.set _ZN12_GLOBAL__N_135rocblas_gemm_batched_general_kernelIdLi16ELi16ELi32ELi32ELi8ELi32ELi8ELi8ELi32ELc78ELc84EKdS1_dEEvlllT_PT11_llS4_llS2_PT12_llPT13_lli.num_vgpr, 48
	.set _ZN12_GLOBAL__N_135rocblas_gemm_batched_general_kernelIdLi16ELi16ELi32ELi32ELi8ELi32ELi8ELi8ELi32ELc78ELc84EKdS1_dEEvlllT_PT11_llS4_llS2_PT12_llPT13_lli.num_agpr, 0
	.set _ZN12_GLOBAL__N_135rocblas_gemm_batched_general_kernelIdLi16ELi16ELi32ELi32ELi8ELi32ELi8ELi8ELi32ELc78ELc84EKdS1_dEEvlllT_PT11_llS4_llS2_PT12_llPT13_lli.numbered_sgpr, 52
	.set _ZN12_GLOBAL__N_135rocblas_gemm_batched_general_kernelIdLi16ELi16ELi32ELi32ELi8ELi32ELi8ELi8ELi32ELc78ELc84EKdS1_dEEvlllT_PT11_llS4_llS2_PT12_llPT13_lli.num_named_barrier, 0
	.set _ZN12_GLOBAL__N_135rocblas_gemm_batched_general_kernelIdLi16ELi16ELi32ELi32ELi8ELi32ELi8ELi8ELi32ELc78ELc84EKdS1_dEEvlllT_PT11_llS4_llS2_PT12_llPT13_lli.private_seg_size, 0
	.set _ZN12_GLOBAL__N_135rocblas_gemm_batched_general_kernelIdLi16ELi16ELi32ELi32ELi8ELi32ELi8ELi8ELi32ELc78ELc84EKdS1_dEEvlllT_PT11_llS4_llS2_PT12_llPT13_lli.uses_vcc, 1
	.set _ZN12_GLOBAL__N_135rocblas_gemm_batched_general_kernelIdLi16ELi16ELi32ELi32ELi8ELi32ELi8ELi8ELi32ELc78ELc84EKdS1_dEEvlllT_PT11_llS4_llS2_PT12_llPT13_lli.uses_flat_scratch, 0
	.set _ZN12_GLOBAL__N_135rocblas_gemm_batched_general_kernelIdLi16ELi16ELi32ELi32ELi8ELi32ELi8ELi8ELi32ELc78ELc84EKdS1_dEEvlllT_PT11_llS4_llS2_PT12_llPT13_lli.has_dyn_sized_stack, 0
	.set _ZN12_GLOBAL__N_135rocblas_gemm_batched_general_kernelIdLi16ELi16ELi32ELi32ELi8ELi32ELi8ELi8ELi32ELc78ELc84EKdS1_dEEvlllT_PT11_llS4_llS2_PT12_llPT13_lli.has_recursion, 0
	.set _ZN12_GLOBAL__N_135rocblas_gemm_batched_general_kernelIdLi16ELi16ELi32ELi32ELi8ELi32ELi8ELi8ELi32ELc78ELc84EKdS1_dEEvlllT_PT11_llS4_llS2_PT12_llPT13_lli.has_indirect_call, 0
	.section	.AMDGPU.csdata,"",@progbits
; Kernel info:
; codeLenInByte = 2420
; TotalNumSgprs: 54
; NumVgprs: 48
; ScratchSize: 0
; MemoryBound: 0
; FloatMode: 240
; IeeeMode: 1
; LDSByteSize: 4096 bytes/workgroup (compile time only)
; SGPRBlocks: 0
; VGPRBlocks: 5
; NumSGPRsForWavesPerEU: 54
; NumVGPRsForWavesPerEU: 48
; Occupancy: 16
; WaveLimiterHint : 0
; COMPUTE_PGM_RSRC2:SCRATCH_EN: 0
; COMPUTE_PGM_RSRC2:USER_SGPR: 2
; COMPUTE_PGM_RSRC2:TRAP_HANDLER: 0
; COMPUTE_PGM_RSRC2:TGID_X_EN: 1
; COMPUTE_PGM_RSRC2:TGID_Y_EN: 1
; COMPUTE_PGM_RSRC2:TGID_Z_EN: 1
; COMPUTE_PGM_RSRC2:TIDIG_COMP_CNT: 1
	.section	.text._ZN12_GLOBAL__N_135rocblas_gemm_batched_general_kernelIdLi16ELi16ELi32ELi32ELi8ELi32ELi8ELi8ELi32ELc84ELc84EKdS1_dEEvlllT_PT11_llS4_llS2_PT12_llPT13_lli,"axG",@progbits,_ZN12_GLOBAL__N_135rocblas_gemm_batched_general_kernelIdLi16ELi16ELi32ELi32ELi8ELi32ELi8ELi8ELi32ELc84ELc84EKdS1_dEEvlllT_PT11_llS4_llS2_PT12_llPT13_lli,comdat
	.globl	_ZN12_GLOBAL__N_135rocblas_gemm_batched_general_kernelIdLi16ELi16ELi32ELi32ELi8ELi32ELi8ELi8ELi32ELc84ELc84EKdS1_dEEvlllT_PT11_llS4_llS2_PT12_llPT13_lli ; -- Begin function _ZN12_GLOBAL__N_135rocblas_gemm_batched_general_kernelIdLi16ELi16ELi32ELi32ELi8ELi32ELi8ELi8ELi32ELc84ELc84EKdS1_dEEvlllT_PT11_llS4_llS2_PT12_llPT13_lli
	.p2align	8
	.type	_ZN12_GLOBAL__N_135rocblas_gemm_batched_general_kernelIdLi16ELi16ELi32ELi32ELi8ELi32ELi8ELi8ELi32ELc84ELc84EKdS1_dEEvlllT_PT11_llS4_llS2_PT12_llPT13_lli,@function
_ZN12_GLOBAL__N_135rocblas_gemm_batched_general_kernelIdLi16ELi16ELi32ELi32ELi8ELi32ELi8ELi8ELi32ELc84ELc84EKdS1_dEEvlllT_PT11_llS4_llS2_PT12_llPT13_lli: ; @_ZN12_GLOBAL__N_135rocblas_gemm_batched_general_kernelIdLi16ELi16ELi32ELi32ELi8ELi32ELi8ELi8ELi32ELc84ELc84EKdS1_dEEvlllT_PT11_llS4_llS2_PT12_llPT13_lli
; %bb.0:
	s_load_b32 s26, s[0:1], 0x88
	s_lshr_b32 s20, ttmp7, 16
	s_wait_kmcnt 0x0
	s_cmp_ge_i32 s20, s26
	s_cbranch_scc1 .LBB81_35
; %bb.1:
	s_clause 0x1
	s_load_b512 s[4:19], s[0:1], 0x0
	s_load_b512 s[36:51], s[0:1], 0x40
	v_bfe_u32 v2, v0, 10, 10
	v_and_b32_e32 v3, 0x3ff, v0
	s_mov_b32 s2, ttmp9
	s_ashr_i32 s3, ttmp9, 31
	s_and_b32 s28, ttmp7, 0xffff
	s_lshl_b64 s[24:25], s[2:3], 5
	v_lshl_add_u32 v17, v2, 4, v3
	v_dual_mov_b32 v5, s25 :: v_dual_and_b32 v24, 7, v0
	s_lshl_b32 s2, s28, 5
	s_load_b64 s[22:23], s[0:1], 0x80
	s_delay_alu instid0(VALU_DEP_2)
	v_lshrrev_b32_e32 v6, 3, v17
	v_lshrrev_b32_e32 v25, 5, v17
	v_lshlrev_b32_e32 v8, 3, v24
	v_lshl_add_u32 v29, v2, 6, 0x800
	s_mov_b32 s21, 0
	s_wait_kmcnt 0x0
	s_lshl_b64 s[16:17], s[16:17], 3
	v_mad_co_u64_u32 v[9:10], null, s36, v24, 0
	v_and_b32_e32 v0, 31, v17
	v_cmp_eq_f64_e64 s27, s[40:41], 0
	s_lshl_b64 s[30:31], s[44:45], 4
	v_or_b32_e32 v4, s24, v0
	v_lshlrev_b32_e32 v7, 3, v0
	v_add_co_u32 v0, s0, v6, s2
	s_delay_alu instid0(VALU_DEP_1) | instskip(NEXT) | instid1(VALU_DEP_4)
	v_add_co_ci_u32_e64 v1, null, 0, 0, s0
	v_cmp_gt_i64_e64 s0, s[4:5], v[4:5]
	v_add_co_u32 v5, s2, s2, v2
	v_lshl_or_b32 v6, v6, 6, v8
	v_lshl_or_b32 v26, v25, 8, v7
	v_cmp_gt_i64_e64 s1, s[6:7], v[0:1]
	s_delay_alu instid0(VALU_DEP_4) | instskip(SKIP_4) | instid1(VALU_DEP_4)
	v_mad_co_u64_u32 v[7:8], null, v5, s44, 0
	v_mad_co_u64_u32 v[0:1], null, v5, s50, 0
	v_add_nc_u32_e32 v27, 0x800, v6
	s_wait_alu 0xf1ff
	v_add_co_ci_u32_e64 v6, null, 0, 0, s2
	v_mad_co_u64_u32 v[13:14], null, v5, s45, v[8:9]
	s_delay_alu instid0(VALU_DEP_2) | instskip(NEXT) | instid1(VALU_DEP_2)
	v_cmp_gt_i64_e64 s2, s[6:7], v[5:6]
	v_mov_b32_e32 v8, v13
	v_add_co_u32 v2, s3, s24, v3
	v_lshlrev_b32_e32 v28, 3, v3
	s_wait_alu 0xf1ff
	v_add_co_ci_u32_e64 v3, null, s25, 0, s3
	s_delay_alu instid0(VALU_DEP_3) | instskip(SKIP_4) | instid1(VALU_DEP_4)
	v_mad_co_u64_u32 v[14:15], null, v5, s51, v[1:2]
	v_mov_b32_e32 v1, v10
	v_add_co_u32 v11, vcc_lo, v2, 16
	v_lshlrev_b64_e32 v[7:8], 3, v[7:8]
	v_add_co_ci_u32_e64 v12, null, 0, v3, vcc_lo
	v_mad_co_u64_u32 v[15:16], null, s37, v24, v[1:2]
	v_add_co_u32 v5, vcc_lo, v5, 16
	s_wait_alu 0xfffd
	v_add_co_ci_u32_e64 v6, null, 0, v6, vcc_lo
	v_add_co_u32 v30, vcc_lo, s42, v7
	s_delay_alu instid0(VALU_DEP_4)
	v_mov_b32_e32 v10, v15
	v_cmp_gt_i64_e64 s3, s[4:5], v[2:3]
	v_cmp_gt_i64_e64 s4, s[4:5], v[11:12]
	;; [unrolled: 1-line block ×3, first 2 shown]
	s_wait_alu 0xfffd
	v_add_co_ci_u32_e64 v31, null, s43, v8, vcc_lo
	v_lshlrev_b64_e32 v[5:6], 3, v[9:10]
	v_mul_lo_u32 v9, s15, v4
	v_mad_co_u64_u32 v[7:8], null, s14, v4, 0
	s_lshl_b32 s15, s28, 8
	v_and_b32_e32 v4, 0x1ff8, v17
	s_mul_i32 s14, s14, s25
	s_wait_alu 0xfffe
	v_add_co_u32 v5, vcc_lo, v5, s15
	s_wait_alu 0xfffd
	v_add_co_ci_u32_e64 v6, null, 0, v6, vcc_lo
	v_add3_u32 v8, v8, s14, v9
	s_delay_alu instid0(VALU_DEP_3) | instskip(SKIP_1) | instid1(VALU_DEP_3)
	v_add_co_u32 v4, vcc_lo, v5, v4
	s_wait_alu 0xfffd
	v_add_co_ci_u32_e64 v5, null, 0, v6, vcc_lo
	s_delay_alu instid0(VALU_DEP_3) | instskip(SKIP_4) | instid1(VALU_DEP_3)
	v_lshlrev_b64_e32 v[6:7], 3, v[7:8]
	v_lshlrev_b32_e32 v8, 3, v25
	v_add_co_u32 v4, vcc_lo, s18, v4
	s_wait_alu 0xfffd
	v_add_co_ci_u32_e64 v5, null, s19, v5, vcc_lo
	v_add_co_u32 v6, vcc_lo, v6, v8
	s_wait_alu 0xfffd
	v_add_co_ci_u32_e64 v7, null, 0, v7, vcc_lo
	v_cmp_gt_i64_e64 s28, s[8:9], 0
	s_delay_alu instid0(VALU_DEP_3)
	v_add_co_u32 v6, vcc_lo, s12, v6
	v_mov_b32_e32 v1, v14
	s_wait_alu 0xfffd
	v_add_co_ci_u32_e64 v7, null, s13, v7, vcc_lo
	s_lshl_b64 s[6:7], s[50:51], 4
	s_lshl_b64 s[14:15], s[38:39], 3
	;; [unrolled: 1-line block ×4, first 2 shown]
	s_branch .LBB81_4
.LBB81_2:                               ;   in Loop: Header=BB81_4 Depth=1
	s_wait_alu 0xfffe
	s_or_b32 exec_lo, exec_lo, s29
.LBB81_3:                               ;   in Loop: Header=BB81_4 Depth=1
	s_add_co_i32 s20, s20, 0x10000
	s_wait_alu 0xfffe
	s_cmp_lt_i32 s20, s26
	s_cbranch_scc0 .LBB81_35
.LBB81_4:                               ; =>This Loop Header: Depth=1
                                        ;     Child Loop BB81_7 Depth 2
	s_and_not1_b32 vcc_lo, exec_lo, s28
	s_wait_alu 0xfffe
	s_cbranch_vccnz .LBB81_11
; %bb.5:                                ;   in Loop: Header=BB81_4 Depth=1
	v_mad_co_u64_u32 v[16:17], null, s14, s20, v[4:5]
	v_mad_co_u64_u32 v[18:19], null, s16, s20, v[6:7]
	v_mov_b32_e32 v12, 0
	v_dual_mov_b32 v13, 0 :: v_dual_mov_b32 v14, 0
	s_delay_alu instid0(VALU_DEP_4) | instskip(SKIP_1) | instid1(VALU_DEP_4)
	v_dual_mov_b32 v15, 0 :: v_dual_mov_b32 v8, v17
	s_mov_b64 s[24:25], 0
	v_mov_b32_e32 v9, v19
	s_delay_alu instid0(VALU_DEP_1)
	v_mad_co_u64_u32 v[19:20], null, s15, s20, v[8:9]
	v_mad_co_u64_u32 v[20:21], null, s17, s20, v[9:10]
	v_mov_b32_e32 v8, 0
	v_dual_mov_b32 v9, 0 :: v_dual_mov_b32 v10, 0
	v_mov_b32_e32 v11, 0
	v_mov_b32_e32 v17, v19
	;; [unrolled: 1-line block ×3, first 2 shown]
	s_branch .LBB81_7
.LBB81_6:                               ;   in Loop: Header=BB81_7 Depth=2
	s_wait_alu 0xfffe
	s_or_b32 exec_lo, exec_lo, s29
	s_wait_loadcnt 0x0
	ds_store_b64 v27, v[22:23]
	s_wait_dscnt 0x0
	s_barrier_signal -1
	s_barrier_wait -1
	global_inv scope:SCOPE_SE
	ds_load_b128 v[20:23], v29
	ds_load_2addr_b64 v[32:35], v28 offset1:16
	ds_load_b128 v[36:39], v29 offset:1024
	ds_load_b128 v[40:43], v29 offset:16
	;; [unrolled: 1-line block ×3, first 2 shown]
	s_add_nc_u64 s[24:25], s[24:25], 8
	v_add_co_u32 v16, vcc_lo, v16, s12
	s_wait_alu 0xfffe
	v_cmp_lt_i64_e64 s29, s[24:25], s[8:9]
	s_wait_alu 0xfffd
	v_add_co_ci_u32_e64 v17, null, s13, v17, vcc_lo
	v_add_co_u32 v18, vcc_lo, v18, 64
	s_wait_alu 0xfffd
	v_add_co_ci_u32_e64 v19, null, 0, v19, vcc_lo
	s_and_b32 vcc_lo, exec_lo, s29
	s_wait_dscnt 0x3
	v_fma_f64 v[14:15], v[32:33], v[20:21], v[14:15]
	v_fma_f64 v[12:13], v[34:35], v[20:21], v[12:13]
	s_wait_dscnt 0x2
	v_fma_f64 v[20:21], v[32:33], v[36:37], v[10:11]
	v_fma_f64 v[32:33], v[34:35], v[36:37], v[8:9]
	ds_load_2addr_b64 v[8:11], v28 offset0:32 offset1:48
	s_wait_dscnt 0x0
	v_fma_f64 v[14:15], v[8:9], v[22:23], v[14:15]
	v_fma_f64 v[12:13], v[10:11], v[22:23], v[12:13]
	v_fma_f64 v[20:21], v[8:9], v[38:39], v[20:21]
	v_fma_f64 v[22:23], v[10:11], v[38:39], v[32:33]
	ds_load_2addr_b64 v[8:11], v28 offset0:64 offset1:80
	s_wait_dscnt 0x0
	v_fma_f64 v[14:15], v[8:9], v[40:41], v[14:15]
	v_fma_f64 v[12:13], v[10:11], v[40:41], v[12:13]
	;; [unrolled: 6-line block ×3, first 2 shown]
	v_fma_f64 v[44:45], v[8:9], v[46:47], v[20:21]
	v_fma_f64 v[46:47], v[10:11], v[46:47], v[22:23]
	ds_load_b128 v[8:11], v29 offset:32
	ds_load_2addr_b64 v[12:15], v28 offset0:128 offset1:144
	ds_load_b128 v[20:23], v29 offset:1056
	ds_load_b128 v[32:35], v29 offset:48
	;; [unrolled: 1-line block ×3, first 2 shown]
	s_wait_dscnt 0x3
	v_fma_f64 v[40:41], v[12:13], v[8:9], v[40:41]
	v_fma_f64 v[8:9], v[14:15], v[8:9], v[42:43]
	s_wait_dscnt 0x2
	v_fma_f64 v[42:43], v[12:13], v[20:21], v[44:45]
	v_fma_f64 v[20:21], v[14:15], v[20:21], v[46:47]
	ds_load_2addr_b64 v[12:15], v28 offset0:160 offset1:176
	s_wait_dscnt 0x0
	v_fma_f64 v[40:41], v[12:13], v[10:11], v[40:41]
	v_fma_f64 v[44:45], v[14:15], v[10:11], v[8:9]
	;; [unrolled: 1-line block ×4, first 2 shown]
	ds_load_2addr_b64 v[8:11], v28 offset0:192 offset1:208
	ds_load_2addr_b64 v[20:23], v28 offset0:224 offset1:240
	s_wait_loadcnt_dscnt 0x0
	s_barrier_signal -1
	s_barrier_wait -1
	global_inv scope:SCOPE_SE
	v_fma_f64 v[40:41], v[8:9], v[32:33], v[40:41]
	v_fma_f64 v[32:33], v[10:11], v[32:33], v[44:45]
	;; [unrolled: 1-line block ×4, first 2 shown]
	s_delay_alu instid0(VALU_DEP_4) | instskip(NEXT) | instid1(VALU_DEP_4)
	v_fma_f64 v[14:15], v[20:21], v[34:35], v[40:41]
	v_fma_f64 v[12:13], v[22:23], v[34:35], v[32:33]
	s_delay_alu instid0(VALU_DEP_4) | instskip(NEXT) | instid1(VALU_DEP_4)
	v_fma_f64 v[10:11], v[20:21], v[38:39], v[8:9]
	v_fma_f64 v[8:9], v[22:23], v[38:39], v[36:37]
	s_wait_alu 0xfffe
	s_cbranch_vccz .LBB81_12
.LBB81_7:                               ;   Parent Loop BB81_4 Depth=1
                                        ; =>  This Inner Loop Header: Depth=2
	s_wait_alu 0xfffe
	v_add_co_u32 v20, s29, v25, s24
	s_wait_alu 0xf1ff
	v_add_co_ci_u32_e64 v21, null, 0, s25, s29
	s_delay_alu instid0(VALU_DEP_1)
	v_cmp_gt_i64_e32 vcc_lo, s[8:9], v[20:21]
	v_mov_b32_e32 v20, 0
	v_mov_b32_e32 v21, 0
	s_and_b32 s30, s0, vcc_lo
	s_wait_alu 0xfffe
	s_and_saveexec_b32 s29, s30
	s_cbranch_execz .LBB81_9
; %bb.8:                                ;   in Loop: Header=BB81_7 Depth=2
	global_load_b64 v[20:21], v[18:19], off
.LBB81_9:                               ;   in Loop: Header=BB81_7 Depth=2
	s_wait_alu 0xfffe
	s_or_b32 exec_lo, exec_lo, s29
	v_add_co_u32 v22, s29, v24, s24
	s_wait_alu 0xf1ff
	v_add_co_ci_u32_e64 v23, null, 0, s25, s29
	s_wait_loadcnt 0x0
	ds_store_b64 v26, v[20:21]
	v_cmp_gt_i64_e32 vcc_lo, s[8:9], v[22:23]
	v_mov_b32_e32 v22, 0
	v_mov_b32_e32 v23, 0
	s_and_b32 s30, vcc_lo, s1
	s_wait_alu 0xfffe
	s_and_saveexec_b32 s29, s30
	s_cbranch_execz .LBB81_6
; %bb.10:                               ;   in Loop: Header=BB81_7 Depth=2
	global_load_b64 v[22:23], v[16:17], off
	s_branch .LBB81_6
.LBB81_11:                              ;   in Loop: Header=BB81_4 Depth=1
	v_mov_b32_e32 v14, 0
	v_dual_mov_b32 v10, 0 :: v_dual_mov_b32 v15, 0
	v_dual_mov_b32 v12, 0 :: v_dual_mov_b32 v11, 0
	;; [unrolled: 1-line block ×3, first 2 shown]
	v_mov_b32_e32 v9, 0
.LBB81_12:                              ;   in Loop: Header=BB81_4 Depth=1
	s_mul_u64 s[24:25], s[22:23], s[20:21]
	s_and_not1_b32 vcc_lo, exec_lo, s27
	s_wait_alu 0xfffe
	s_lshl_b64 s[24:25], s[24:25], 3
	s_wait_alu 0xfffe
	s_add_nc_u64 s[24:25], s[48:49], s[24:25]
	s_cbranch_vccnz .LBB81_17
; %bb.13:                               ;   in Loop: Header=BB81_4 Depth=1
	s_and_saveexec_b32 s29, s2
	s_cbranch_execz .LBB81_24
; %bb.14:                               ;   in Loop: Header=BB81_4 Depth=1
	v_lshlrev_b64_e32 v[16:17], 3, v[0:1]
	s_wait_alu 0xfffe
	s_delay_alu instid0(VALU_DEP_1) | instskip(SKIP_1) | instid1(VALU_DEP_2)
	v_add_co_u32 v16, vcc_lo, s24, v16
	s_wait_alu 0xfffd
	v_add_co_ci_u32_e64 v17, null, s25, v17, vcc_lo
	s_and_saveexec_b32 s30, s3
	s_cbranch_execnz .LBB81_18
; %bb.15:                               ;   in Loop: Header=BB81_4 Depth=1
	s_wait_alu 0xfffe
	s_or_b32 exec_lo, exec_lo, s30
	s_and_saveexec_b32 s30, s4
	s_cbranch_execnz .LBB81_19
.LBB81_16:                              ;   in Loop: Header=BB81_4 Depth=1
	s_wait_alu 0xfffe
	s_or_b32 exec_lo, exec_lo, s30
	s_delay_alu instid0(SALU_CYCLE_1)
	s_and_b32 exec_lo, exec_lo, s5
	s_cbranch_execnz .LBB81_20
	s_branch .LBB81_24
.LBB81_17:                              ;   in Loop: Header=BB81_4 Depth=1
	s_branch .LBB81_25
.LBB81_18:                              ;   in Loop: Header=BB81_4 Depth=1
	v_mul_f64_e32 v[18:19], s[10:11], v[14:15]
	v_lshlrev_b64_e32 v[20:21], 3, v[2:3]
	s_delay_alu instid0(VALU_DEP_1) | instskip(SKIP_1) | instid1(VALU_DEP_2)
	v_add_co_u32 v20, vcc_lo, v16, v20
	s_wait_alu 0xfffd
	v_add_co_ci_u32_e64 v21, null, v17, v21, vcc_lo
	global_store_b64 v[20:21], v[18:19], off
	s_wait_alu 0xfffe
	s_or_b32 exec_lo, exec_lo, s30
	s_and_saveexec_b32 s30, s4
	s_cbranch_execz .LBB81_16
.LBB81_19:                              ;   in Loop: Header=BB81_4 Depth=1
	v_mul_f64_e32 v[18:19], s[10:11], v[12:13]
	v_lshlrev_b64_e32 v[20:21], 3, v[2:3]
	s_delay_alu instid0(VALU_DEP_1) | instskip(SKIP_1) | instid1(VALU_DEP_2)
	v_add_co_u32 v20, vcc_lo, v16, v20
	s_wait_alu 0xfffd
	v_add_co_ci_u32_e64 v21, null, v17, v21, vcc_lo
	global_store_b64 v[20:21], v[18:19], off offset:128
	s_wait_alu 0xfffe
	s_or_b32 exec_lo, exec_lo, s30
	s_delay_alu instid0(SALU_CYCLE_1)
	s_and_b32 exec_lo, exec_lo, s5
	s_cbranch_execz .LBB81_24
.LBB81_20:                              ;   in Loop: Header=BB81_4 Depth=1
	s_lshl_b64 s[30:31], s[6:7], 3
	v_lshlrev_b64_e32 v[18:19], 3, v[2:3]
	s_wait_alu 0xfffe
	v_add_co_u32 v16, vcc_lo, v16, s30
	s_wait_alu 0xfffd
	v_add_co_ci_u32_e64 v17, null, s31, v17, vcc_lo
	s_delay_alu instid0(VALU_DEP_2) | instskip(SKIP_1) | instid1(VALU_DEP_2)
	v_add_co_u32 v16, vcc_lo, v16, v18
	s_wait_alu 0xfffd
	v_add_co_ci_u32_e64 v17, null, v17, v19, vcc_lo
	s_and_saveexec_b32 s30, s3
	s_cbranch_execz .LBB81_22
; %bb.21:                               ;   in Loop: Header=BB81_4 Depth=1
	v_mul_f64_e32 v[18:19], s[10:11], v[10:11]
	global_store_b64 v[16:17], v[18:19], off
.LBB81_22:                              ;   in Loop: Header=BB81_4 Depth=1
	s_wait_alu 0xfffe
	s_or_b32 exec_lo, exec_lo, s30
	s_delay_alu instid0(SALU_CYCLE_1)
	s_and_b32 exec_lo, exec_lo, s4
	s_cbranch_execz .LBB81_24
; %bb.23:                               ;   in Loop: Header=BB81_4 Depth=1
	v_mul_f64_e32 v[18:19], s[10:11], v[8:9]
	global_store_b64 v[16:17], v[18:19], off offset:128
.LBB81_24:                              ;   in Loop: Header=BB81_4 Depth=1
	s_wait_alu 0xfffe
	s_or_b32 exec_lo, exec_lo, s29
	s_cbranch_execnz .LBB81_3
.LBB81_25:                              ;   in Loop: Header=BB81_4 Depth=1
	s_and_saveexec_b32 s29, s2
	s_cbranch_execz .LBB81_2
; %bb.26:                               ;   in Loop: Header=BB81_4 Depth=1
	s_mul_u64 s[30:31], s[46:47], s[20:21]
	v_lshlrev_b64_e32 v[20:21], 3, v[0:1]
	s_wait_alu 0xfffe
	s_lshl_b64 s[30:31], s[30:31], 3
	v_lshlrev_b64_e32 v[16:17], 3, v[2:3]
	s_wait_alu 0xfffe
	v_add_co_u32 v18, vcc_lo, v30, s30
	s_wait_alu 0xfffd
	v_add_co_ci_u32_e64 v19, null, s31, v31, vcc_lo
	v_add_co_u32 v20, vcc_lo, s24, v20
	s_wait_alu 0xfffd
	v_add_co_ci_u32_e64 v21, null, s25, v21, vcc_lo
	s_and_saveexec_b32 s24, s3
	s_cbranch_execnz .LBB81_29
; %bb.27:                               ;   in Loop: Header=BB81_4 Depth=1
	s_wait_alu 0xfffe
	s_or_b32 exec_lo, exec_lo, s24
	s_and_saveexec_b32 s24, s4
	s_cbranch_execnz .LBB81_30
.LBB81_28:                              ;   in Loop: Header=BB81_4 Depth=1
	s_wait_alu 0xfffe
	s_or_b32 exec_lo, exec_lo, s24
	s_delay_alu instid0(SALU_CYCLE_1)
	s_and_b32 exec_lo, exec_lo, s5
	s_cbranch_execz .LBB81_2
	s_branch .LBB81_31
.LBB81_29:                              ;   in Loop: Header=BB81_4 Depth=1
	v_add_co_u32 v22, vcc_lo, v18, v16
	s_wait_alu 0xfffd
	v_add_co_ci_u32_e64 v23, null, v19, v17, vcc_lo
	global_load_b64 v[22:23], v[22:23], off
	s_wait_loadcnt 0x0
	v_mul_f64_e32 v[22:23], s[40:41], v[22:23]
	s_delay_alu instid0(VALU_DEP_1)
	v_fma_f64 v[14:15], s[10:11], v[14:15], v[22:23]
	v_add_co_u32 v22, vcc_lo, v20, v16
	s_wait_alu 0xfffd
	v_add_co_ci_u32_e64 v23, null, v21, v17, vcc_lo
	global_store_b64 v[22:23], v[14:15], off
	s_wait_alu 0xfffe
	s_or_b32 exec_lo, exec_lo, s24
	s_and_saveexec_b32 s24, s4
	s_cbranch_execz .LBB81_28
.LBB81_30:                              ;   in Loop: Header=BB81_4 Depth=1
	v_add_co_u32 v14, vcc_lo, v18, v16
	s_wait_alu 0xfffd
	v_add_co_ci_u32_e64 v15, null, v19, v17, vcc_lo
	global_load_b64 v[14:15], v[14:15], off offset:128
	s_wait_loadcnt 0x0
	v_mul_f64_e32 v[14:15], s[40:41], v[14:15]
	s_delay_alu instid0(VALU_DEP_1)
	v_fma_f64 v[12:13], s[10:11], v[12:13], v[14:15]
	v_add_co_u32 v14, vcc_lo, v20, v16
	s_wait_alu 0xfffd
	v_add_co_ci_u32_e64 v15, null, v21, v17, vcc_lo
	global_store_b64 v[14:15], v[12:13], off offset:128
	s_wait_alu 0xfffe
	s_or_b32 exec_lo, exec_lo, s24
	s_delay_alu instid0(SALU_CYCLE_1)
	s_and_b32 exec_lo, exec_lo, s5
	s_cbranch_execz .LBB81_2
.LBB81_31:                              ;   in Loop: Header=BB81_4 Depth=1
	v_add_co_u32 v12, vcc_lo, v18, s18
	s_lshl_b64 s[24:25], s[6:7], 3
	s_wait_alu 0xfffd
	v_add_co_ci_u32_e64 v13, null, s19, v19, vcc_lo
	s_wait_alu 0xfffe
	v_add_co_u32 v14, vcc_lo, v20, s24
	s_wait_alu 0xfffd
	v_add_co_ci_u32_e64 v15, null, s25, v21, vcc_lo
	v_add_co_u32 v12, vcc_lo, v12, v16
	s_wait_alu 0xfffd
	v_add_co_ci_u32_e64 v13, null, v13, v17, vcc_lo
	;; [unrolled: 3-line block ×3, first 2 shown]
	s_and_saveexec_b32 s24, s3
	s_cbranch_execz .LBB81_33
; %bb.32:                               ;   in Loop: Header=BB81_4 Depth=1
	global_load_b64 v[16:17], v[12:13], off
	s_wait_loadcnt 0x0
	v_mul_f64_e32 v[16:17], s[40:41], v[16:17]
	s_delay_alu instid0(VALU_DEP_1)
	v_fma_f64 v[10:11], s[10:11], v[10:11], v[16:17]
	global_store_b64 v[14:15], v[10:11], off
.LBB81_33:                              ;   in Loop: Header=BB81_4 Depth=1
	s_wait_alu 0xfffe
	s_or_b32 exec_lo, exec_lo, s24
	s_delay_alu instid0(SALU_CYCLE_1)
	s_and_b32 exec_lo, exec_lo, s4
	s_cbranch_execz .LBB81_2
; %bb.34:                               ;   in Loop: Header=BB81_4 Depth=1
	global_load_b64 v[10:11], v[12:13], off offset:128
	s_wait_loadcnt 0x0
	v_mul_f64_e32 v[10:11], s[40:41], v[10:11]
	s_delay_alu instid0(VALU_DEP_1)
	v_fma_f64 v[8:9], s[10:11], v[8:9], v[10:11]
	global_store_b64 v[14:15], v[8:9], off offset:128
	s_branch .LBB81_2
.LBB81_35:
	s_endpgm
	.section	.rodata,"a",@progbits
	.p2align	6, 0x0
	.amdhsa_kernel _ZN12_GLOBAL__N_135rocblas_gemm_batched_general_kernelIdLi16ELi16ELi32ELi32ELi8ELi32ELi8ELi8ELi32ELc84ELc84EKdS1_dEEvlllT_PT11_llS4_llS2_PT12_llPT13_lli
		.amdhsa_group_segment_fixed_size 4096
		.amdhsa_private_segment_fixed_size 0
		.amdhsa_kernarg_size 140
		.amdhsa_user_sgpr_count 2
		.amdhsa_user_sgpr_dispatch_ptr 0
		.amdhsa_user_sgpr_queue_ptr 0
		.amdhsa_user_sgpr_kernarg_segment_ptr 1
		.amdhsa_user_sgpr_dispatch_id 0
		.amdhsa_user_sgpr_private_segment_size 0
		.amdhsa_wavefront_size32 1
		.amdhsa_uses_dynamic_stack 0
		.amdhsa_enable_private_segment 0
		.amdhsa_system_sgpr_workgroup_id_x 1
		.amdhsa_system_sgpr_workgroup_id_y 1
		.amdhsa_system_sgpr_workgroup_id_z 1
		.amdhsa_system_sgpr_workgroup_info 0
		.amdhsa_system_vgpr_workitem_id 1
		.amdhsa_next_free_vgpr 48
		.amdhsa_next_free_sgpr 52
		.amdhsa_reserve_vcc 1
		.amdhsa_float_round_mode_32 0
		.amdhsa_float_round_mode_16_64 0
		.amdhsa_float_denorm_mode_32 3
		.amdhsa_float_denorm_mode_16_64 3
		.amdhsa_fp16_overflow 0
		.amdhsa_workgroup_processor_mode 1
		.amdhsa_memory_ordered 1
		.amdhsa_forward_progress 1
		.amdhsa_inst_pref_size 19
		.amdhsa_round_robin_scheduling 0
		.amdhsa_exception_fp_ieee_invalid_op 0
		.amdhsa_exception_fp_denorm_src 0
		.amdhsa_exception_fp_ieee_div_zero 0
		.amdhsa_exception_fp_ieee_overflow 0
		.amdhsa_exception_fp_ieee_underflow 0
		.amdhsa_exception_fp_ieee_inexact 0
		.amdhsa_exception_int_div_zero 0
	.end_amdhsa_kernel
	.section	.text._ZN12_GLOBAL__N_135rocblas_gemm_batched_general_kernelIdLi16ELi16ELi32ELi32ELi8ELi32ELi8ELi8ELi32ELc84ELc84EKdS1_dEEvlllT_PT11_llS4_llS2_PT12_llPT13_lli,"axG",@progbits,_ZN12_GLOBAL__N_135rocblas_gemm_batched_general_kernelIdLi16ELi16ELi32ELi32ELi8ELi32ELi8ELi8ELi32ELc84ELc84EKdS1_dEEvlllT_PT11_llS4_llS2_PT12_llPT13_lli,comdat
.Lfunc_end81:
	.size	_ZN12_GLOBAL__N_135rocblas_gemm_batched_general_kernelIdLi16ELi16ELi32ELi32ELi8ELi32ELi8ELi8ELi32ELc84ELc84EKdS1_dEEvlllT_PT11_llS4_llS2_PT12_llPT13_lli, .Lfunc_end81-_ZN12_GLOBAL__N_135rocblas_gemm_batched_general_kernelIdLi16ELi16ELi32ELi32ELi8ELi32ELi8ELi8ELi32ELc84ELc84EKdS1_dEEvlllT_PT11_llS4_llS2_PT12_llPT13_lli
                                        ; -- End function
	.set _ZN12_GLOBAL__N_135rocblas_gemm_batched_general_kernelIdLi16ELi16ELi32ELi32ELi8ELi32ELi8ELi8ELi32ELc84ELc84EKdS1_dEEvlllT_PT11_llS4_llS2_PT12_llPT13_lli.num_vgpr, 48
	.set _ZN12_GLOBAL__N_135rocblas_gemm_batched_general_kernelIdLi16ELi16ELi32ELi32ELi8ELi32ELi8ELi8ELi32ELc84ELc84EKdS1_dEEvlllT_PT11_llS4_llS2_PT12_llPT13_lli.num_agpr, 0
	.set _ZN12_GLOBAL__N_135rocblas_gemm_batched_general_kernelIdLi16ELi16ELi32ELi32ELi8ELi32ELi8ELi8ELi32ELc84ELc84EKdS1_dEEvlllT_PT11_llS4_llS2_PT12_llPT13_lli.numbered_sgpr, 52
	.set _ZN12_GLOBAL__N_135rocblas_gemm_batched_general_kernelIdLi16ELi16ELi32ELi32ELi8ELi32ELi8ELi8ELi32ELc84ELc84EKdS1_dEEvlllT_PT11_llS4_llS2_PT12_llPT13_lli.num_named_barrier, 0
	.set _ZN12_GLOBAL__N_135rocblas_gemm_batched_general_kernelIdLi16ELi16ELi32ELi32ELi8ELi32ELi8ELi8ELi32ELc84ELc84EKdS1_dEEvlllT_PT11_llS4_llS2_PT12_llPT13_lli.private_seg_size, 0
	.set _ZN12_GLOBAL__N_135rocblas_gemm_batched_general_kernelIdLi16ELi16ELi32ELi32ELi8ELi32ELi8ELi8ELi32ELc84ELc84EKdS1_dEEvlllT_PT11_llS4_llS2_PT12_llPT13_lli.uses_vcc, 1
	.set _ZN12_GLOBAL__N_135rocblas_gemm_batched_general_kernelIdLi16ELi16ELi32ELi32ELi8ELi32ELi8ELi8ELi32ELc84ELc84EKdS1_dEEvlllT_PT11_llS4_llS2_PT12_llPT13_lli.uses_flat_scratch, 0
	.set _ZN12_GLOBAL__N_135rocblas_gemm_batched_general_kernelIdLi16ELi16ELi32ELi32ELi8ELi32ELi8ELi8ELi32ELc84ELc84EKdS1_dEEvlllT_PT11_llS4_llS2_PT12_llPT13_lli.has_dyn_sized_stack, 0
	.set _ZN12_GLOBAL__N_135rocblas_gemm_batched_general_kernelIdLi16ELi16ELi32ELi32ELi8ELi32ELi8ELi8ELi32ELc84ELc84EKdS1_dEEvlllT_PT11_llS4_llS2_PT12_llPT13_lli.has_recursion, 0
	.set _ZN12_GLOBAL__N_135rocblas_gemm_batched_general_kernelIdLi16ELi16ELi32ELi32ELi8ELi32ELi8ELi8ELi32ELc84ELc84EKdS1_dEEvlllT_PT11_llS4_llS2_PT12_llPT13_lli.has_indirect_call, 0
	.section	.AMDGPU.csdata,"",@progbits
; Kernel info:
; codeLenInByte = 2432
; TotalNumSgprs: 54
; NumVgprs: 48
; ScratchSize: 0
; MemoryBound: 0
; FloatMode: 240
; IeeeMode: 1
; LDSByteSize: 4096 bytes/workgroup (compile time only)
; SGPRBlocks: 0
; VGPRBlocks: 5
; NumSGPRsForWavesPerEU: 54
; NumVGPRsForWavesPerEU: 48
; Occupancy: 16
; WaveLimiterHint : 0
; COMPUTE_PGM_RSRC2:SCRATCH_EN: 0
; COMPUTE_PGM_RSRC2:USER_SGPR: 2
; COMPUTE_PGM_RSRC2:TRAP_HANDLER: 0
; COMPUTE_PGM_RSRC2:TGID_X_EN: 1
; COMPUTE_PGM_RSRC2:TGID_Y_EN: 1
; COMPUTE_PGM_RSRC2:TGID_Z_EN: 1
; COMPUTE_PGM_RSRC2:TIDIG_COMP_CNT: 1
	.section	.text._ZN12_GLOBAL__N_135rocblas_gemm_batched_general_kernelIdLi16ELi16ELi32ELi32ELi8ELi32ELi8ELi8ELi32ELc67ELc67EKdS1_dEEvlllT_PT11_llS4_llS2_PT12_llPT13_lli,"axG",@progbits,_ZN12_GLOBAL__N_135rocblas_gemm_batched_general_kernelIdLi16ELi16ELi32ELi32ELi8ELi32ELi8ELi8ELi32ELc67ELc67EKdS1_dEEvlllT_PT11_llS4_llS2_PT12_llPT13_lli,comdat
	.globl	_ZN12_GLOBAL__N_135rocblas_gemm_batched_general_kernelIdLi16ELi16ELi32ELi32ELi8ELi32ELi8ELi8ELi32ELc67ELc67EKdS1_dEEvlllT_PT11_llS4_llS2_PT12_llPT13_lli ; -- Begin function _ZN12_GLOBAL__N_135rocblas_gemm_batched_general_kernelIdLi16ELi16ELi32ELi32ELi8ELi32ELi8ELi8ELi32ELc67ELc67EKdS1_dEEvlllT_PT11_llS4_llS2_PT12_llPT13_lli
	.p2align	8
	.type	_ZN12_GLOBAL__N_135rocblas_gemm_batched_general_kernelIdLi16ELi16ELi32ELi32ELi8ELi32ELi8ELi8ELi32ELc67ELc67EKdS1_dEEvlllT_PT11_llS4_llS2_PT12_llPT13_lli,@function
_ZN12_GLOBAL__N_135rocblas_gemm_batched_general_kernelIdLi16ELi16ELi32ELi32ELi8ELi32ELi8ELi8ELi32ELc67ELc67EKdS1_dEEvlllT_PT11_llS4_llS2_PT12_llPT13_lli: ; @_ZN12_GLOBAL__N_135rocblas_gemm_batched_general_kernelIdLi16ELi16ELi32ELi32ELi8ELi32ELi8ELi8ELi32ELc67ELc67EKdS1_dEEvlllT_PT11_llS4_llS2_PT12_llPT13_lli
; %bb.0:
	s_load_b32 s26, s[0:1], 0x88
	s_lshr_b32 s20, ttmp7, 16
	s_wait_kmcnt 0x0
	s_cmp_ge_i32 s20, s26
	s_cbranch_scc1 .LBB82_35
; %bb.1:
	s_clause 0x1
	s_load_b512 s[4:19], s[0:1], 0x0
	s_load_b512 s[36:51], s[0:1], 0x40
	v_bfe_u32 v2, v0, 10, 10
	v_and_b32_e32 v3, 0x3ff, v0
	s_mov_b32 s2, ttmp9
	s_ashr_i32 s3, ttmp9, 31
	s_and_b32 s28, ttmp7, 0xffff
	s_lshl_b64 s[24:25], s[2:3], 5
	v_lshl_add_u32 v17, v2, 4, v3
	v_dual_mov_b32 v5, s25 :: v_dual_and_b32 v24, 7, v0
	s_lshl_b32 s2, s28, 5
	s_load_b64 s[22:23], s[0:1], 0x80
	s_delay_alu instid0(VALU_DEP_2)
	v_lshrrev_b32_e32 v6, 3, v17
	v_lshrrev_b32_e32 v25, 5, v17
	v_lshlrev_b32_e32 v8, 3, v24
	v_lshl_add_u32 v29, v2, 6, 0x800
	s_mov_b32 s21, 0
	s_wait_kmcnt 0x0
	s_lshl_b64 s[16:17], s[16:17], 3
	v_mad_co_u64_u32 v[9:10], null, s36, v24, 0
	v_and_b32_e32 v0, 31, v17
	v_cmp_eq_f64_e64 s27, s[40:41], 0
	s_lshl_b64 s[30:31], s[44:45], 4
	v_or_b32_e32 v4, s24, v0
	v_lshlrev_b32_e32 v7, 3, v0
	v_add_co_u32 v0, s0, v6, s2
	s_delay_alu instid0(VALU_DEP_1) | instskip(NEXT) | instid1(VALU_DEP_4)
	v_add_co_ci_u32_e64 v1, null, 0, 0, s0
	v_cmp_gt_i64_e64 s0, s[4:5], v[4:5]
	v_add_co_u32 v5, s2, s2, v2
	v_lshl_or_b32 v6, v6, 6, v8
	v_lshl_or_b32 v26, v25, 8, v7
	v_cmp_gt_i64_e64 s1, s[6:7], v[0:1]
	s_delay_alu instid0(VALU_DEP_4) | instskip(SKIP_4) | instid1(VALU_DEP_4)
	v_mad_co_u64_u32 v[7:8], null, v5, s44, 0
	v_mad_co_u64_u32 v[0:1], null, v5, s50, 0
	v_add_nc_u32_e32 v27, 0x800, v6
	s_wait_alu 0xf1ff
	v_add_co_ci_u32_e64 v6, null, 0, 0, s2
	v_mad_co_u64_u32 v[13:14], null, v5, s45, v[8:9]
	s_delay_alu instid0(VALU_DEP_2) | instskip(NEXT) | instid1(VALU_DEP_2)
	v_cmp_gt_i64_e64 s2, s[6:7], v[5:6]
	v_mov_b32_e32 v8, v13
	v_add_co_u32 v2, s3, s24, v3
	v_lshlrev_b32_e32 v28, 3, v3
	s_wait_alu 0xf1ff
	v_add_co_ci_u32_e64 v3, null, s25, 0, s3
	s_delay_alu instid0(VALU_DEP_3) | instskip(SKIP_4) | instid1(VALU_DEP_4)
	v_mad_co_u64_u32 v[14:15], null, v5, s51, v[1:2]
	v_mov_b32_e32 v1, v10
	v_add_co_u32 v11, vcc_lo, v2, 16
	v_lshlrev_b64_e32 v[7:8], 3, v[7:8]
	v_add_co_ci_u32_e64 v12, null, 0, v3, vcc_lo
	v_mad_co_u64_u32 v[15:16], null, s37, v24, v[1:2]
	v_add_co_u32 v5, vcc_lo, v5, 16
	s_wait_alu 0xfffd
	v_add_co_ci_u32_e64 v6, null, 0, v6, vcc_lo
	v_add_co_u32 v30, vcc_lo, s42, v7
	s_delay_alu instid0(VALU_DEP_4)
	v_mov_b32_e32 v10, v15
	v_cmp_gt_i64_e64 s3, s[4:5], v[2:3]
	v_cmp_gt_i64_e64 s4, s[4:5], v[11:12]
	;; [unrolled: 1-line block ×3, first 2 shown]
	s_wait_alu 0xfffd
	v_add_co_ci_u32_e64 v31, null, s43, v8, vcc_lo
	v_lshlrev_b64_e32 v[5:6], 3, v[9:10]
	v_mul_lo_u32 v9, s15, v4
	v_mad_co_u64_u32 v[7:8], null, s14, v4, 0
	s_lshl_b32 s15, s28, 8
	v_and_b32_e32 v4, 0x1ff8, v17
	s_mul_i32 s14, s14, s25
	s_wait_alu 0xfffe
	v_add_co_u32 v5, vcc_lo, v5, s15
	s_wait_alu 0xfffd
	v_add_co_ci_u32_e64 v6, null, 0, v6, vcc_lo
	v_add3_u32 v8, v8, s14, v9
	s_delay_alu instid0(VALU_DEP_3) | instskip(SKIP_1) | instid1(VALU_DEP_3)
	v_add_co_u32 v4, vcc_lo, v5, v4
	s_wait_alu 0xfffd
	v_add_co_ci_u32_e64 v5, null, 0, v6, vcc_lo
	s_delay_alu instid0(VALU_DEP_3) | instskip(SKIP_4) | instid1(VALU_DEP_3)
	v_lshlrev_b64_e32 v[6:7], 3, v[7:8]
	v_lshlrev_b32_e32 v8, 3, v25
	v_add_co_u32 v4, vcc_lo, s18, v4
	s_wait_alu 0xfffd
	v_add_co_ci_u32_e64 v5, null, s19, v5, vcc_lo
	v_add_co_u32 v6, vcc_lo, v6, v8
	s_wait_alu 0xfffd
	v_add_co_ci_u32_e64 v7, null, 0, v7, vcc_lo
	v_cmp_gt_i64_e64 s28, s[8:9], 0
	s_delay_alu instid0(VALU_DEP_3)
	v_add_co_u32 v6, vcc_lo, s12, v6
	v_mov_b32_e32 v1, v14
	s_wait_alu 0xfffd
	v_add_co_ci_u32_e64 v7, null, s13, v7, vcc_lo
	s_lshl_b64 s[6:7], s[50:51], 4
	s_lshl_b64 s[14:15], s[38:39], 3
	;; [unrolled: 1-line block ×4, first 2 shown]
	s_branch .LBB82_4
.LBB82_2:                               ;   in Loop: Header=BB82_4 Depth=1
	s_wait_alu 0xfffe
	s_or_b32 exec_lo, exec_lo, s29
.LBB82_3:                               ;   in Loop: Header=BB82_4 Depth=1
	s_add_co_i32 s20, s20, 0x10000
	s_wait_alu 0xfffe
	s_cmp_lt_i32 s20, s26
	s_cbranch_scc0 .LBB82_35
.LBB82_4:                               ; =>This Loop Header: Depth=1
                                        ;     Child Loop BB82_7 Depth 2
	s_and_not1_b32 vcc_lo, exec_lo, s28
	s_wait_alu 0xfffe
	s_cbranch_vccnz .LBB82_11
; %bb.5:                                ;   in Loop: Header=BB82_4 Depth=1
	v_mad_co_u64_u32 v[16:17], null, s14, s20, v[4:5]
	v_mad_co_u64_u32 v[18:19], null, s16, s20, v[6:7]
	v_mov_b32_e32 v12, 0
	v_dual_mov_b32 v13, 0 :: v_dual_mov_b32 v14, 0
	s_delay_alu instid0(VALU_DEP_4) | instskip(SKIP_1) | instid1(VALU_DEP_4)
	v_dual_mov_b32 v15, 0 :: v_dual_mov_b32 v8, v17
	s_mov_b64 s[24:25], 0
	v_mov_b32_e32 v9, v19
	s_delay_alu instid0(VALU_DEP_1)
	v_mad_co_u64_u32 v[19:20], null, s15, s20, v[8:9]
	v_mad_co_u64_u32 v[20:21], null, s17, s20, v[9:10]
	v_mov_b32_e32 v8, 0
	v_dual_mov_b32 v9, 0 :: v_dual_mov_b32 v10, 0
	v_mov_b32_e32 v11, 0
	v_mov_b32_e32 v17, v19
	;; [unrolled: 1-line block ×3, first 2 shown]
	s_branch .LBB82_7
.LBB82_6:                               ;   in Loop: Header=BB82_7 Depth=2
	s_wait_alu 0xfffe
	s_or_b32 exec_lo, exec_lo, s29
	s_wait_loadcnt 0x0
	ds_store_b64 v27, v[22:23]
	s_wait_dscnt 0x0
	s_barrier_signal -1
	s_barrier_wait -1
	global_inv scope:SCOPE_SE
	ds_load_b128 v[20:23], v29
	ds_load_2addr_b64 v[32:35], v28 offset1:16
	ds_load_b128 v[36:39], v29 offset:1024
	ds_load_b128 v[40:43], v29 offset:16
	;; [unrolled: 1-line block ×3, first 2 shown]
	s_add_nc_u64 s[24:25], s[24:25], 8
	v_add_co_u32 v16, vcc_lo, v16, s12
	s_wait_alu 0xfffe
	v_cmp_lt_i64_e64 s29, s[24:25], s[8:9]
	s_wait_alu 0xfffd
	v_add_co_ci_u32_e64 v17, null, s13, v17, vcc_lo
	v_add_co_u32 v18, vcc_lo, v18, 64
	s_wait_alu 0xfffd
	v_add_co_ci_u32_e64 v19, null, 0, v19, vcc_lo
	s_and_b32 vcc_lo, exec_lo, s29
	s_wait_dscnt 0x3
	v_fma_f64 v[14:15], v[32:33], v[20:21], v[14:15]
	v_fma_f64 v[12:13], v[34:35], v[20:21], v[12:13]
	s_wait_dscnt 0x2
	v_fma_f64 v[20:21], v[32:33], v[36:37], v[10:11]
	v_fma_f64 v[32:33], v[34:35], v[36:37], v[8:9]
	ds_load_2addr_b64 v[8:11], v28 offset0:32 offset1:48
	s_wait_dscnt 0x0
	v_fma_f64 v[14:15], v[8:9], v[22:23], v[14:15]
	v_fma_f64 v[12:13], v[10:11], v[22:23], v[12:13]
	v_fma_f64 v[20:21], v[8:9], v[38:39], v[20:21]
	v_fma_f64 v[22:23], v[10:11], v[38:39], v[32:33]
	ds_load_2addr_b64 v[8:11], v28 offset0:64 offset1:80
	s_wait_dscnt 0x0
	v_fma_f64 v[14:15], v[8:9], v[40:41], v[14:15]
	v_fma_f64 v[12:13], v[10:11], v[40:41], v[12:13]
	;; [unrolled: 6-line block ×3, first 2 shown]
	v_fma_f64 v[44:45], v[8:9], v[46:47], v[20:21]
	v_fma_f64 v[46:47], v[10:11], v[46:47], v[22:23]
	ds_load_b128 v[8:11], v29 offset:32
	ds_load_2addr_b64 v[12:15], v28 offset0:128 offset1:144
	ds_load_b128 v[20:23], v29 offset:1056
	ds_load_b128 v[32:35], v29 offset:48
	ds_load_b128 v[36:39], v29 offset:1072
	s_wait_dscnt 0x3
	v_fma_f64 v[40:41], v[12:13], v[8:9], v[40:41]
	v_fma_f64 v[8:9], v[14:15], v[8:9], v[42:43]
	s_wait_dscnt 0x2
	v_fma_f64 v[42:43], v[12:13], v[20:21], v[44:45]
	v_fma_f64 v[20:21], v[14:15], v[20:21], v[46:47]
	ds_load_2addr_b64 v[12:15], v28 offset0:160 offset1:176
	s_wait_dscnt 0x0
	v_fma_f64 v[40:41], v[12:13], v[10:11], v[40:41]
	v_fma_f64 v[44:45], v[14:15], v[10:11], v[8:9]
	;; [unrolled: 1-line block ×4, first 2 shown]
	ds_load_2addr_b64 v[8:11], v28 offset0:192 offset1:208
	ds_load_2addr_b64 v[20:23], v28 offset0:224 offset1:240
	s_wait_loadcnt_dscnt 0x0
	s_barrier_signal -1
	s_barrier_wait -1
	global_inv scope:SCOPE_SE
	v_fma_f64 v[40:41], v[8:9], v[32:33], v[40:41]
	v_fma_f64 v[32:33], v[10:11], v[32:33], v[44:45]
	;; [unrolled: 1-line block ×4, first 2 shown]
	s_delay_alu instid0(VALU_DEP_4) | instskip(NEXT) | instid1(VALU_DEP_4)
	v_fma_f64 v[14:15], v[20:21], v[34:35], v[40:41]
	v_fma_f64 v[12:13], v[22:23], v[34:35], v[32:33]
	s_delay_alu instid0(VALU_DEP_4) | instskip(NEXT) | instid1(VALU_DEP_4)
	v_fma_f64 v[10:11], v[20:21], v[38:39], v[8:9]
	v_fma_f64 v[8:9], v[22:23], v[38:39], v[36:37]
	s_wait_alu 0xfffe
	s_cbranch_vccz .LBB82_12
.LBB82_7:                               ;   Parent Loop BB82_4 Depth=1
                                        ; =>  This Inner Loop Header: Depth=2
	s_wait_alu 0xfffe
	v_add_co_u32 v20, s29, v25, s24
	s_wait_alu 0xf1ff
	v_add_co_ci_u32_e64 v21, null, 0, s25, s29
	s_delay_alu instid0(VALU_DEP_1)
	v_cmp_gt_i64_e32 vcc_lo, s[8:9], v[20:21]
	v_mov_b32_e32 v20, 0
	v_mov_b32_e32 v21, 0
	s_and_b32 s30, s0, vcc_lo
	s_wait_alu 0xfffe
	s_and_saveexec_b32 s29, s30
	s_cbranch_execz .LBB82_9
; %bb.8:                                ;   in Loop: Header=BB82_7 Depth=2
	global_load_b64 v[20:21], v[18:19], off
.LBB82_9:                               ;   in Loop: Header=BB82_7 Depth=2
	s_wait_alu 0xfffe
	s_or_b32 exec_lo, exec_lo, s29
	v_add_co_u32 v22, s29, v24, s24
	s_wait_alu 0xf1ff
	v_add_co_ci_u32_e64 v23, null, 0, s25, s29
	s_wait_loadcnt 0x0
	ds_store_b64 v26, v[20:21]
	v_cmp_gt_i64_e32 vcc_lo, s[8:9], v[22:23]
	v_mov_b32_e32 v22, 0
	v_mov_b32_e32 v23, 0
	s_and_b32 s30, vcc_lo, s1
	s_wait_alu 0xfffe
	s_and_saveexec_b32 s29, s30
	s_cbranch_execz .LBB82_6
; %bb.10:                               ;   in Loop: Header=BB82_7 Depth=2
	global_load_b64 v[22:23], v[16:17], off
	s_branch .LBB82_6
.LBB82_11:                              ;   in Loop: Header=BB82_4 Depth=1
	v_mov_b32_e32 v14, 0
	v_dual_mov_b32 v10, 0 :: v_dual_mov_b32 v15, 0
	v_dual_mov_b32 v12, 0 :: v_dual_mov_b32 v11, 0
	;; [unrolled: 1-line block ×3, first 2 shown]
	v_mov_b32_e32 v9, 0
.LBB82_12:                              ;   in Loop: Header=BB82_4 Depth=1
	s_mul_u64 s[24:25], s[22:23], s[20:21]
	s_and_not1_b32 vcc_lo, exec_lo, s27
	s_wait_alu 0xfffe
	s_lshl_b64 s[24:25], s[24:25], 3
	s_wait_alu 0xfffe
	s_add_nc_u64 s[24:25], s[48:49], s[24:25]
	s_cbranch_vccnz .LBB82_17
; %bb.13:                               ;   in Loop: Header=BB82_4 Depth=1
	s_and_saveexec_b32 s29, s2
	s_cbranch_execz .LBB82_24
; %bb.14:                               ;   in Loop: Header=BB82_4 Depth=1
	v_lshlrev_b64_e32 v[16:17], 3, v[0:1]
	s_wait_alu 0xfffe
	s_delay_alu instid0(VALU_DEP_1) | instskip(SKIP_1) | instid1(VALU_DEP_2)
	v_add_co_u32 v16, vcc_lo, s24, v16
	s_wait_alu 0xfffd
	v_add_co_ci_u32_e64 v17, null, s25, v17, vcc_lo
	s_and_saveexec_b32 s30, s3
	s_cbranch_execnz .LBB82_18
; %bb.15:                               ;   in Loop: Header=BB82_4 Depth=1
	s_wait_alu 0xfffe
	s_or_b32 exec_lo, exec_lo, s30
	s_and_saveexec_b32 s30, s4
	s_cbranch_execnz .LBB82_19
.LBB82_16:                              ;   in Loop: Header=BB82_4 Depth=1
	s_wait_alu 0xfffe
	s_or_b32 exec_lo, exec_lo, s30
	s_delay_alu instid0(SALU_CYCLE_1)
	s_and_b32 exec_lo, exec_lo, s5
	s_cbranch_execnz .LBB82_20
	s_branch .LBB82_24
.LBB82_17:                              ;   in Loop: Header=BB82_4 Depth=1
	s_branch .LBB82_25
.LBB82_18:                              ;   in Loop: Header=BB82_4 Depth=1
	v_mul_f64_e32 v[18:19], s[10:11], v[14:15]
	v_lshlrev_b64_e32 v[20:21], 3, v[2:3]
	s_delay_alu instid0(VALU_DEP_1) | instskip(SKIP_1) | instid1(VALU_DEP_2)
	v_add_co_u32 v20, vcc_lo, v16, v20
	s_wait_alu 0xfffd
	v_add_co_ci_u32_e64 v21, null, v17, v21, vcc_lo
	global_store_b64 v[20:21], v[18:19], off
	s_wait_alu 0xfffe
	s_or_b32 exec_lo, exec_lo, s30
	s_and_saveexec_b32 s30, s4
	s_cbranch_execz .LBB82_16
.LBB82_19:                              ;   in Loop: Header=BB82_4 Depth=1
	v_mul_f64_e32 v[18:19], s[10:11], v[12:13]
	v_lshlrev_b64_e32 v[20:21], 3, v[2:3]
	s_delay_alu instid0(VALU_DEP_1) | instskip(SKIP_1) | instid1(VALU_DEP_2)
	v_add_co_u32 v20, vcc_lo, v16, v20
	s_wait_alu 0xfffd
	v_add_co_ci_u32_e64 v21, null, v17, v21, vcc_lo
	global_store_b64 v[20:21], v[18:19], off offset:128
	s_wait_alu 0xfffe
	s_or_b32 exec_lo, exec_lo, s30
	s_delay_alu instid0(SALU_CYCLE_1)
	s_and_b32 exec_lo, exec_lo, s5
	s_cbranch_execz .LBB82_24
.LBB82_20:                              ;   in Loop: Header=BB82_4 Depth=1
	s_lshl_b64 s[30:31], s[6:7], 3
	v_lshlrev_b64_e32 v[18:19], 3, v[2:3]
	s_wait_alu 0xfffe
	v_add_co_u32 v16, vcc_lo, v16, s30
	s_wait_alu 0xfffd
	v_add_co_ci_u32_e64 v17, null, s31, v17, vcc_lo
	s_delay_alu instid0(VALU_DEP_2) | instskip(SKIP_1) | instid1(VALU_DEP_2)
	v_add_co_u32 v16, vcc_lo, v16, v18
	s_wait_alu 0xfffd
	v_add_co_ci_u32_e64 v17, null, v17, v19, vcc_lo
	s_and_saveexec_b32 s30, s3
	s_cbranch_execz .LBB82_22
; %bb.21:                               ;   in Loop: Header=BB82_4 Depth=1
	v_mul_f64_e32 v[18:19], s[10:11], v[10:11]
	global_store_b64 v[16:17], v[18:19], off
.LBB82_22:                              ;   in Loop: Header=BB82_4 Depth=1
	s_wait_alu 0xfffe
	s_or_b32 exec_lo, exec_lo, s30
	s_delay_alu instid0(SALU_CYCLE_1)
	s_and_b32 exec_lo, exec_lo, s4
	s_cbranch_execz .LBB82_24
; %bb.23:                               ;   in Loop: Header=BB82_4 Depth=1
	v_mul_f64_e32 v[18:19], s[10:11], v[8:9]
	global_store_b64 v[16:17], v[18:19], off offset:128
.LBB82_24:                              ;   in Loop: Header=BB82_4 Depth=1
	s_wait_alu 0xfffe
	s_or_b32 exec_lo, exec_lo, s29
	s_cbranch_execnz .LBB82_3
.LBB82_25:                              ;   in Loop: Header=BB82_4 Depth=1
	s_and_saveexec_b32 s29, s2
	s_cbranch_execz .LBB82_2
; %bb.26:                               ;   in Loop: Header=BB82_4 Depth=1
	s_mul_u64 s[30:31], s[46:47], s[20:21]
	v_lshlrev_b64_e32 v[20:21], 3, v[0:1]
	s_wait_alu 0xfffe
	s_lshl_b64 s[30:31], s[30:31], 3
	v_lshlrev_b64_e32 v[16:17], 3, v[2:3]
	s_wait_alu 0xfffe
	v_add_co_u32 v18, vcc_lo, v30, s30
	s_wait_alu 0xfffd
	v_add_co_ci_u32_e64 v19, null, s31, v31, vcc_lo
	v_add_co_u32 v20, vcc_lo, s24, v20
	s_wait_alu 0xfffd
	v_add_co_ci_u32_e64 v21, null, s25, v21, vcc_lo
	s_and_saveexec_b32 s24, s3
	s_cbranch_execnz .LBB82_29
; %bb.27:                               ;   in Loop: Header=BB82_4 Depth=1
	s_wait_alu 0xfffe
	s_or_b32 exec_lo, exec_lo, s24
	s_and_saveexec_b32 s24, s4
	s_cbranch_execnz .LBB82_30
.LBB82_28:                              ;   in Loop: Header=BB82_4 Depth=1
	s_wait_alu 0xfffe
	s_or_b32 exec_lo, exec_lo, s24
	s_delay_alu instid0(SALU_CYCLE_1)
	s_and_b32 exec_lo, exec_lo, s5
	s_cbranch_execz .LBB82_2
	s_branch .LBB82_31
.LBB82_29:                              ;   in Loop: Header=BB82_4 Depth=1
	v_add_co_u32 v22, vcc_lo, v18, v16
	s_wait_alu 0xfffd
	v_add_co_ci_u32_e64 v23, null, v19, v17, vcc_lo
	global_load_b64 v[22:23], v[22:23], off
	s_wait_loadcnt 0x0
	v_mul_f64_e32 v[22:23], s[40:41], v[22:23]
	s_delay_alu instid0(VALU_DEP_1)
	v_fma_f64 v[14:15], s[10:11], v[14:15], v[22:23]
	v_add_co_u32 v22, vcc_lo, v20, v16
	s_wait_alu 0xfffd
	v_add_co_ci_u32_e64 v23, null, v21, v17, vcc_lo
	global_store_b64 v[22:23], v[14:15], off
	s_wait_alu 0xfffe
	s_or_b32 exec_lo, exec_lo, s24
	s_and_saveexec_b32 s24, s4
	s_cbranch_execz .LBB82_28
.LBB82_30:                              ;   in Loop: Header=BB82_4 Depth=1
	v_add_co_u32 v14, vcc_lo, v18, v16
	s_wait_alu 0xfffd
	v_add_co_ci_u32_e64 v15, null, v19, v17, vcc_lo
	global_load_b64 v[14:15], v[14:15], off offset:128
	s_wait_loadcnt 0x0
	v_mul_f64_e32 v[14:15], s[40:41], v[14:15]
	s_delay_alu instid0(VALU_DEP_1)
	v_fma_f64 v[12:13], s[10:11], v[12:13], v[14:15]
	v_add_co_u32 v14, vcc_lo, v20, v16
	s_wait_alu 0xfffd
	v_add_co_ci_u32_e64 v15, null, v21, v17, vcc_lo
	global_store_b64 v[14:15], v[12:13], off offset:128
	s_wait_alu 0xfffe
	s_or_b32 exec_lo, exec_lo, s24
	s_delay_alu instid0(SALU_CYCLE_1)
	s_and_b32 exec_lo, exec_lo, s5
	s_cbranch_execz .LBB82_2
.LBB82_31:                              ;   in Loop: Header=BB82_4 Depth=1
	v_add_co_u32 v12, vcc_lo, v18, s18
	s_lshl_b64 s[24:25], s[6:7], 3
	s_wait_alu 0xfffd
	v_add_co_ci_u32_e64 v13, null, s19, v19, vcc_lo
	s_wait_alu 0xfffe
	v_add_co_u32 v14, vcc_lo, v20, s24
	s_wait_alu 0xfffd
	v_add_co_ci_u32_e64 v15, null, s25, v21, vcc_lo
	v_add_co_u32 v12, vcc_lo, v12, v16
	s_wait_alu 0xfffd
	v_add_co_ci_u32_e64 v13, null, v13, v17, vcc_lo
	;; [unrolled: 3-line block ×3, first 2 shown]
	s_and_saveexec_b32 s24, s3
	s_cbranch_execz .LBB82_33
; %bb.32:                               ;   in Loop: Header=BB82_4 Depth=1
	global_load_b64 v[16:17], v[12:13], off
	s_wait_loadcnt 0x0
	v_mul_f64_e32 v[16:17], s[40:41], v[16:17]
	s_delay_alu instid0(VALU_DEP_1)
	v_fma_f64 v[10:11], s[10:11], v[10:11], v[16:17]
	global_store_b64 v[14:15], v[10:11], off
.LBB82_33:                              ;   in Loop: Header=BB82_4 Depth=1
	s_wait_alu 0xfffe
	s_or_b32 exec_lo, exec_lo, s24
	s_delay_alu instid0(SALU_CYCLE_1)
	s_and_b32 exec_lo, exec_lo, s4
	s_cbranch_execz .LBB82_2
; %bb.34:                               ;   in Loop: Header=BB82_4 Depth=1
	global_load_b64 v[10:11], v[12:13], off offset:128
	s_wait_loadcnt 0x0
	v_mul_f64_e32 v[10:11], s[40:41], v[10:11]
	s_delay_alu instid0(VALU_DEP_1)
	v_fma_f64 v[8:9], s[10:11], v[8:9], v[10:11]
	global_store_b64 v[14:15], v[8:9], off offset:128
	s_branch .LBB82_2
.LBB82_35:
	s_endpgm
	.section	.rodata,"a",@progbits
	.p2align	6, 0x0
	.amdhsa_kernel _ZN12_GLOBAL__N_135rocblas_gemm_batched_general_kernelIdLi16ELi16ELi32ELi32ELi8ELi32ELi8ELi8ELi32ELc67ELc67EKdS1_dEEvlllT_PT11_llS4_llS2_PT12_llPT13_lli
		.amdhsa_group_segment_fixed_size 4096
		.amdhsa_private_segment_fixed_size 0
		.amdhsa_kernarg_size 140
		.amdhsa_user_sgpr_count 2
		.amdhsa_user_sgpr_dispatch_ptr 0
		.amdhsa_user_sgpr_queue_ptr 0
		.amdhsa_user_sgpr_kernarg_segment_ptr 1
		.amdhsa_user_sgpr_dispatch_id 0
		.amdhsa_user_sgpr_private_segment_size 0
		.amdhsa_wavefront_size32 1
		.amdhsa_uses_dynamic_stack 0
		.amdhsa_enable_private_segment 0
		.amdhsa_system_sgpr_workgroup_id_x 1
		.amdhsa_system_sgpr_workgroup_id_y 1
		.amdhsa_system_sgpr_workgroup_id_z 1
		.amdhsa_system_sgpr_workgroup_info 0
		.amdhsa_system_vgpr_workitem_id 1
		.amdhsa_next_free_vgpr 48
		.amdhsa_next_free_sgpr 52
		.amdhsa_reserve_vcc 1
		.amdhsa_float_round_mode_32 0
		.amdhsa_float_round_mode_16_64 0
		.amdhsa_float_denorm_mode_32 3
		.amdhsa_float_denorm_mode_16_64 3
		.amdhsa_fp16_overflow 0
		.amdhsa_workgroup_processor_mode 1
		.amdhsa_memory_ordered 1
		.amdhsa_forward_progress 1
		.amdhsa_inst_pref_size 19
		.amdhsa_round_robin_scheduling 0
		.amdhsa_exception_fp_ieee_invalid_op 0
		.amdhsa_exception_fp_denorm_src 0
		.amdhsa_exception_fp_ieee_div_zero 0
		.amdhsa_exception_fp_ieee_overflow 0
		.amdhsa_exception_fp_ieee_underflow 0
		.amdhsa_exception_fp_ieee_inexact 0
		.amdhsa_exception_int_div_zero 0
	.end_amdhsa_kernel
	.section	.text._ZN12_GLOBAL__N_135rocblas_gemm_batched_general_kernelIdLi16ELi16ELi32ELi32ELi8ELi32ELi8ELi8ELi32ELc67ELc67EKdS1_dEEvlllT_PT11_llS4_llS2_PT12_llPT13_lli,"axG",@progbits,_ZN12_GLOBAL__N_135rocblas_gemm_batched_general_kernelIdLi16ELi16ELi32ELi32ELi8ELi32ELi8ELi8ELi32ELc67ELc67EKdS1_dEEvlllT_PT11_llS4_llS2_PT12_llPT13_lli,comdat
.Lfunc_end82:
	.size	_ZN12_GLOBAL__N_135rocblas_gemm_batched_general_kernelIdLi16ELi16ELi32ELi32ELi8ELi32ELi8ELi8ELi32ELc67ELc67EKdS1_dEEvlllT_PT11_llS4_llS2_PT12_llPT13_lli, .Lfunc_end82-_ZN12_GLOBAL__N_135rocblas_gemm_batched_general_kernelIdLi16ELi16ELi32ELi32ELi8ELi32ELi8ELi8ELi32ELc67ELc67EKdS1_dEEvlllT_PT11_llS4_llS2_PT12_llPT13_lli
                                        ; -- End function
	.set _ZN12_GLOBAL__N_135rocblas_gemm_batched_general_kernelIdLi16ELi16ELi32ELi32ELi8ELi32ELi8ELi8ELi32ELc67ELc67EKdS1_dEEvlllT_PT11_llS4_llS2_PT12_llPT13_lli.num_vgpr, 48
	.set _ZN12_GLOBAL__N_135rocblas_gemm_batched_general_kernelIdLi16ELi16ELi32ELi32ELi8ELi32ELi8ELi8ELi32ELc67ELc67EKdS1_dEEvlllT_PT11_llS4_llS2_PT12_llPT13_lli.num_agpr, 0
	.set _ZN12_GLOBAL__N_135rocblas_gemm_batched_general_kernelIdLi16ELi16ELi32ELi32ELi8ELi32ELi8ELi8ELi32ELc67ELc67EKdS1_dEEvlllT_PT11_llS4_llS2_PT12_llPT13_lli.numbered_sgpr, 52
	.set _ZN12_GLOBAL__N_135rocblas_gemm_batched_general_kernelIdLi16ELi16ELi32ELi32ELi8ELi32ELi8ELi8ELi32ELc67ELc67EKdS1_dEEvlllT_PT11_llS4_llS2_PT12_llPT13_lli.num_named_barrier, 0
	.set _ZN12_GLOBAL__N_135rocblas_gemm_batched_general_kernelIdLi16ELi16ELi32ELi32ELi8ELi32ELi8ELi8ELi32ELc67ELc67EKdS1_dEEvlllT_PT11_llS4_llS2_PT12_llPT13_lli.private_seg_size, 0
	.set _ZN12_GLOBAL__N_135rocblas_gemm_batched_general_kernelIdLi16ELi16ELi32ELi32ELi8ELi32ELi8ELi8ELi32ELc67ELc67EKdS1_dEEvlllT_PT11_llS4_llS2_PT12_llPT13_lli.uses_vcc, 1
	.set _ZN12_GLOBAL__N_135rocblas_gemm_batched_general_kernelIdLi16ELi16ELi32ELi32ELi8ELi32ELi8ELi8ELi32ELc67ELc67EKdS1_dEEvlllT_PT11_llS4_llS2_PT12_llPT13_lli.uses_flat_scratch, 0
	.set _ZN12_GLOBAL__N_135rocblas_gemm_batched_general_kernelIdLi16ELi16ELi32ELi32ELi8ELi32ELi8ELi8ELi32ELc67ELc67EKdS1_dEEvlllT_PT11_llS4_llS2_PT12_llPT13_lli.has_dyn_sized_stack, 0
	.set _ZN12_GLOBAL__N_135rocblas_gemm_batched_general_kernelIdLi16ELi16ELi32ELi32ELi8ELi32ELi8ELi8ELi32ELc67ELc67EKdS1_dEEvlllT_PT11_llS4_llS2_PT12_llPT13_lli.has_recursion, 0
	.set _ZN12_GLOBAL__N_135rocblas_gemm_batched_general_kernelIdLi16ELi16ELi32ELi32ELi8ELi32ELi8ELi8ELi32ELc67ELc67EKdS1_dEEvlllT_PT11_llS4_llS2_PT12_llPT13_lli.has_indirect_call, 0
	.section	.AMDGPU.csdata,"",@progbits
; Kernel info:
; codeLenInByte = 2432
; TotalNumSgprs: 54
; NumVgprs: 48
; ScratchSize: 0
; MemoryBound: 0
; FloatMode: 240
; IeeeMode: 1
; LDSByteSize: 4096 bytes/workgroup (compile time only)
; SGPRBlocks: 0
; VGPRBlocks: 5
; NumSGPRsForWavesPerEU: 54
; NumVGPRsForWavesPerEU: 48
; Occupancy: 16
; WaveLimiterHint : 0
; COMPUTE_PGM_RSRC2:SCRATCH_EN: 0
; COMPUTE_PGM_RSRC2:USER_SGPR: 2
; COMPUTE_PGM_RSRC2:TRAP_HANDLER: 0
; COMPUTE_PGM_RSRC2:TGID_X_EN: 1
; COMPUTE_PGM_RSRC2:TGID_Y_EN: 1
; COMPUTE_PGM_RSRC2:TGID_Z_EN: 1
; COMPUTE_PGM_RSRC2:TIDIG_COMP_CNT: 1
	.section	.text._ZN12_GLOBAL__N_135rocblas_gemm_batched_general_kernelIdLi16ELi16ELi32ELi32ELi8ELi32ELi8ELi8ELi32ELc67ELc78EKdS1_dEEvlllT_PT11_llS4_llS2_PT12_llPT13_lli,"axG",@progbits,_ZN12_GLOBAL__N_135rocblas_gemm_batched_general_kernelIdLi16ELi16ELi32ELi32ELi8ELi32ELi8ELi8ELi32ELc67ELc78EKdS1_dEEvlllT_PT11_llS4_llS2_PT12_llPT13_lli,comdat
	.globl	_ZN12_GLOBAL__N_135rocblas_gemm_batched_general_kernelIdLi16ELi16ELi32ELi32ELi8ELi32ELi8ELi8ELi32ELc67ELc78EKdS1_dEEvlllT_PT11_llS4_llS2_PT12_llPT13_lli ; -- Begin function _ZN12_GLOBAL__N_135rocblas_gemm_batched_general_kernelIdLi16ELi16ELi32ELi32ELi8ELi32ELi8ELi8ELi32ELc67ELc78EKdS1_dEEvlllT_PT11_llS4_llS2_PT12_llPT13_lli
	.p2align	8
	.type	_ZN12_GLOBAL__N_135rocblas_gemm_batched_general_kernelIdLi16ELi16ELi32ELi32ELi8ELi32ELi8ELi8ELi32ELc67ELc78EKdS1_dEEvlllT_PT11_llS4_llS2_PT12_llPT13_lli,@function
_ZN12_GLOBAL__N_135rocblas_gemm_batched_general_kernelIdLi16ELi16ELi32ELi32ELi8ELi32ELi8ELi8ELi32ELc67ELc78EKdS1_dEEvlllT_PT11_llS4_llS2_PT12_llPT13_lli: ; @_ZN12_GLOBAL__N_135rocblas_gemm_batched_general_kernelIdLi16ELi16ELi32ELi32ELi8ELi32ELi8ELi8ELi32ELc67ELc78EKdS1_dEEvlllT_PT11_llS4_llS2_PT12_llPT13_lli
; %bb.0:
	s_load_b32 s26, s[0:1], 0x88
	s_lshr_b32 s20, ttmp7, 16
	s_wait_kmcnt 0x0
	s_cmp_ge_i32 s20, s26
	s_cbranch_scc1 .LBB83_35
; %bb.1:
	v_bfe_u32 v2, v0, 10, 10
	v_and_b32_e32 v3, 0x3ff, v0
	s_clause 0x1
	s_load_b512 s[4:19], s[0:1], 0x0
	s_load_b512 s[36:51], s[0:1], 0x40
	s_mov_b32 s2, ttmp9
	s_ashr_i32 s3, ttmp9, 31
	s_load_b64 s[22:23], s[0:1], 0x80
	v_lshl_add_u32 v1, v2, 4, v3
	s_lshl_b64 s[24:25], s[2:3], 5
	s_delay_alu instid0(SALU_CYCLE_1) | instskip(SKIP_1) | instid1(VALU_DEP_2)
	v_dual_mov_b32 v5, s25 :: v_dual_and_b32 v24, 7, v0
	s_and_b32 s0, ttmp7, 0xffff
	v_and_b32_e32 v0, 31, v1
	v_lshrrev_b32_e32 v25, 5, v1
	v_lshrrev_b32_e32 v1, 3, v1
	s_lshl_b32 s2, s0, 5
	v_lshl_add_u32 v29, v2, 6, 0x800
	v_or_b32_e32 v4, s24, v0
	s_mov_b32 s21, 0
	v_add_co_u32 v6, s0, v1, s2
	s_delay_alu instid0(VALU_DEP_1) | instskip(SKIP_2) | instid1(VALU_DEP_3)
	v_add_co_ci_u32_e64 v7, null, 0, 0, s0
	s_wait_kmcnt 0x0
	v_cmp_gt_i64_e64 s0, s[4:5], v[4:5]
	v_mad_co_u64_u32 v[11:12], null, s36, v6, 0
	v_lshlrev_b32_e32 v0, 3, v0
	v_cmp_gt_i64_e64 s1, s[6:7], v[6:7]
	v_add_co_u32 v7, s2, s2, v2
	s_wait_alu 0xf1ff
	v_add_co_ci_u32_e64 v8, null, 0, 0, s2
	v_mov_b32_e32 v5, v12
	v_lshl_or_b32 v26, v25, 8, v0
	v_add_co_u32 v2, s2, s24, v3
	v_mad_co_u64_u32 v[9:10], null, v7, s44, 0
	s_delay_alu instid0(VALU_DEP_4) | instskip(SKIP_1) | instid1(VALU_DEP_4)
	v_mad_co_u64_u32 v[5:6], null, s37, v6, v[5:6]
	v_lshlrev_b32_e32 v17, 3, v24
	v_add_co_u32 v13, vcc_lo, v2, 16
	v_cmp_eq_f64_e64 s27, s[40:41], 0
	v_cmp_gt_i64_e64 s24, s[8:9], 0
	s_delay_alu instid0(VALU_DEP_4) | instskip(SKIP_1) | instid1(VALU_DEP_1)
	v_lshl_or_b32 v1, v1, 6, v17
	s_lshl_b64 s[28:29], s[44:45], 4
	v_add_nc_u32_e32 v27, 0x800, v1
	v_mad_co_u64_u32 v[0:1], null, v7, s50, 0
	s_delay_alu instid0(VALU_DEP_1) | instskip(SKIP_4) | instid1(VALU_DEP_3)
	v_mad_co_u64_u32 v[15:16], null, v7, s51, v[1:2]
	v_lshlrev_b32_e32 v28, 3, v3
	v_add_co_ci_u32_e64 v3, null, s25, 0, s2
	v_mov_b32_e32 v1, v10
	v_cmp_gt_i64_e64 s2, s[6:7], v[7:8]
	v_add_co_ci_u32_e64 v14, null, 0, v3, vcc_lo
	v_cmp_gt_i64_e64 s3, s[4:5], v[2:3]
	v_add_co_u32 v6, vcc_lo, v7, 16
	s_delay_alu instid0(VALU_DEP_3)
	v_cmp_gt_i64_e64 s4, s[4:5], v[13:14]
	v_mad_co_u64_u32 v[12:13], null, v7, s45, v[1:2]
	s_wait_alu 0xfffd
	v_add_co_ci_u32_e64 v7, null, 0, v8, vcc_lo
	v_mul_lo_u32 v8, s15, v4
	v_mad_co_u64_u32 v[13:14], null, s14, v4, 0
	s_mul_i32 s14, s14, s25
	v_mov_b32_e32 v10, v12
	v_mov_b32_e32 v12, v5
	v_cmp_gt_i64_e64 s5, s[6:7], v[6:7]
	v_mov_b32_e32 v1, v15
	s_lshl_b64 s[6:7], s[50:51], 4
	v_lshlrev_b64_e32 v[4:5], 3, v[9:10]
	s_wait_alu 0xfffe
	v_add3_u32 v14, v14, s14, v8
	v_lshlrev_b64_e32 v[6:7], 3, v[11:12]
	v_lshlrev_b32_e32 v8, 3, v25
	s_lshl_b64 s[14:15], s[16:17], 3
	s_lshl_b64 s[16:17], s[28:29], 3
	v_add_co_u32 v30, vcc_lo, s42, v4
	s_wait_alu 0xfffd
	v_add_co_ci_u32_e64 v31, null, s43, v5, vcc_lo
	v_lshlrev_b64_e32 v[4:5], 3, v[13:14]
	v_add_co_u32 v6, vcc_lo, v6, v17
	s_wait_alu 0xfffd
	v_add_co_ci_u32_e64 v7, null, 0, v7, vcc_lo
	s_delay_alu instid0(VALU_DEP_3)
	v_add_co_u32 v8, vcc_lo, v4, v8
	s_wait_alu 0xfffd
	v_add_co_ci_u32_e64 v9, null, 0, v5, vcc_lo
	v_add_co_u32 v4, vcc_lo, s18, v6
	s_wait_alu 0xfffd
	v_add_co_ci_u32_e64 v5, null, s19, v7, vcc_lo
	;; [unrolled: 3-line block ×3, first 2 shown]
	s_lshl_b64 s[12:13], s[38:39], 3
	s_branch .LBB83_4
.LBB83_2:                               ;   in Loop: Header=BB83_4 Depth=1
	s_wait_alu 0xfffe
	s_or_b32 exec_lo, exec_lo, s25
.LBB83_3:                               ;   in Loop: Header=BB83_4 Depth=1
	s_add_co_i32 s20, s20, 0x10000
	s_wait_alu 0xfffe
	s_cmp_lt_i32 s20, s26
	s_cbranch_scc0 .LBB83_35
.LBB83_4:                               ; =>This Loop Header: Depth=1
                                        ;     Child Loop BB83_7 Depth 2
	s_and_not1_b32 vcc_lo, exec_lo, s24
	s_wait_alu 0xfffe
	s_cbranch_vccnz .LBB83_11
; %bb.5:                                ;   in Loop: Header=BB83_4 Depth=1
	v_mad_co_u64_u32 v[16:17], null, s12, s20, v[4:5]
	v_mad_co_u64_u32 v[18:19], null, s14, s20, v[6:7]
	v_mov_b32_e32 v12, 0
	v_dual_mov_b32 v13, 0 :: v_dual_mov_b32 v14, 0
	s_delay_alu instid0(VALU_DEP_4) | instskip(SKIP_1) | instid1(VALU_DEP_4)
	v_dual_mov_b32 v15, 0 :: v_dual_mov_b32 v8, v17
	s_mov_b64 s[18:19], 0
	v_mov_b32_e32 v9, v19
	s_delay_alu instid0(VALU_DEP_1)
	v_mad_co_u64_u32 v[19:20], null, s13, s20, v[8:9]
	v_mad_co_u64_u32 v[20:21], null, s15, s20, v[9:10]
	v_mov_b32_e32 v8, 0
	v_dual_mov_b32 v9, 0 :: v_dual_mov_b32 v10, 0
	v_mov_b32_e32 v11, 0
	v_mov_b32_e32 v17, v19
	;; [unrolled: 1-line block ×3, first 2 shown]
	s_branch .LBB83_7
.LBB83_6:                               ;   in Loop: Header=BB83_7 Depth=2
	s_wait_alu 0xfffe
	s_or_b32 exec_lo, exec_lo, s25
	s_wait_loadcnt 0x0
	ds_store_b64 v27, v[22:23]
	s_wait_dscnt 0x0
	s_barrier_signal -1
	s_barrier_wait -1
	global_inv scope:SCOPE_SE
	ds_load_b128 v[20:23], v29
	ds_load_2addr_b64 v[32:35], v28 offset1:16
	ds_load_b128 v[36:39], v29 offset:1024
	ds_load_b128 v[40:43], v29 offset:16
	;; [unrolled: 1-line block ×3, first 2 shown]
	s_add_nc_u64 s[18:19], s[18:19], 8
	v_add_co_u32 v16, vcc_lo, v16, 64
	s_wait_alu 0xfffe
	v_cmp_lt_i64_e64 s25, s[18:19], s[8:9]
	s_wait_alu 0xfffd
	v_add_co_ci_u32_e64 v17, null, 0, v17, vcc_lo
	v_add_co_u32 v18, vcc_lo, v18, 64
	s_wait_alu 0xfffd
	v_add_co_ci_u32_e64 v19, null, 0, v19, vcc_lo
	s_and_b32 vcc_lo, exec_lo, s25
	s_wait_dscnt 0x3
	v_fma_f64 v[14:15], v[32:33], v[20:21], v[14:15]
	v_fma_f64 v[12:13], v[34:35], v[20:21], v[12:13]
	s_wait_dscnt 0x2
	v_fma_f64 v[20:21], v[32:33], v[36:37], v[10:11]
	v_fma_f64 v[32:33], v[34:35], v[36:37], v[8:9]
	ds_load_2addr_b64 v[8:11], v28 offset0:32 offset1:48
	s_wait_dscnt 0x0
	v_fma_f64 v[14:15], v[8:9], v[22:23], v[14:15]
	v_fma_f64 v[12:13], v[10:11], v[22:23], v[12:13]
	v_fma_f64 v[20:21], v[8:9], v[38:39], v[20:21]
	v_fma_f64 v[22:23], v[10:11], v[38:39], v[32:33]
	ds_load_2addr_b64 v[8:11], v28 offset0:64 offset1:80
	s_wait_dscnt 0x0
	v_fma_f64 v[14:15], v[8:9], v[40:41], v[14:15]
	v_fma_f64 v[12:13], v[10:11], v[40:41], v[12:13]
	;; [unrolled: 6-line block ×3, first 2 shown]
	v_fma_f64 v[44:45], v[8:9], v[46:47], v[20:21]
	v_fma_f64 v[46:47], v[10:11], v[46:47], v[22:23]
	ds_load_b128 v[8:11], v29 offset:32
	ds_load_2addr_b64 v[12:15], v28 offset0:128 offset1:144
	ds_load_b128 v[20:23], v29 offset:1056
	ds_load_b128 v[32:35], v29 offset:48
	;; [unrolled: 1-line block ×3, first 2 shown]
	s_wait_dscnt 0x3
	v_fma_f64 v[40:41], v[12:13], v[8:9], v[40:41]
	v_fma_f64 v[8:9], v[14:15], v[8:9], v[42:43]
	s_wait_dscnt 0x2
	v_fma_f64 v[42:43], v[12:13], v[20:21], v[44:45]
	v_fma_f64 v[20:21], v[14:15], v[20:21], v[46:47]
	ds_load_2addr_b64 v[12:15], v28 offset0:160 offset1:176
	s_wait_dscnt 0x0
	v_fma_f64 v[40:41], v[12:13], v[10:11], v[40:41]
	v_fma_f64 v[44:45], v[14:15], v[10:11], v[8:9]
	;; [unrolled: 1-line block ×4, first 2 shown]
	ds_load_2addr_b64 v[8:11], v28 offset0:192 offset1:208
	ds_load_2addr_b64 v[20:23], v28 offset0:224 offset1:240
	s_wait_loadcnt_dscnt 0x0
	s_barrier_signal -1
	s_barrier_wait -1
	global_inv scope:SCOPE_SE
	v_fma_f64 v[40:41], v[8:9], v[32:33], v[40:41]
	v_fma_f64 v[32:33], v[10:11], v[32:33], v[44:45]
	v_fma_f64 v[8:9], v[8:9], v[36:37], v[12:13]
	v_fma_f64 v[36:37], v[10:11], v[36:37], v[14:15]
	s_delay_alu instid0(VALU_DEP_4) | instskip(NEXT) | instid1(VALU_DEP_4)
	v_fma_f64 v[14:15], v[20:21], v[34:35], v[40:41]
	v_fma_f64 v[12:13], v[22:23], v[34:35], v[32:33]
	s_delay_alu instid0(VALU_DEP_4) | instskip(NEXT) | instid1(VALU_DEP_4)
	v_fma_f64 v[10:11], v[20:21], v[38:39], v[8:9]
	v_fma_f64 v[8:9], v[22:23], v[38:39], v[36:37]
	s_wait_alu 0xfffe
	s_cbranch_vccz .LBB83_12
.LBB83_7:                               ;   Parent Loop BB83_4 Depth=1
                                        ; =>  This Inner Loop Header: Depth=2
	s_wait_alu 0xfffe
	v_add_co_u32 v20, s25, v25, s18
	s_wait_alu 0xf1ff
	v_add_co_ci_u32_e64 v21, null, 0, s19, s25
	s_delay_alu instid0(VALU_DEP_1)
	v_cmp_gt_i64_e32 vcc_lo, s[8:9], v[20:21]
	v_mov_b32_e32 v20, 0
	v_mov_b32_e32 v21, 0
	s_and_b32 s28, s0, vcc_lo
	s_wait_alu 0xfffe
	s_and_saveexec_b32 s25, s28
	s_cbranch_execz .LBB83_9
; %bb.8:                                ;   in Loop: Header=BB83_7 Depth=2
	global_load_b64 v[20:21], v[18:19], off
.LBB83_9:                               ;   in Loop: Header=BB83_7 Depth=2
	s_wait_alu 0xfffe
	s_or_b32 exec_lo, exec_lo, s25
	v_add_co_u32 v22, s25, v24, s18
	s_wait_alu 0xf1ff
	v_add_co_ci_u32_e64 v23, null, 0, s19, s25
	s_wait_loadcnt 0x0
	ds_store_b64 v26, v[20:21]
	v_cmp_gt_i64_e32 vcc_lo, s[8:9], v[22:23]
	v_mov_b32_e32 v22, 0
	v_mov_b32_e32 v23, 0
	s_and_b32 s28, vcc_lo, s1
	s_wait_alu 0xfffe
	s_and_saveexec_b32 s25, s28
	s_cbranch_execz .LBB83_6
; %bb.10:                               ;   in Loop: Header=BB83_7 Depth=2
	global_load_b64 v[22:23], v[16:17], off
	s_branch .LBB83_6
.LBB83_11:                              ;   in Loop: Header=BB83_4 Depth=1
	v_mov_b32_e32 v14, 0
	v_dual_mov_b32 v10, 0 :: v_dual_mov_b32 v15, 0
	v_dual_mov_b32 v12, 0 :: v_dual_mov_b32 v11, 0
	;; [unrolled: 1-line block ×3, first 2 shown]
	v_mov_b32_e32 v9, 0
.LBB83_12:                              ;   in Loop: Header=BB83_4 Depth=1
	s_mul_u64 s[18:19], s[22:23], s[20:21]
	s_and_not1_b32 vcc_lo, exec_lo, s27
	s_wait_alu 0xfffe
	s_lshl_b64 s[18:19], s[18:19], 3
	s_wait_alu 0xfffe
	s_add_nc_u64 s[18:19], s[48:49], s[18:19]
	s_cbranch_vccnz .LBB83_17
; %bb.13:                               ;   in Loop: Header=BB83_4 Depth=1
	s_and_saveexec_b32 s25, s2
	s_cbranch_execz .LBB83_24
; %bb.14:                               ;   in Loop: Header=BB83_4 Depth=1
	v_lshlrev_b64_e32 v[16:17], 3, v[0:1]
	s_wait_alu 0xfffe
	s_delay_alu instid0(VALU_DEP_1) | instskip(SKIP_1) | instid1(VALU_DEP_2)
	v_add_co_u32 v16, vcc_lo, s18, v16
	s_wait_alu 0xfffd
	v_add_co_ci_u32_e64 v17, null, s19, v17, vcc_lo
	s_and_saveexec_b32 s28, s3
	s_cbranch_execnz .LBB83_18
; %bb.15:                               ;   in Loop: Header=BB83_4 Depth=1
	s_wait_alu 0xfffe
	s_or_b32 exec_lo, exec_lo, s28
	s_and_saveexec_b32 s28, s4
	s_cbranch_execnz .LBB83_19
.LBB83_16:                              ;   in Loop: Header=BB83_4 Depth=1
	s_wait_alu 0xfffe
	s_or_b32 exec_lo, exec_lo, s28
	s_delay_alu instid0(SALU_CYCLE_1)
	s_and_b32 exec_lo, exec_lo, s5
	s_cbranch_execnz .LBB83_20
	s_branch .LBB83_24
.LBB83_17:                              ;   in Loop: Header=BB83_4 Depth=1
	s_branch .LBB83_25
.LBB83_18:                              ;   in Loop: Header=BB83_4 Depth=1
	v_mul_f64_e32 v[18:19], s[10:11], v[14:15]
	v_lshlrev_b64_e32 v[20:21], 3, v[2:3]
	s_delay_alu instid0(VALU_DEP_1) | instskip(SKIP_1) | instid1(VALU_DEP_2)
	v_add_co_u32 v20, vcc_lo, v16, v20
	s_wait_alu 0xfffd
	v_add_co_ci_u32_e64 v21, null, v17, v21, vcc_lo
	global_store_b64 v[20:21], v[18:19], off
	s_wait_alu 0xfffe
	s_or_b32 exec_lo, exec_lo, s28
	s_and_saveexec_b32 s28, s4
	s_cbranch_execz .LBB83_16
.LBB83_19:                              ;   in Loop: Header=BB83_4 Depth=1
	v_mul_f64_e32 v[18:19], s[10:11], v[12:13]
	v_lshlrev_b64_e32 v[20:21], 3, v[2:3]
	s_delay_alu instid0(VALU_DEP_1) | instskip(SKIP_1) | instid1(VALU_DEP_2)
	v_add_co_u32 v20, vcc_lo, v16, v20
	s_wait_alu 0xfffd
	v_add_co_ci_u32_e64 v21, null, v17, v21, vcc_lo
	global_store_b64 v[20:21], v[18:19], off offset:128
	s_wait_alu 0xfffe
	s_or_b32 exec_lo, exec_lo, s28
	s_delay_alu instid0(SALU_CYCLE_1)
	s_and_b32 exec_lo, exec_lo, s5
	s_cbranch_execz .LBB83_24
.LBB83_20:                              ;   in Loop: Header=BB83_4 Depth=1
	s_lshl_b64 s[28:29], s[6:7], 3
	v_lshlrev_b64_e32 v[18:19], 3, v[2:3]
	s_wait_alu 0xfffe
	v_add_co_u32 v16, vcc_lo, v16, s28
	s_wait_alu 0xfffd
	v_add_co_ci_u32_e64 v17, null, s29, v17, vcc_lo
	s_delay_alu instid0(VALU_DEP_2) | instskip(SKIP_1) | instid1(VALU_DEP_2)
	v_add_co_u32 v16, vcc_lo, v16, v18
	s_wait_alu 0xfffd
	v_add_co_ci_u32_e64 v17, null, v17, v19, vcc_lo
	s_and_saveexec_b32 s28, s3
	s_cbranch_execz .LBB83_22
; %bb.21:                               ;   in Loop: Header=BB83_4 Depth=1
	v_mul_f64_e32 v[18:19], s[10:11], v[10:11]
	global_store_b64 v[16:17], v[18:19], off
.LBB83_22:                              ;   in Loop: Header=BB83_4 Depth=1
	s_wait_alu 0xfffe
	s_or_b32 exec_lo, exec_lo, s28
	s_delay_alu instid0(SALU_CYCLE_1)
	s_and_b32 exec_lo, exec_lo, s4
	s_cbranch_execz .LBB83_24
; %bb.23:                               ;   in Loop: Header=BB83_4 Depth=1
	v_mul_f64_e32 v[18:19], s[10:11], v[8:9]
	global_store_b64 v[16:17], v[18:19], off offset:128
.LBB83_24:                              ;   in Loop: Header=BB83_4 Depth=1
	s_wait_alu 0xfffe
	s_or_b32 exec_lo, exec_lo, s25
	s_cbranch_execnz .LBB83_3
.LBB83_25:                              ;   in Loop: Header=BB83_4 Depth=1
	s_and_saveexec_b32 s25, s2
	s_cbranch_execz .LBB83_2
; %bb.26:                               ;   in Loop: Header=BB83_4 Depth=1
	s_mul_u64 s[28:29], s[46:47], s[20:21]
	v_lshlrev_b64_e32 v[20:21], 3, v[0:1]
	s_wait_alu 0xfffe
	s_lshl_b64 s[28:29], s[28:29], 3
	v_lshlrev_b64_e32 v[16:17], 3, v[2:3]
	s_wait_alu 0xfffe
	v_add_co_u32 v18, vcc_lo, v30, s28
	s_wait_alu 0xfffd
	v_add_co_ci_u32_e64 v19, null, s29, v31, vcc_lo
	v_add_co_u32 v20, vcc_lo, s18, v20
	s_wait_alu 0xfffd
	v_add_co_ci_u32_e64 v21, null, s19, v21, vcc_lo
	s_and_saveexec_b32 s18, s3
	s_cbranch_execnz .LBB83_29
; %bb.27:                               ;   in Loop: Header=BB83_4 Depth=1
	s_wait_alu 0xfffe
	s_or_b32 exec_lo, exec_lo, s18
	s_and_saveexec_b32 s18, s4
	s_cbranch_execnz .LBB83_30
.LBB83_28:                              ;   in Loop: Header=BB83_4 Depth=1
	s_wait_alu 0xfffe
	s_or_b32 exec_lo, exec_lo, s18
	s_delay_alu instid0(SALU_CYCLE_1)
	s_and_b32 exec_lo, exec_lo, s5
	s_cbranch_execz .LBB83_2
	s_branch .LBB83_31
.LBB83_29:                              ;   in Loop: Header=BB83_4 Depth=1
	v_add_co_u32 v22, vcc_lo, v18, v16
	s_wait_alu 0xfffd
	v_add_co_ci_u32_e64 v23, null, v19, v17, vcc_lo
	global_load_b64 v[22:23], v[22:23], off
	s_wait_loadcnt 0x0
	v_mul_f64_e32 v[22:23], s[40:41], v[22:23]
	s_delay_alu instid0(VALU_DEP_1)
	v_fma_f64 v[14:15], s[10:11], v[14:15], v[22:23]
	v_add_co_u32 v22, vcc_lo, v20, v16
	s_wait_alu 0xfffd
	v_add_co_ci_u32_e64 v23, null, v21, v17, vcc_lo
	global_store_b64 v[22:23], v[14:15], off
	s_wait_alu 0xfffe
	s_or_b32 exec_lo, exec_lo, s18
	s_and_saveexec_b32 s18, s4
	s_cbranch_execz .LBB83_28
.LBB83_30:                              ;   in Loop: Header=BB83_4 Depth=1
	v_add_co_u32 v14, vcc_lo, v18, v16
	s_wait_alu 0xfffd
	v_add_co_ci_u32_e64 v15, null, v19, v17, vcc_lo
	global_load_b64 v[14:15], v[14:15], off offset:128
	s_wait_loadcnt 0x0
	v_mul_f64_e32 v[14:15], s[40:41], v[14:15]
	s_delay_alu instid0(VALU_DEP_1)
	v_fma_f64 v[12:13], s[10:11], v[12:13], v[14:15]
	v_add_co_u32 v14, vcc_lo, v20, v16
	s_wait_alu 0xfffd
	v_add_co_ci_u32_e64 v15, null, v21, v17, vcc_lo
	global_store_b64 v[14:15], v[12:13], off offset:128
	s_wait_alu 0xfffe
	s_or_b32 exec_lo, exec_lo, s18
	s_delay_alu instid0(SALU_CYCLE_1)
	s_and_b32 exec_lo, exec_lo, s5
	s_cbranch_execz .LBB83_2
.LBB83_31:                              ;   in Loop: Header=BB83_4 Depth=1
	v_add_co_u32 v12, vcc_lo, v18, s16
	s_lshl_b64 s[18:19], s[6:7], 3
	s_wait_alu 0xfffd
	v_add_co_ci_u32_e64 v13, null, s17, v19, vcc_lo
	s_wait_alu 0xfffe
	v_add_co_u32 v14, vcc_lo, v20, s18
	s_wait_alu 0xfffd
	v_add_co_ci_u32_e64 v15, null, s19, v21, vcc_lo
	v_add_co_u32 v12, vcc_lo, v12, v16
	s_wait_alu 0xfffd
	v_add_co_ci_u32_e64 v13, null, v13, v17, vcc_lo
	;; [unrolled: 3-line block ×3, first 2 shown]
	s_and_saveexec_b32 s18, s3
	s_cbranch_execz .LBB83_33
; %bb.32:                               ;   in Loop: Header=BB83_4 Depth=1
	global_load_b64 v[16:17], v[12:13], off
	s_wait_loadcnt 0x0
	v_mul_f64_e32 v[16:17], s[40:41], v[16:17]
	s_delay_alu instid0(VALU_DEP_1)
	v_fma_f64 v[10:11], s[10:11], v[10:11], v[16:17]
	global_store_b64 v[14:15], v[10:11], off
.LBB83_33:                              ;   in Loop: Header=BB83_4 Depth=1
	s_wait_alu 0xfffe
	s_or_b32 exec_lo, exec_lo, s18
	s_delay_alu instid0(SALU_CYCLE_1)
	s_and_b32 exec_lo, exec_lo, s4
	s_cbranch_execz .LBB83_2
; %bb.34:                               ;   in Loop: Header=BB83_4 Depth=1
	global_load_b64 v[10:11], v[12:13], off offset:128
	s_wait_loadcnt 0x0
	v_mul_f64_e32 v[10:11], s[40:41], v[10:11]
	s_delay_alu instid0(VALU_DEP_1)
	v_fma_f64 v[8:9], s[10:11], v[8:9], v[10:11]
	global_store_b64 v[14:15], v[8:9], off offset:128
	s_branch .LBB83_2
.LBB83_35:
	s_endpgm
	.section	.rodata,"a",@progbits
	.p2align	6, 0x0
	.amdhsa_kernel _ZN12_GLOBAL__N_135rocblas_gemm_batched_general_kernelIdLi16ELi16ELi32ELi32ELi8ELi32ELi8ELi8ELi32ELc67ELc78EKdS1_dEEvlllT_PT11_llS4_llS2_PT12_llPT13_lli
		.amdhsa_group_segment_fixed_size 4096
		.amdhsa_private_segment_fixed_size 0
		.amdhsa_kernarg_size 140
		.amdhsa_user_sgpr_count 2
		.amdhsa_user_sgpr_dispatch_ptr 0
		.amdhsa_user_sgpr_queue_ptr 0
		.amdhsa_user_sgpr_kernarg_segment_ptr 1
		.amdhsa_user_sgpr_dispatch_id 0
		.amdhsa_user_sgpr_private_segment_size 0
		.amdhsa_wavefront_size32 1
		.amdhsa_uses_dynamic_stack 0
		.amdhsa_enable_private_segment 0
		.amdhsa_system_sgpr_workgroup_id_x 1
		.amdhsa_system_sgpr_workgroup_id_y 1
		.amdhsa_system_sgpr_workgroup_id_z 1
		.amdhsa_system_sgpr_workgroup_info 0
		.amdhsa_system_vgpr_workitem_id 1
		.amdhsa_next_free_vgpr 48
		.amdhsa_next_free_sgpr 52
		.amdhsa_reserve_vcc 1
		.amdhsa_float_round_mode_32 0
		.amdhsa_float_round_mode_16_64 0
		.amdhsa_float_denorm_mode_32 3
		.amdhsa_float_denorm_mode_16_64 3
		.amdhsa_fp16_overflow 0
		.amdhsa_workgroup_processor_mode 1
		.amdhsa_memory_ordered 1
		.amdhsa_forward_progress 1
		.amdhsa_inst_pref_size 19
		.amdhsa_round_robin_scheduling 0
		.amdhsa_exception_fp_ieee_invalid_op 0
		.amdhsa_exception_fp_denorm_src 0
		.amdhsa_exception_fp_ieee_div_zero 0
		.amdhsa_exception_fp_ieee_overflow 0
		.amdhsa_exception_fp_ieee_underflow 0
		.amdhsa_exception_fp_ieee_inexact 0
		.amdhsa_exception_int_div_zero 0
	.end_amdhsa_kernel
	.section	.text._ZN12_GLOBAL__N_135rocblas_gemm_batched_general_kernelIdLi16ELi16ELi32ELi32ELi8ELi32ELi8ELi8ELi32ELc67ELc78EKdS1_dEEvlllT_PT11_llS4_llS2_PT12_llPT13_lli,"axG",@progbits,_ZN12_GLOBAL__N_135rocblas_gemm_batched_general_kernelIdLi16ELi16ELi32ELi32ELi8ELi32ELi8ELi8ELi32ELc67ELc78EKdS1_dEEvlllT_PT11_llS4_llS2_PT12_llPT13_lli,comdat
.Lfunc_end83:
	.size	_ZN12_GLOBAL__N_135rocblas_gemm_batched_general_kernelIdLi16ELi16ELi32ELi32ELi8ELi32ELi8ELi8ELi32ELc67ELc78EKdS1_dEEvlllT_PT11_llS4_llS2_PT12_llPT13_lli, .Lfunc_end83-_ZN12_GLOBAL__N_135rocblas_gemm_batched_general_kernelIdLi16ELi16ELi32ELi32ELi8ELi32ELi8ELi8ELi32ELc67ELc78EKdS1_dEEvlllT_PT11_llS4_llS2_PT12_llPT13_lli
                                        ; -- End function
	.set _ZN12_GLOBAL__N_135rocblas_gemm_batched_general_kernelIdLi16ELi16ELi32ELi32ELi8ELi32ELi8ELi8ELi32ELc67ELc78EKdS1_dEEvlllT_PT11_llS4_llS2_PT12_llPT13_lli.num_vgpr, 48
	.set _ZN12_GLOBAL__N_135rocblas_gemm_batched_general_kernelIdLi16ELi16ELi32ELi32ELi8ELi32ELi8ELi8ELi32ELc67ELc78EKdS1_dEEvlllT_PT11_llS4_llS2_PT12_llPT13_lli.num_agpr, 0
	.set _ZN12_GLOBAL__N_135rocblas_gemm_batched_general_kernelIdLi16ELi16ELi32ELi32ELi8ELi32ELi8ELi8ELi32ELc67ELc78EKdS1_dEEvlllT_PT11_llS4_llS2_PT12_llPT13_lli.numbered_sgpr, 52
	.set _ZN12_GLOBAL__N_135rocblas_gemm_batched_general_kernelIdLi16ELi16ELi32ELi32ELi8ELi32ELi8ELi8ELi32ELc67ELc78EKdS1_dEEvlllT_PT11_llS4_llS2_PT12_llPT13_lli.num_named_barrier, 0
	.set _ZN12_GLOBAL__N_135rocblas_gemm_batched_general_kernelIdLi16ELi16ELi32ELi32ELi8ELi32ELi8ELi8ELi32ELc67ELc78EKdS1_dEEvlllT_PT11_llS4_llS2_PT12_llPT13_lli.private_seg_size, 0
	.set _ZN12_GLOBAL__N_135rocblas_gemm_batched_general_kernelIdLi16ELi16ELi32ELi32ELi8ELi32ELi8ELi8ELi32ELc67ELc78EKdS1_dEEvlllT_PT11_llS4_llS2_PT12_llPT13_lli.uses_vcc, 1
	.set _ZN12_GLOBAL__N_135rocblas_gemm_batched_general_kernelIdLi16ELi16ELi32ELi32ELi8ELi32ELi8ELi8ELi32ELc67ELc78EKdS1_dEEvlllT_PT11_llS4_llS2_PT12_llPT13_lli.uses_flat_scratch, 0
	.set _ZN12_GLOBAL__N_135rocblas_gemm_batched_general_kernelIdLi16ELi16ELi32ELi32ELi8ELi32ELi8ELi8ELi32ELc67ELc78EKdS1_dEEvlllT_PT11_llS4_llS2_PT12_llPT13_lli.has_dyn_sized_stack, 0
	.set _ZN12_GLOBAL__N_135rocblas_gemm_batched_general_kernelIdLi16ELi16ELi32ELi32ELi8ELi32ELi8ELi8ELi32ELc67ELc78EKdS1_dEEvlllT_PT11_llS4_llS2_PT12_llPT13_lli.has_recursion, 0
	.set _ZN12_GLOBAL__N_135rocblas_gemm_batched_general_kernelIdLi16ELi16ELi32ELi32ELi8ELi32ELi8ELi8ELi32ELc67ELc78EKdS1_dEEvlllT_PT11_llS4_llS2_PT12_llPT13_lli.has_indirect_call, 0
	.section	.AMDGPU.csdata,"",@progbits
; Kernel info:
; codeLenInByte = 2388
; TotalNumSgprs: 54
; NumVgprs: 48
; ScratchSize: 0
; MemoryBound: 0
; FloatMode: 240
; IeeeMode: 1
; LDSByteSize: 4096 bytes/workgroup (compile time only)
; SGPRBlocks: 0
; VGPRBlocks: 5
; NumSGPRsForWavesPerEU: 54
; NumVGPRsForWavesPerEU: 48
; Occupancy: 16
; WaveLimiterHint : 0
; COMPUTE_PGM_RSRC2:SCRATCH_EN: 0
; COMPUTE_PGM_RSRC2:USER_SGPR: 2
; COMPUTE_PGM_RSRC2:TRAP_HANDLER: 0
; COMPUTE_PGM_RSRC2:TGID_X_EN: 1
; COMPUTE_PGM_RSRC2:TGID_Y_EN: 1
; COMPUTE_PGM_RSRC2:TGID_Z_EN: 1
; COMPUTE_PGM_RSRC2:TIDIG_COMP_CNT: 1
	.section	.text._ZN12_GLOBAL__N_135rocblas_gemm_batched_general_kernelIdLi16ELi16ELi32ELi32ELi8ELi32ELi8ELi8ELi32ELc67ELc84EKdS1_dEEvlllT_PT11_llS4_llS2_PT12_llPT13_lli,"axG",@progbits,_ZN12_GLOBAL__N_135rocblas_gemm_batched_general_kernelIdLi16ELi16ELi32ELi32ELi8ELi32ELi8ELi8ELi32ELc67ELc84EKdS1_dEEvlllT_PT11_llS4_llS2_PT12_llPT13_lli,comdat
	.globl	_ZN12_GLOBAL__N_135rocblas_gemm_batched_general_kernelIdLi16ELi16ELi32ELi32ELi8ELi32ELi8ELi8ELi32ELc67ELc84EKdS1_dEEvlllT_PT11_llS4_llS2_PT12_llPT13_lli ; -- Begin function _ZN12_GLOBAL__N_135rocblas_gemm_batched_general_kernelIdLi16ELi16ELi32ELi32ELi8ELi32ELi8ELi8ELi32ELc67ELc84EKdS1_dEEvlllT_PT11_llS4_llS2_PT12_llPT13_lli
	.p2align	8
	.type	_ZN12_GLOBAL__N_135rocblas_gemm_batched_general_kernelIdLi16ELi16ELi32ELi32ELi8ELi32ELi8ELi8ELi32ELc67ELc84EKdS1_dEEvlllT_PT11_llS4_llS2_PT12_llPT13_lli,@function
_ZN12_GLOBAL__N_135rocblas_gemm_batched_general_kernelIdLi16ELi16ELi32ELi32ELi8ELi32ELi8ELi8ELi32ELc67ELc84EKdS1_dEEvlllT_PT11_llS4_llS2_PT12_llPT13_lli: ; @_ZN12_GLOBAL__N_135rocblas_gemm_batched_general_kernelIdLi16ELi16ELi32ELi32ELi8ELi32ELi8ELi8ELi32ELc67ELc84EKdS1_dEEvlllT_PT11_llS4_llS2_PT12_llPT13_lli
; %bb.0:
	s_load_b32 s26, s[0:1], 0x88
	s_lshr_b32 s20, ttmp7, 16
	s_wait_kmcnt 0x0
	s_cmp_ge_i32 s20, s26
	s_cbranch_scc1 .LBB84_35
; %bb.1:
	s_clause 0x1
	s_load_b512 s[4:19], s[0:1], 0x0
	s_load_b512 s[36:51], s[0:1], 0x40
	v_bfe_u32 v2, v0, 10, 10
	v_and_b32_e32 v3, 0x3ff, v0
	s_mov_b32 s2, ttmp9
	s_ashr_i32 s3, ttmp9, 31
	s_and_b32 s28, ttmp7, 0xffff
	s_lshl_b64 s[24:25], s[2:3], 5
	v_lshl_add_u32 v17, v2, 4, v3
	v_dual_mov_b32 v5, s25 :: v_dual_and_b32 v24, 7, v0
	s_lshl_b32 s2, s28, 5
	s_load_b64 s[22:23], s[0:1], 0x80
	s_delay_alu instid0(VALU_DEP_2)
	v_lshrrev_b32_e32 v6, 3, v17
	v_lshrrev_b32_e32 v25, 5, v17
	v_lshlrev_b32_e32 v8, 3, v24
	v_lshl_add_u32 v29, v2, 6, 0x800
	s_mov_b32 s21, 0
	s_wait_kmcnt 0x0
	s_lshl_b64 s[16:17], s[16:17], 3
	v_mad_co_u64_u32 v[9:10], null, s36, v24, 0
	v_and_b32_e32 v0, 31, v17
	v_cmp_eq_f64_e64 s27, s[40:41], 0
	s_lshl_b64 s[30:31], s[44:45], 4
	v_or_b32_e32 v4, s24, v0
	v_lshlrev_b32_e32 v7, 3, v0
	v_add_co_u32 v0, s0, v6, s2
	s_delay_alu instid0(VALU_DEP_1) | instskip(NEXT) | instid1(VALU_DEP_4)
	v_add_co_ci_u32_e64 v1, null, 0, 0, s0
	v_cmp_gt_i64_e64 s0, s[4:5], v[4:5]
	v_add_co_u32 v5, s2, s2, v2
	v_lshl_or_b32 v6, v6, 6, v8
	v_lshl_or_b32 v26, v25, 8, v7
	v_cmp_gt_i64_e64 s1, s[6:7], v[0:1]
	s_delay_alu instid0(VALU_DEP_4) | instskip(SKIP_4) | instid1(VALU_DEP_4)
	v_mad_co_u64_u32 v[7:8], null, v5, s44, 0
	v_mad_co_u64_u32 v[0:1], null, v5, s50, 0
	v_add_nc_u32_e32 v27, 0x800, v6
	s_wait_alu 0xf1ff
	v_add_co_ci_u32_e64 v6, null, 0, 0, s2
	v_mad_co_u64_u32 v[13:14], null, v5, s45, v[8:9]
	s_delay_alu instid0(VALU_DEP_2) | instskip(NEXT) | instid1(VALU_DEP_2)
	v_cmp_gt_i64_e64 s2, s[6:7], v[5:6]
	v_mov_b32_e32 v8, v13
	v_add_co_u32 v2, s3, s24, v3
	v_lshlrev_b32_e32 v28, 3, v3
	s_wait_alu 0xf1ff
	v_add_co_ci_u32_e64 v3, null, s25, 0, s3
	s_delay_alu instid0(VALU_DEP_3) | instskip(SKIP_4) | instid1(VALU_DEP_4)
	v_mad_co_u64_u32 v[14:15], null, v5, s51, v[1:2]
	v_mov_b32_e32 v1, v10
	v_add_co_u32 v11, vcc_lo, v2, 16
	v_lshlrev_b64_e32 v[7:8], 3, v[7:8]
	v_add_co_ci_u32_e64 v12, null, 0, v3, vcc_lo
	v_mad_co_u64_u32 v[15:16], null, s37, v24, v[1:2]
	v_add_co_u32 v5, vcc_lo, v5, 16
	s_wait_alu 0xfffd
	v_add_co_ci_u32_e64 v6, null, 0, v6, vcc_lo
	v_add_co_u32 v30, vcc_lo, s42, v7
	s_delay_alu instid0(VALU_DEP_4)
	v_mov_b32_e32 v10, v15
	v_cmp_gt_i64_e64 s3, s[4:5], v[2:3]
	v_cmp_gt_i64_e64 s4, s[4:5], v[11:12]
	;; [unrolled: 1-line block ×3, first 2 shown]
	s_wait_alu 0xfffd
	v_add_co_ci_u32_e64 v31, null, s43, v8, vcc_lo
	v_lshlrev_b64_e32 v[5:6], 3, v[9:10]
	v_mul_lo_u32 v9, s15, v4
	v_mad_co_u64_u32 v[7:8], null, s14, v4, 0
	s_lshl_b32 s15, s28, 8
	v_and_b32_e32 v4, 0x1ff8, v17
	s_mul_i32 s14, s14, s25
	s_wait_alu 0xfffe
	v_add_co_u32 v5, vcc_lo, v5, s15
	s_wait_alu 0xfffd
	v_add_co_ci_u32_e64 v6, null, 0, v6, vcc_lo
	v_add3_u32 v8, v8, s14, v9
	s_delay_alu instid0(VALU_DEP_3) | instskip(SKIP_1) | instid1(VALU_DEP_3)
	v_add_co_u32 v4, vcc_lo, v5, v4
	s_wait_alu 0xfffd
	v_add_co_ci_u32_e64 v5, null, 0, v6, vcc_lo
	s_delay_alu instid0(VALU_DEP_3) | instskip(SKIP_4) | instid1(VALU_DEP_3)
	v_lshlrev_b64_e32 v[6:7], 3, v[7:8]
	v_lshlrev_b32_e32 v8, 3, v25
	v_add_co_u32 v4, vcc_lo, s18, v4
	s_wait_alu 0xfffd
	v_add_co_ci_u32_e64 v5, null, s19, v5, vcc_lo
	v_add_co_u32 v6, vcc_lo, v6, v8
	s_wait_alu 0xfffd
	v_add_co_ci_u32_e64 v7, null, 0, v7, vcc_lo
	v_cmp_gt_i64_e64 s28, s[8:9], 0
	s_delay_alu instid0(VALU_DEP_3)
	v_add_co_u32 v6, vcc_lo, s12, v6
	v_mov_b32_e32 v1, v14
	s_wait_alu 0xfffd
	v_add_co_ci_u32_e64 v7, null, s13, v7, vcc_lo
	s_lshl_b64 s[6:7], s[50:51], 4
	s_lshl_b64 s[14:15], s[38:39], 3
	;; [unrolled: 1-line block ×4, first 2 shown]
	s_branch .LBB84_4
.LBB84_2:                               ;   in Loop: Header=BB84_4 Depth=1
	s_wait_alu 0xfffe
	s_or_b32 exec_lo, exec_lo, s29
.LBB84_3:                               ;   in Loop: Header=BB84_4 Depth=1
	s_add_co_i32 s20, s20, 0x10000
	s_wait_alu 0xfffe
	s_cmp_lt_i32 s20, s26
	s_cbranch_scc0 .LBB84_35
.LBB84_4:                               ; =>This Loop Header: Depth=1
                                        ;     Child Loop BB84_7 Depth 2
	s_and_not1_b32 vcc_lo, exec_lo, s28
	s_wait_alu 0xfffe
	s_cbranch_vccnz .LBB84_11
; %bb.5:                                ;   in Loop: Header=BB84_4 Depth=1
	v_mad_co_u64_u32 v[16:17], null, s14, s20, v[4:5]
	v_mad_co_u64_u32 v[18:19], null, s16, s20, v[6:7]
	v_mov_b32_e32 v12, 0
	v_dual_mov_b32 v13, 0 :: v_dual_mov_b32 v14, 0
	s_delay_alu instid0(VALU_DEP_4) | instskip(SKIP_1) | instid1(VALU_DEP_4)
	v_dual_mov_b32 v15, 0 :: v_dual_mov_b32 v8, v17
	s_mov_b64 s[24:25], 0
	v_mov_b32_e32 v9, v19
	s_delay_alu instid0(VALU_DEP_1)
	v_mad_co_u64_u32 v[19:20], null, s15, s20, v[8:9]
	v_mad_co_u64_u32 v[20:21], null, s17, s20, v[9:10]
	v_mov_b32_e32 v8, 0
	v_dual_mov_b32 v9, 0 :: v_dual_mov_b32 v10, 0
	v_mov_b32_e32 v11, 0
	v_mov_b32_e32 v17, v19
	;; [unrolled: 1-line block ×3, first 2 shown]
	s_branch .LBB84_7
.LBB84_6:                               ;   in Loop: Header=BB84_7 Depth=2
	s_wait_alu 0xfffe
	s_or_b32 exec_lo, exec_lo, s29
	s_wait_loadcnt 0x0
	ds_store_b64 v27, v[22:23]
	s_wait_dscnt 0x0
	s_barrier_signal -1
	s_barrier_wait -1
	global_inv scope:SCOPE_SE
	ds_load_b128 v[20:23], v29
	ds_load_2addr_b64 v[32:35], v28 offset1:16
	ds_load_b128 v[36:39], v29 offset:1024
	ds_load_b128 v[40:43], v29 offset:16
	;; [unrolled: 1-line block ×3, first 2 shown]
	s_add_nc_u64 s[24:25], s[24:25], 8
	v_add_co_u32 v16, vcc_lo, v16, s12
	s_wait_alu 0xfffe
	v_cmp_lt_i64_e64 s29, s[24:25], s[8:9]
	s_wait_alu 0xfffd
	v_add_co_ci_u32_e64 v17, null, s13, v17, vcc_lo
	v_add_co_u32 v18, vcc_lo, v18, 64
	s_wait_alu 0xfffd
	v_add_co_ci_u32_e64 v19, null, 0, v19, vcc_lo
	s_and_b32 vcc_lo, exec_lo, s29
	s_wait_dscnt 0x3
	v_fma_f64 v[14:15], v[32:33], v[20:21], v[14:15]
	v_fma_f64 v[12:13], v[34:35], v[20:21], v[12:13]
	s_wait_dscnt 0x2
	v_fma_f64 v[20:21], v[32:33], v[36:37], v[10:11]
	v_fma_f64 v[32:33], v[34:35], v[36:37], v[8:9]
	ds_load_2addr_b64 v[8:11], v28 offset0:32 offset1:48
	s_wait_dscnt 0x0
	v_fma_f64 v[14:15], v[8:9], v[22:23], v[14:15]
	v_fma_f64 v[12:13], v[10:11], v[22:23], v[12:13]
	v_fma_f64 v[20:21], v[8:9], v[38:39], v[20:21]
	v_fma_f64 v[22:23], v[10:11], v[38:39], v[32:33]
	ds_load_2addr_b64 v[8:11], v28 offset0:64 offset1:80
	s_wait_dscnt 0x0
	v_fma_f64 v[14:15], v[8:9], v[40:41], v[14:15]
	v_fma_f64 v[12:13], v[10:11], v[40:41], v[12:13]
	;; [unrolled: 6-line block ×3, first 2 shown]
	v_fma_f64 v[44:45], v[8:9], v[46:47], v[20:21]
	v_fma_f64 v[46:47], v[10:11], v[46:47], v[22:23]
	ds_load_b128 v[8:11], v29 offset:32
	ds_load_2addr_b64 v[12:15], v28 offset0:128 offset1:144
	ds_load_b128 v[20:23], v29 offset:1056
	ds_load_b128 v[32:35], v29 offset:48
	;; [unrolled: 1-line block ×3, first 2 shown]
	s_wait_dscnt 0x3
	v_fma_f64 v[40:41], v[12:13], v[8:9], v[40:41]
	v_fma_f64 v[8:9], v[14:15], v[8:9], v[42:43]
	s_wait_dscnt 0x2
	v_fma_f64 v[42:43], v[12:13], v[20:21], v[44:45]
	v_fma_f64 v[20:21], v[14:15], v[20:21], v[46:47]
	ds_load_2addr_b64 v[12:15], v28 offset0:160 offset1:176
	s_wait_dscnt 0x0
	v_fma_f64 v[40:41], v[12:13], v[10:11], v[40:41]
	v_fma_f64 v[44:45], v[14:15], v[10:11], v[8:9]
	;; [unrolled: 1-line block ×4, first 2 shown]
	ds_load_2addr_b64 v[8:11], v28 offset0:192 offset1:208
	ds_load_2addr_b64 v[20:23], v28 offset0:224 offset1:240
	s_wait_loadcnt_dscnt 0x0
	s_barrier_signal -1
	s_barrier_wait -1
	global_inv scope:SCOPE_SE
	v_fma_f64 v[40:41], v[8:9], v[32:33], v[40:41]
	v_fma_f64 v[32:33], v[10:11], v[32:33], v[44:45]
	;; [unrolled: 1-line block ×4, first 2 shown]
	s_delay_alu instid0(VALU_DEP_4) | instskip(NEXT) | instid1(VALU_DEP_4)
	v_fma_f64 v[14:15], v[20:21], v[34:35], v[40:41]
	v_fma_f64 v[12:13], v[22:23], v[34:35], v[32:33]
	s_delay_alu instid0(VALU_DEP_4) | instskip(NEXT) | instid1(VALU_DEP_4)
	v_fma_f64 v[10:11], v[20:21], v[38:39], v[8:9]
	v_fma_f64 v[8:9], v[22:23], v[38:39], v[36:37]
	s_wait_alu 0xfffe
	s_cbranch_vccz .LBB84_12
.LBB84_7:                               ;   Parent Loop BB84_4 Depth=1
                                        ; =>  This Inner Loop Header: Depth=2
	s_wait_alu 0xfffe
	v_add_co_u32 v20, s29, v25, s24
	s_wait_alu 0xf1ff
	v_add_co_ci_u32_e64 v21, null, 0, s25, s29
	s_delay_alu instid0(VALU_DEP_1)
	v_cmp_gt_i64_e32 vcc_lo, s[8:9], v[20:21]
	v_mov_b32_e32 v20, 0
	v_mov_b32_e32 v21, 0
	s_and_b32 s30, s0, vcc_lo
	s_wait_alu 0xfffe
	s_and_saveexec_b32 s29, s30
	s_cbranch_execz .LBB84_9
; %bb.8:                                ;   in Loop: Header=BB84_7 Depth=2
	global_load_b64 v[20:21], v[18:19], off
.LBB84_9:                               ;   in Loop: Header=BB84_7 Depth=2
	s_wait_alu 0xfffe
	s_or_b32 exec_lo, exec_lo, s29
	v_add_co_u32 v22, s29, v24, s24
	s_wait_alu 0xf1ff
	v_add_co_ci_u32_e64 v23, null, 0, s25, s29
	s_wait_loadcnt 0x0
	ds_store_b64 v26, v[20:21]
	v_cmp_gt_i64_e32 vcc_lo, s[8:9], v[22:23]
	v_mov_b32_e32 v22, 0
	v_mov_b32_e32 v23, 0
	s_and_b32 s30, vcc_lo, s1
	s_wait_alu 0xfffe
	s_and_saveexec_b32 s29, s30
	s_cbranch_execz .LBB84_6
; %bb.10:                               ;   in Loop: Header=BB84_7 Depth=2
	global_load_b64 v[22:23], v[16:17], off
	s_branch .LBB84_6
.LBB84_11:                              ;   in Loop: Header=BB84_4 Depth=1
	v_mov_b32_e32 v14, 0
	v_dual_mov_b32 v10, 0 :: v_dual_mov_b32 v15, 0
	v_dual_mov_b32 v12, 0 :: v_dual_mov_b32 v11, 0
	;; [unrolled: 1-line block ×3, first 2 shown]
	v_mov_b32_e32 v9, 0
.LBB84_12:                              ;   in Loop: Header=BB84_4 Depth=1
	s_mul_u64 s[24:25], s[22:23], s[20:21]
	s_and_not1_b32 vcc_lo, exec_lo, s27
	s_wait_alu 0xfffe
	s_lshl_b64 s[24:25], s[24:25], 3
	s_wait_alu 0xfffe
	s_add_nc_u64 s[24:25], s[48:49], s[24:25]
	s_cbranch_vccnz .LBB84_17
; %bb.13:                               ;   in Loop: Header=BB84_4 Depth=1
	s_and_saveexec_b32 s29, s2
	s_cbranch_execz .LBB84_24
; %bb.14:                               ;   in Loop: Header=BB84_4 Depth=1
	v_lshlrev_b64_e32 v[16:17], 3, v[0:1]
	s_wait_alu 0xfffe
	s_delay_alu instid0(VALU_DEP_1) | instskip(SKIP_1) | instid1(VALU_DEP_2)
	v_add_co_u32 v16, vcc_lo, s24, v16
	s_wait_alu 0xfffd
	v_add_co_ci_u32_e64 v17, null, s25, v17, vcc_lo
	s_and_saveexec_b32 s30, s3
	s_cbranch_execnz .LBB84_18
; %bb.15:                               ;   in Loop: Header=BB84_4 Depth=1
	s_wait_alu 0xfffe
	s_or_b32 exec_lo, exec_lo, s30
	s_and_saveexec_b32 s30, s4
	s_cbranch_execnz .LBB84_19
.LBB84_16:                              ;   in Loop: Header=BB84_4 Depth=1
	s_wait_alu 0xfffe
	s_or_b32 exec_lo, exec_lo, s30
	s_delay_alu instid0(SALU_CYCLE_1)
	s_and_b32 exec_lo, exec_lo, s5
	s_cbranch_execnz .LBB84_20
	s_branch .LBB84_24
.LBB84_17:                              ;   in Loop: Header=BB84_4 Depth=1
	s_branch .LBB84_25
.LBB84_18:                              ;   in Loop: Header=BB84_4 Depth=1
	v_mul_f64_e32 v[18:19], s[10:11], v[14:15]
	v_lshlrev_b64_e32 v[20:21], 3, v[2:3]
	s_delay_alu instid0(VALU_DEP_1) | instskip(SKIP_1) | instid1(VALU_DEP_2)
	v_add_co_u32 v20, vcc_lo, v16, v20
	s_wait_alu 0xfffd
	v_add_co_ci_u32_e64 v21, null, v17, v21, vcc_lo
	global_store_b64 v[20:21], v[18:19], off
	s_wait_alu 0xfffe
	s_or_b32 exec_lo, exec_lo, s30
	s_and_saveexec_b32 s30, s4
	s_cbranch_execz .LBB84_16
.LBB84_19:                              ;   in Loop: Header=BB84_4 Depth=1
	v_mul_f64_e32 v[18:19], s[10:11], v[12:13]
	v_lshlrev_b64_e32 v[20:21], 3, v[2:3]
	s_delay_alu instid0(VALU_DEP_1) | instskip(SKIP_1) | instid1(VALU_DEP_2)
	v_add_co_u32 v20, vcc_lo, v16, v20
	s_wait_alu 0xfffd
	v_add_co_ci_u32_e64 v21, null, v17, v21, vcc_lo
	global_store_b64 v[20:21], v[18:19], off offset:128
	s_wait_alu 0xfffe
	s_or_b32 exec_lo, exec_lo, s30
	s_delay_alu instid0(SALU_CYCLE_1)
	s_and_b32 exec_lo, exec_lo, s5
	s_cbranch_execz .LBB84_24
.LBB84_20:                              ;   in Loop: Header=BB84_4 Depth=1
	s_lshl_b64 s[30:31], s[6:7], 3
	v_lshlrev_b64_e32 v[18:19], 3, v[2:3]
	s_wait_alu 0xfffe
	v_add_co_u32 v16, vcc_lo, v16, s30
	s_wait_alu 0xfffd
	v_add_co_ci_u32_e64 v17, null, s31, v17, vcc_lo
	s_delay_alu instid0(VALU_DEP_2) | instskip(SKIP_1) | instid1(VALU_DEP_2)
	v_add_co_u32 v16, vcc_lo, v16, v18
	s_wait_alu 0xfffd
	v_add_co_ci_u32_e64 v17, null, v17, v19, vcc_lo
	s_and_saveexec_b32 s30, s3
	s_cbranch_execz .LBB84_22
; %bb.21:                               ;   in Loop: Header=BB84_4 Depth=1
	v_mul_f64_e32 v[18:19], s[10:11], v[10:11]
	global_store_b64 v[16:17], v[18:19], off
.LBB84_22:                              ;   in Loop: Header=BB84_4 Depth=1
	s_wait_alu 0xfffe
	s_or_b32 exec_lo, exec_lo, s30
	s_delay_alu instid0(SALU_CYCLE_1)
	s_and_b32 exec_lo, exec_lo, s4
	s_cbranch_execz .LBB84_24
; %bb.23:                               ;   in Loop: Header=BB84_4 Depth=1
	v_mul_f64_e32 v[18:19], s[10:11], v[8:9]
	global_store_b64 v[16:17], v[18:19], off offset:128
.LBB84_24:                              ;   in Loop: Header=BB84_4 Depth=1
	s_wait_alu 0xfffe
	s_or_b32 exec_lo, exec_lo, s29
	s_cbranch_execnz .LBB84_3
.LBB84_25:                              ;   in Loop: Header=BB84_4 Depth=1
	s_and_saveexec_b32 s29, s2
	s_cbranch_execz .LBB84_2
; %bb.26:                               ;   in Loop: Header=BB84_4 Depth=1
	s_mul_u64 s[30:31], s[46:47], s[20:21]
	v_lshlrev_b64_e32 v[20:21], 3, v[0:1]
	s_wait_alu 0xfffe
	s_lshl_b64 s[30:31], s[30:31], 3
	v_lshlrev_b64_e32 v[16:17], 3, v[2:3]
	s_wait_alu 0xfffe
	v_add_co_u32 v18, vcc_lo, v30, s30
	s_wait_alu 0xfffd
	v_add_co_ci_u32_e64 v19, null, s31, v31, vcc_lo
	v_add_co_u32 v20, vcc_lo, s24, v20
	s_wait_alu 0xfffd
	v_add_co_ci_u32_e64 v21, null, s25, v21, vcc_lo
	s_and_saveexec_b32 s24, s3
	s_cbranch_execnz .LBB84_29
; %bb.27:                               ;   in Loop: Header=BB84_4 Depth=1
	s_wait_alu 0xfffe
	s_or_b32 exec_lo, exec_lo, s24
	s_and_saveexec_b32 s24, s4
	s_cbranch_execnz .LBB84_30
.LBB84_28:                              ;   in Loop: Header=BB84_4 Depth=1
	s_wait_alu 0xfffe
	s_or_b32 exec_lo, exec_lo, s24
	s_delay_alu instid0(SALU_CYCLE_1)
	s_and_b32 exec_lo, exec_lo, s5
	s_cbranch_execz .LBB84_2
	s_branch .LBB84_31
.LBB84_29:                              ;   in Loop: Header=BB84_4 Depth=1
	v_add_co_u32 v22, vcc_lo, v18, v16
	s_wait_alu 0xfffd
	v_add_co_ci_u32_e64 v23, null, v19, v17, vcc_lo
	global_load_b64 v[22:23], v[22:23], off
	s_wait_loadcnt 0x0
	v_mul_f64_e32 v[22:23], s[40:41], v[22:23]
	s_delay_alu instid0(VALU_DEP_1)
	v_fma_f64 v[14:15], s[10:11], v[14:15], v[22:23]
	v_add_co_u32 v22, vcc_lo, v20, v16
	s_wait_alu 0xfffd
	v_add_co_ci_u32_e64 v23, null, v21, v17, vcc_lo
	global_store_b64 v[22:23], v[14:15], off
	s_wait_alu 0xfffe
	s_or_b32 exec_lo, exec_lo, s24
	s_and_saveexec_b32 s24, s4
	s_cbranch_execz .LBB84_28
.LBB84_30:                              ;   in Loop: Header=BB84_4 Depth=1
	v_add_co_u32 v14, vcc_lo, v18, v16
	s_wait_alu 0xfffd
	v_add_co_ci_u32_e64 v15, null, v19, v17, vcc_lo
	global_load_b64 v[14:15], v[14:15], off offset:128
	s_wait_loadcnt 0x0
	v_mul_f64_e32 v[14:15], s[40:41], v[14:15]
	s_delay_alu instid0(VALU_DEP_1)
	v_fma_f64 v[12:13], s[10:11], v[12:13], v[14:15]
	v_add_co_u32 v14, vcc_lo, v20, v16
	s_wait_alu 0xfffd
	v_add_co_ci_u32_e64 v15, null, v21, v17, vcc_lo
	global_store_b64 v[14:15], v[12:13], off offset:128
	s_wait_alu 0xfffe
	s_or_b32 exec_lo, exec_lo, s24
	s_delay_alu instid0(SALU_CYCLE_1)
	s_and_b32 exec_lo, exec_lo, s5
	s_cbranch_execz .LBB84_2
.LBB84_31:                              ;   in Loop: Header=BB84_4 Depth=1
	v_add_co_u32 v12, vcc_lo, v18, s18
	s_lshl_b64 s[24:25], s[6:7], 3
	s_wait_alu 0xfffd
	v_add_co_ci_u32_e64 v13, null, s19, v19, vcc_lo
	s_wait_alu 0xfffe
	v_add_co_u32 v14, vcc_lo, v20, s24
	s_wait_alu 0xfffd
	v_add_co_ci_u32_e64 v15, null, s25, v21, vcc_lo
	v_add_co_u32 v12, vcc_lo, v12, v16
	s_wait_alu 0xfffd
	v_add_co_ci_u32_e64 v13, null, v13, v17, vcc_lo
	;; [unrolled: 3-line block ×3, first 2 shown]
	s_and_saveexec_b32 s24, s3
	s_cbranch_execz .LBB84_33
; %bb.32:                               ;   in Loop: Header=BB84_4 Depth=1
	global_load_b64 v[16:17], v[12:13], off
	s_wait_loadcnt 0x0
	v_mul_f64_e32 v[16:17], s[40:41], v[16:17]
	s_delay_alu instid0(VALU_DEP_1)
	v_fma_f64 v[10:11], s[10:11], v[10:11], v[16:17]
	global_store_b64 v[14:15], v[10:11], off
.LBB84_33:                              ;   in Loop: Header=BB84_4 Depth=1
	s_wait_alu 0xfffe
	s_or_b32 exec_lo, exec_lo, s24
	s_delay_alu instid0(SALU_CYCLE_1)
	s_and_b32 exec_lo, exec_lo, s4
	s_cbranch_execz .LBB84_2
; %bb.34:                               ;   in Loop: Header=BB84_4 Depth=1
	global_load_b64 v[10:11], v[12:13], off offset:128
	s_wait_loadcnt 0x0
	v_mul_f64_e32 v[10:11], s[40:41], v[10:11]
	s_delay_alu instid0(VALU_DEP_1)
	v_fma_f64 v[8:9], s[10:11], v[8:9], v[10:11]
	global_store_b64 v[14:15], v[8:9], off offset:128
	s_branch .LBB84_2
.LBB84_35:
	s_endpgm
	.section	.rodata,"a",@progbits
	.p2align	6, 0x0
	.amdhsa_kernel _ZN12_GLOBAL__N_135rocblas_gemm_batched_general_kernelIdLi16ELi16ELi32ELi32ELi8ELi32ELi8ELi8ELi32ELc67ELc84EKdS1_dEEvlllT_PT11_llS4_llS2_PT12_llPT13_lli
		.amdhsa_group_segment_fixed_size 4096
		.amdhsa_private_segment_fixed_size 0
		.amdhsa_kernarg_size 140
		.amdhsa_user_sgpr_count 2
		.amdhsa_user_sgpr_dispatch_ptr 0
		.amdhsa_user_sgpr_queue_ptr 0
		.amdhsa_user_sgpr_kernarg_segment_ptr 1
		.amdhsa_user_sgpr_dispatch_id 0
		.amdhsa_user_sgpr_private_segment_size 0
		.amdhsa_wavefront_size32 1
		.amdhsa_uses_dynamic_stack 0
		.amdhsa_enable_private_segment 0
		.amdhsa_system_sgpr_workgroup_id_x 1
		.amdhsa_system_sgpr_workgroup_id_y 1
		.amdhsa_system_sgpr_workgroup_id_z 1
		.amdhsa_system_sgpr_workgroup_info 0
		.amdhsa_system_vgpr_workitem_id 1
		.amdhsa_next_free_vgpr 48
		.amdhsa_next_free_sgpr 52
		.amdhsa_reserve_vcc 1
		.amdhsa_float_round_mode_32 0
		.amdhsa_float_round_mode_16_64 0
		.amdhsa_float_denorm_mode_32 3
		.amdhsa_float_denorm_mode_16_64 3
		.amdhsa_fp16_overflow 0
		.amdhsa_workgroup_processor_mode 1
		.amdhsa_memory_ordered 1
		.amdhsa_forward_progress 1
		.amdhsa_inst_pref_size 19
		.amdhsa_round_robin_scheduling 0
		.amdhsa_exception_fp_ieee_invalid_op 0
		.amdhsa_exception_fp_denorm_src 0
		.amdhsa_exception_fp_ieee_div_zero 0
		.amdhsa_exception_fp_ieee_overflow 0
		.amdhsa_exception_fp_ieee_underflow 0
		.amdhsa_exception_fp_ieee_inexact 0
		.amdhsa_exception_int_div_zero 0
	.end_amdhsa_kernel
	.section	.text._ZN12_GLOBAL__N_135rocblas_gemm_batched_general_kernelIdLi16ELi16ELi32ELi32ELi8ELi32ELi8ELi8ELi32ELc67ELc84EKdS1_dEEvlllT_PT11_llS4_llS2_PT12_llPT13_lli,"axG",@progbits,_ZN12_GLOBAL__N_135rocblas_gemm_batched_general_kernelIdLi16ELi16ELi32ELi32ELi8ELi32ELi8ELi8ELi32ELc67ELc84EKdS1_dEEvlllT_PT11_llS4_llS2_PT12_llPT13_lli,comdat
.Lfunc_end84:
	.size	_ZN12_GLOBAL__N_135rocblas_gemm_batched_general_kernelIdLi16ELi16ELi32ELi32ELi8ELi32ELi8ELi8ELi32ELc67ELc84EKdS1_dEEvlllT_PT11_llS4_llS2_PT12_llPT13_lli, .Lfunc_end84-_ZN12_GLOBAL__N_135rocblas_gemm_batched_general_kernelIdLi16ELi16ELi32ELi32ELi8ELi32ELi8ELi8ELi32ELc67ELc84EKdS1_dEEvlllT_PT11_llS4_llS2_PT12_llPT13_lli
                                        ; -- End function
	.set _ZN12_GLOBAL__N_135rocblas_gemm_batched_general_kernelIdLi16ELi16ELi32ELi32ELi8ELi32ELi8ELi8ELi32ELc67ELc84EKdS1_dEEvlllT_PT11_llS4_llS2_PT12_llPT13_lli.num_vgpr, 48
	.set _ZN12_GLOBAL__N_135rocblas_gemm_batched_general_kernelIdLi16ELi16ELi32ELi32ELi8ELi32ELi8ELi8ELi32ELc67ELc84EKdS1_dEEvlllT_PT11_llS4_llS2_PT12_llPT13_lli.num_agpr, 0
	.set _ZN12_GLOBAL__N_135rocblas_gemm_batched_general_kernelIdLi16ELi16ELi32ELi32ELi8ELi32ELi8ELi8ELi32ELc67ELc84EKdS1_dEEvlllT_PT11_llS4_llS2_PT12_llPT13_lli.numbered_sgpr, 52
	.set _ZN12_GLOBAL__N_135rocblas_gemm_batched_general_kernelIdLi16ELi16ELi32ELi32ELi8ELi32ELi8ELi8ELi32ELc67ELc84EKdS1_dEEvlllT_PT11_llS4_llS2_PT12_llPT13_lli.num_named_barrier, 0
	.set _ZN12_GLOBAL__N_135rocblas_gemm_batched_general_kernelIdLi16ELi16ELi32ELi32ELi8ELi32ELi8ELi8ELi32ELc67ELc84EKdS1_dEEvlllT_PT11_llS4_llS2_PT12_llPT13_lli.private_seg_size, 0
	.set _ZN12_GLOBAL__N_135rocblas_gemm_batched_general_kernelIdLi16ELi16ELi32ELi32ELi8ELi32ELi8ELi8ELi32ELc67ELc84EKdS1_dEEvlllT_PT11_llS4_llS2_PT12_llPT13_lli.uses_vcc, 1
	.set _ZN12_GLOBAL__N_135rocblas_gemm_batched_general_kernelIdLi16ELi16ELi32ELi32ELi8ELi32ELi8ELi8ELi32ELc67ELc84EKdS1_dEEvlllT_PT11_llS4_llS2_PT12_llPT13_lli.uses_flat_scratch, 0
	.set _ZN12_GLOBAL__N_135rocblas_gemm_batched_general_kernelIdLi16ELi16ELi32ELi32ELi8ELi32ELi8ELi8ELi32ELc67ELc84EKdS1_dEEvlllT_PT11_llS4_llS2_PT12_llPT13_lli.has_dyn_sized_stack, 0
	.set _ZN12_GLOBAL__N_135rocblas_gemm_batched_general_kernelIdLi16ELi16ELi32ELi32ELi8ELi32ELi8ELi8ELi32ELc67ELc84EKdS1_dEEvlllT_PT11_llS4_llS2_PT12_llPT13_lli.has_recursion, 0
	.set _ZN12_GLOBAL__N_135rocblas_gemm_batched_general_kernelIdLi16ELi16ELi32ELi32ELi8ELi32ELi8ELi8ELi32ELc67ELc84EKdS1_dEEvlllT_PT11_llS4_llS2_PT12_llPT13_lli.has_indirect_call, 0
	.section	.AMDGPU.csdata,"",@progbits
; Kernel info:
; codeLenInByte = 2432
; TotalNumSgprs: 54
; NumVgprs: 48
; ScratchSize: 0
; MemoryBound: 0
; FloatMode: 240
; IeeeMode: 1
; LDSByteSize: 4096 bytes/workgroup (compile time only)
; SGPRBlocks: 0
; VGPRBlocks: 5
; NumSGPRsForWavesPerEU: 54
; NumVGPRsForWavesPerEU: 48
; Occupancy: 16
; WaveLimiterHint : 0
; COMPUTE_PGM_RSRC2:SCRATCH_EN: 0
; COMPUTE_PGM_RSRC2:USER_SGPR: 2
; COMPUTE_PGM_RSRC2:TRAP_HANDLER: 0
; COMPUTE_PGM_RSRC2:TGID_X_EN: 1
; COMPUTE_PGM_RSRC2:TGID_Y_EN: 1
; COMPUTE_PGM_RSRC2:TGID_Z_EN: 1
; COMPUTE_PGM_RSRC2:TIDIG_COMP_CNT: 1
	.section	.text._ZN12_GLOBAL__N_135rocblas_gemm_batched_general_kernelIdLi16ELi16ELi32ELi32ELi8ELi32ELi8ELi8ELi32ELc78ELc67EKdS1_dEEvlllT_PT11_llS4_llS2_PT12_llPT13_lli,"axG",@progbits,_ZN12_GLOBAL__N_135rocblas_gemm_batched_general_kernelIdLi16ELi16ELi32ELi32ELi8ELi32ELi8ELi8ELi32ELc78ELc67EKdS1_dEEvlllT_PT11_llS4_llS2_PT12_llPT13_lli,comdat
	.globl	_ZN12_GLOBAL__N_135rocblas_gemm_batched_general_kernelIdLi16ELi16ELi32ELi32ELi8ELi32ELi8ELi8ELi32ELc78ELc67EKdS1_dEEvlllT_PT11_llS4_llS2_PT12_llPT13_lli ; -- Begin function _ZN12_GLOBAL__N_135rocblas_gemm_batched_general_kernelIdLi16ELi16ELi32ELi32ELi8ELi32ELi8ELi8ELi32ELc78ELc67EKdS1_dEEvlllT_PT11_llS4_llS2_PT12_llPT13_lli
	.p2align	8
	.type	_ZN12_GLOBAL__N_135rocblas_gemm_batched_general_kernelIdLi16ELi16ELi32ELi32ELi8ELi32ELi8ELi8ELi32ELc78ELc67EKdS1_dEEvlllT_PT11_llS4_llS2_PT12_llPT13_lli,@function
_ZN12_GLOBAL__N_135rocblas_gemm_batched_general_kernelIdLi16ELi16ELi32ELi32ELi8ELi32ELi8ELi8ELi32ELc78ELc67EKdS1_dEEvlllT_PT11_llS4_llS2_PT12_llPT13_lli: ; @_ZN12_GLOBAL__N_135rocblas_gemm_batched_general_kernelIdLi16ELi16ELi32ELi32ELi8ELi32ELi8ELi8ELi32ELc78ELc67EKdS1_dEEvlllT_PT11_llS4_llS2_PT12_llPT13_lli
; %bb.0:
	s_load_b32 s28, s[0:1], 0x88
	s_lshr_b32 s20, ttmp7, 16
	s_wait_kmcnt 0x0
	s_cmp_ge_i32 s20, s28
	s_cbranch_scc1 .LBB85_35
; %bb.1:
	v_bfe_u32 v6, v0, 10, 10
	v_and_b32_e32 v7, 0x3ff, v0
	s_mov_b32 s24, ttmp9
	s_ashr_i32 s25, ttmp9, 31
	s_clause 0x1
	s_load_b512 s[4:19], s[0:1], 0x0
	s_load_b512 s[36:51], s[0:1], 0x40
	s_lshl_b64 s[26:27], s[24:25], 5
	v_lshl_add_u32 v18, v6, 4, v7
	v_dual_mov_b32 v1, s27 :: v_dual_and_b32 v24, 7, v0
	s_and_b32 s30, ttmp7, 0xffff
	s_load_b64 s[22:23], s[0:1], 0x80
	s_delay_alu instid0(VALU_DEP_2)
	v_and_b32_e32 v2, 31, v18
	v_lshrrev_b32_e32 v4, 3, v18
	v_lshlrev_b32_e32 v5, 3, v24
	s_lshl_b32 s2, s30, 5
	v_lshl_add_u32 v29, v6, 6, 0x800
	v_or_b32_e32 v0, s26, v2
	v_lshlrev_b32_e32 v19, 3, v2
	v_add_co_u32 v2, s0, v4, s2
	v_lshl_or_b32 v4, v4, 6, v5
	v_add_co_ci_u32_e64 v3, null, 0, 0, s0
	s_wait_kmcnt 0x0
	v_cmp_gt_i64_e64 s0, s[4:5], v[0:1]
	v_mad_co_u64_u32 v[8:9], null, s36, v24, 0
	v_add_nc_u32_e32 v27, 0x800, v4
	v_add_co_u32 v4, s2, s2, v6
	v_cmp_gt_i64_e64 s1, s[6:7], v[2:3]
	v_lshlrev_b32_e32 v28, 3, v7
	v_add_co_u32 v2, s3, s26, v7
	s_delay_alu instid0(VALU_DEP_4) | instskip(SKIP_4) | instid1(VALU_DEP_4)
	v_mad_co_u64_u32 v[0:1], null, v4, s50, 0
	v_mad_co_u64_u32 v[6:7], null, v4, s44, 0
	s_wait_alu 0xf1ff
	v_add_co_ci_u32_e64 v3, null, s27, 0, s3
	v_add_co_ci_u32_e64 v5, null, 0, 0, s2
	v_mad_co_u64_u32 v[12:13], null, v4, s51, v[1:2]
	s_delay_alu instid0(VALU_DEP_4) | instskip(SKIP_1) | instid1(VALU_DEP_1)
	v_mov_b32_e32 v1, v7
	v_add_co_u32 v10, vcc_lo, v2, 16
	v_add_co_ci_u32_e64 v11, null, 0, v3, vcc_lo
	v_add_co_u32 v13, vcc_lo, v4, 16
	v_cmp_gt_i64_e64 s2, s[6:7], v[4:5]
	v_mov_b32_e32 v7, v9
	s_wait_alu 0xfffd
	v_add_co_ci_u32_e64 v14, null, 0, v5, vcc_lo
	v_mad_co_u64_u32 v[4:5], null, v4, s45, v[1:2]
	v_lshrrev_b32_e32 v25, 5, v18
	v_mad_co_u64_u32 v[15:16], null, s37, v24, v[7:8]
	v_cmp_eq_f64_e64 s29, s[40:41], 0
	v_cmp_gt_i64_e64 s3, s[4:5], v[2:3]
	s_delay_alu instid0(VALU_DEP_4)
	v_mad_co_u64_u32 v[16:17], null, s14, v25, 0
	v_mov_b32_e32 v7, v4
	v_cmp_gt_i64_e64 s4, s[4:5], v[10:11]
	v_mov_b32_e32 v9, v15
	s_lshl_b32 s30, s30, 8
	v_mov_b32_e32 v1, v12
	v_lshlrev_b64_e32 v[5:6], 3, v[6:7]
	v_mov_b32_e32 v4, v17
	v_lshlrev_b64_e32 v[7:8], 3, v[8:9]
	v_cmp_gt_i64_e64 s5, s[6:7], v[13:14]
	v_lshl_or_b32 v26, v25, 8, v19
	s_lshl_b64 s[26:27], s[44:45], 4
	v_mad_co_u64_u32 v[9:10], null, s15, v25, v[4:5]
	v_add_co_u32 v30, vcc_lo, s42, v5
	s_wait_alu 0xfffd
	v_add_co_ci_u32_e64 v31, null, s43, v6, vcc_lo
	v_and_b32_e32 v4, 0x1ff8, v18
	v_add_co_u32 v5, vcc_lo, v7, s30
	s_wait_alu 0xfffd
	v_add_co_ci_u32_e64 v6, null, 0, v8, vcc_lo
	v_mov_b32_e32 v17, v9
	s_delay_alu instid0(VALU_DEP_3) | instskip(SKIP_1) | instid1(VALU_DEP_3)
	v_add_co_u32 v4, vcc_lo, v5, v4
	s_wait_alu 0xfffd
	v_add_co_ci_u32_e64 v5, null, 0, v6, vcc_lo
	s_delay_alu instid0(VALU_DEP_3) | instskip(NEXT) | instid1(VALU_DEP_3)
	v_lshlrev_b64_e32 v[6:7], 3, v[16:17]
	v_add_co_u32 v4, vcc_lo, s18, v4
	s_wait_alu 0xfffd
	s_delay_alu instid0(VALU_DEP_3)
	v_add_co_ci_u32_e64 v5, null, s19, v5, vcc_lo
	s_lshl_b64 s[18:19], s[24:25], 8
	v_cmp_gt_i64_e64 s30, s[8:9], 0
	s_wait_alu 0xfffe
	v_add_co_u32 v6, vcc_lo, v6, s18
	s_wait_alu 0xfffd
	v_add_co_ci_u32_e64 v7, null, s19, v7, vcc_lo
	s_mov_b32 s21, 0
	v_add_co_u32 v6, vcc_lo, v6, v19
	s_wait_alu 0xfffd
	v_add_co_ci_u32_e64 v7, null, 0, v7, vcc_lo
	s_lshl_b64 s[6:7], s[50:51], 4
	v_add_co_u32 v6, vcc_lo, s12, v6
	s_wait_alu 0xfffd
	v_add_co_ci_u32_e64 v7, null, s13, v7, vcc_lo
	s_lshl_b64 s[18:19], s[38:39], 3
	s_lshl_b64 s[24:25], s[36:37], 6
	;; [unrolled: 1-line block ×5, first 2 shown]
	s_branch .LBB85_4
.LBB85_2:                               ;   in Loop: Header=BB85_4 Depth=1
	s_wait_alu 0xfffe
	s_or_b32 exec_lo, exec_lo, s31
.LBB85_3:                               ;   in Loop: Header=BB85_4 Depth=1
	s_add_co_i32 s20, s20, 0x10000
	s_wait_alu 0xfffe
	s_cmp_lt_i32 s20, s28
	s_cbranch_scc0 .LBB85_35
.LBB85_4:                               ; =>This Loop Header: Depth=1
                                        ;     Child Loop BB85_7 Depth 2
	s_and_not1_b32 vcc_lo, exec_lo, s30
	s_wait_alu 0xfffe
	s_cbranch_vccnz .LBB85_11
; %bb.5:                                ;   in Loop: Header=BB85_4 Depth=1
	v_mad_co_u64_u32 v[16:17], null, s18, s20, v[4:5]
	v_mad_co_u64_u32 v[18:19], null, s12, s20, v[6:7]
	v_mov_b32_e32 v12, 0
	v_dual_mov_b32 v13, 0 :: v_dual_mov_b32 v14, 0
	s_delay_alu instid0(VALU_DEP_4) | instskip(SKIP_1) | instid1(VALU_DEP_4)
	v_dual_mov_b32 v15, 0 :: v_dual_mov_b32 v8, v17
	s_mov_b64 s[26:27], 0
	v_mov_b32_e32 v9, v19
	s_delay_alu instid0(VALU_DEP_1)
	v_mad_co_u64_u32 v[19:20], null, s19, s20, v[8:9]
	v_mad_co_u64_u32 v[20:21], null, s13, s20, v[9:10]
	v_mov_b32_e32 v8, 0
	v_dual_mov_b32 v9, 0 :: v_dual_mov_b32 v10, 0
	v_mov_b32_e32 v11, 0
	v_mov_b32_e32 v17, v19
	;; [unrolled: 1-line block ×3, first 2 shown]
	s_branch .LBB85_7
.LBB85_6:                               ;   in Loop: Header=BB85_7 Depth=2
	s_wait_alu 0xfffe
	s_or_b32 exec_lo, exec_lo, s31
	s_wait_loadcnt 0x0
	ds_store_b64 v27, v[22:23]
	s_wait_dscnt 0x0
	s_barrier_signal -1
	s_barrier_wait -1
	global_inv scope:SCOPE_SE
	ds_load_b128 v[20:23], v29
	ds_load_2addr_b64 v[32:35], v28 offset1:16
	ds_load_b128 v[36:39], v29 offset:1024
	ds_load_b128 v[40:43], v29 offset:16
	ds_load_b128 v[44:47], v29 offset:1040
	s_add_nc_u64 s[26:27], s[26:27], 8
	v_add_co_u32 v16, vcc_lo, v16, s24
	s_wait_alu 0xfffe
	v_cmp_lt_i64_e64 s31, s[26:27], s[8:9]
	s_wait_alu 0xfffd
	v_add_co_ci_u32_e64 v17, null, s25, v17, vcc_lo
	v_add_co_u32 v18, vcc_lo, v18, s14
	s_wait_alu 0xfffd
	v_add_co_ci_u32_e64 v19, null, s15, v19, vcc_lo
	s_and_b32 vcc_lo, exec_lo, s31
	s_wait_dscnt 0x3
	v_fma_f64 v[14:15], v[32:33], v[20:21], v[14:15]
	v_fma_f64 v[12:13], v[34:35], v[20:21], v[12:13]
	s_wait_dscnt 0x2
	v_fma_f64 v[20:21], v[32:33], v[36:37], v[10:11]
	v_fma_f64 v[32:33], v[34:35], v[36:37], v[8:9]
	ds_load_2addr_b64 v[8:11], v28 offset0:32 offset1:48
	s_wait_dscnt 0x0
	v_fma_f64 v[14:15], v[8:9], v[22:23], v[14:15]
	v_fma_f64 v[12:13], v[10:11], v[22:23], v[12:13]
	v_fma_f64 v[20:21], v[8:9], v[38:39], v[20:21]
	v_fma_f64 v[22:23], v[10:11], v[38:39], v[32:33]
	ds_load_2addr_b64 v[8:11], v28 offset0:64 offset1:80
	s_wait_dscnt 0x0
	v_fma_f64 v[14:15], v[8:9], v[40:41], v[14:15]
	v_fma_f64 v[12:13], v[10:11], v[40:41], v[12:13]
	;; [unrolled: 6-line block ×3, first 2 shown]
	v_fma_f64 v[44:45], v[8:9], v[46:47], v[20:21]
	v_fma_f64 v[46:47], v[10:11], v[46:47], v[22:23]
	ds_load_b128 v[8:11], v29 offset:32
	ds_load_2addr_b64 v[12:15], v28 offset0:128 offset1:144
	ds_load_b128 v[20:23], v29 offset:1056
	ds_load_b128 v[32:35], v29 offset:48
	;; [unrolled: 1-line block ×3, first 2 shown]
	s_wait_dscnt 0x3
	v_fma_f64 v[40:41], v[12:13], v[8:9], v[40:41]
	v_fma_f64 v[8:9], v[14:15], v[8:9], v[42:43]
	s_wait_dscnt 0x2
	v_fma_f64 v[42:43], v[12:13], v[20:21], v[44:45]
	v_fma_f64 v[20:21], v[14:15], v[20:21], v[46:47]
	ds_load_2addr_b64 v[12:15], v28 offset0:160 offset1:176
	s_wait_dscnt 0x0
	v_fma_f64 v[40:41], v[12:13], v[10:11], v[40:41]
	v_fma_f64 v[44:45], v[14:15], v[10:11], v[8:9]
	;; [unrolled: 1-line block ×4, first 2 shown]
	ds_load_2addr_b64 v[8:11], v28 offset0:192 offset1:208
	ds_load_2addr_b64 v[20:23], v28 offset0:224 offset1:240
	s_wait_loadcnt_dscnt 0x0
	s_barrier_signal -1
	s_barrier_wait -1
	global_inv scope:SCOPE_SE
	v_fma_f64 v[40:41], v[8:9], v[32:33], v[40:41]
	v_fma_f64 v[32:33], v[10:11], v[32:33], v[44:45]
	;; [unrolled: 1-line block ×4, first 2 shown]
	s_delay_alu instid0(VALU_DEP_4) | instskip(NEXT) | instid1(VALU_DEP_4)
	v_fma_f64 v[14:15], v[20:21], v[34:35], v[40:41]
	v_fma_f64 v[12:13], v[22:23], v[34:35], v[32:33]
	s_delay_alu instid0(VALU_DEP_4) | instskip(NEXT) | instid1(VALU_DEP_4)
	v_fma_f64 v[10:11], v[20:21], v[38:39], v[8:9]
	v_fma_f64 v[8:9], v[22:23], v[38:39], v[36:37]
	s_wait_alu 0xfffe
	s_cbranch_vccz .LBB85_12
.LBB85_7:                               ;   Parent Loop BB85_4 Depth=1
                                        ; =>  This Inner Loop Header: Depth=2
	s_wait_alu 0xfffe
	v_add_co_u32 v20, s31, v25, s26
	s_wait_alu 0xf1ff
	v_add_co_ci_u32_e64 v21, null, 0, s27, s31
	s_delay_alu instid0(VALU_DEP_1) | instskip(SKIP_3) | instid1(SALU_CYCLE_1)
	v_cmp_gt_i64_e32 vcc_lo, s[8:9], v[20:21]
	v_mov_b32_e32 v20, 0
	v_mov_b32_e32 v21, 0
	s_and_b32 s33, s0, vcc_lo
	s_and_saveexec_b32 s31, s33
	s_cbranch_execz .LBB85_9
; %bb.8:                                ;   in Loop: Header=BB85_7 Depth=2
	global_load_b64 v[20:21], v[18:19], off
.LBB85_9:                               ;   in Loop: Header=BB85_7 Depth=2
	s_wait_alu 0xfffe
	s_or_b32 exec_lo, exec_lo, s31
	v_add_co_u32 v22, s31, v24, s26
	s_wait_alu 0xf1ff
	v_add_co_ci_u32_e64 v23, null, 0, s27, s31
	s_wait_loadcnt 0x0
	ds_store_b64 v26, v[20:21]
	v_cmp_gt_i64_e32 vcc_lo, s[8:9], v[22:23]
	v_mov_b32_e32 v22, 0
	v_mov_b32_e32 v23, 0
	s_and_b32 s33, vcc_lo, s1
	s_delay_alu instid0(SALU_CYCLE_1)
	s_and_saveexec_b32 s31, s33
	s_cbranch_execz .LBB85_6
; %bb.10:                               ;   in Loop: Header=BB85_7 Depth=2
	global_load_b64 v[22:23], v[16:17], off
	s_branch .LBB85_6
.LBB85_11:                              ;   in Loop: Header=BB85_4 Depth=1
	v_mov_b32_e32 v14, 0
	v_dual_mov_b32 v10, 0 :: v_dual_mov_b32 v15, 0
	v_dual_mov_b32 v12, 0 :: v_dual_mov_b32 v11, 0
	;; [unrolled: 1-line block ×3, first 2 shown]
	v_mov_b32_e32 v9, 0
.LBB85_12:                              ;   in Loop: Header=BB85_4 Depth=1
	s_mul_u64 s[26:27], s[22:23], s[20:21]
	s_and_not1_b32 vcc_lo, exec_lo, s29
	s_wait_alu 0xfffe
	s_lshl_b64 s[26:27], s[26:27], 3
	s_wait_alu 0xfffe
	s_add_nc_u64 s[26:27], s[48:49], s[26:27]
	s_cbranch_vccnz .LBB85_17
; %bb.13:                               ;   in Loop: Header=BB85_4 Depth=1
	s_and_saveexec_b32 s31, s2
	s_cbranch_execz .LBB85_24
; %bb.14:                               ;   in Loop: Header=BB85_4 Depth=1
	v_lshlrev_b64_e32 v[16:17], 3, v[0:1]
	s_wait_alu 0xfffe
	s_delay_alu instid0(VALU_DEP_1) | instskip(SKIP_1) | instid1(VALU_DEP_2)
	v_add_co_u32 v16, vcc_lo, s26, v16
	s_wait_alu 0xfffd
	v_add_co_ci_u32_e64 v17, null, s27, v17, vcc_lo
	s_and_saveexec_b32 s33, s3
	s_cbranch_execnz .LBB85_18
; %bb.15:                               ;   in Loop: Header=BB85_4 Depth=1
	s_or_b32 exec_lo, exec_lo, s33
	s_and_saveexec_b32 s33, s4
	s_cbranch_execnz .LBB85_19
.LBB85_16:                              ;   in Loop: Header=BB85_4 Depth=1
	s_or_b32 exec_lo, exec_lo, s33
	s_delay_alu instid0(SALU_CYCLE_1)
	s_and_b32 exec_lo, exec_lo, s5
	s_cbranch_execnz .LBB85_20
	s_branch .LBB85_24
.LBB85_17:                              ;   in Loop: Header=BB85_4 Depth=1
	s_branch .LBB85_25
.LBB85_18:                              ;   in Loop: Header=BB85_4 Depth=1
	v_mul_f64_e32 v[18:19], s[10:11], v[14:15]
	v_lshlrev_b64_e32 v[20:21], 3, v[2:3]
	s_delay_alu instid0(VALU_DEP_1) | instskip(SKIP_1) | instid1(VALU_DEP_2)
	v_add_co_u32 v20, vcc_lo, v16, v20
	s_wait_alu 0xfffd
	v_add_co_ci_u32_e64 v21, null, v17, v21, vcc_lo
	global_store_b64 v[20:21], v[18:19], off
	s_or_b32 exec_lo, exec_lo, s33
	s_and_saveexec_b32 s33, s4
	s_cbranch_execz .LBB85_16
.LBB85_19:                              ;   in Loop: Header=BB85_4 Depth=1
	v_mul_f64_e32 v[18:19], s[10:11], v[12:13]
	v_lshlrev_b64_e32 v[20:21], 3, v[2:3]
	s_delay_alu instid0(VALU_DEP_1) | instskip(SKIP_1) | instid1(VALU_DEP_2)
	v_add_co_u32 v20, vcc_lo, v16, v20
	s_wait_alu 0xfffd
	v_add_co_ci_u32_e64 v21, null, v17, v21, vcc_lo
	global_store_b64 v[20:21], v[18:19], off offset:128
	s_or_b32 exec_lo, exec_lo, s33
	s_delay_alu instid0(SALU_CYCLE_1)
	s_and_b32 exec_lo, exec_lo, s5
	s_cbranch_execz .LBB85_24
.LBB85_20:                              ;   in Loop: Header=BB85_4 Depth=1
	s_lshl_b64 s[34:35], s[6:7], 3
	v_lshlrev_b64_e32 v[18:19], 3, v[2:3]
	s_wait_alu 0xfffe
	v_add_co_u32 v16, vcc_lo, v16, s34
	s_wait_alu 0xfffd
	v_add_co_ci_u32_e64 v17, null, s35, v17, vcc_lo
	s_delay_alu instid0(VALU_DEP_2) | instskip(SKIP_1) | instid1(VALU_DEP_2)
	v_add_co_u32 v16, vcc_lo, v16, v18
	s_wait_alu 0xfffd
	v_add_co_ci_u32_e64 v17, null, v17, v19, vcc_lo
	s_and_saveexec_b32 s33, s3
	s_cbranch_execz .LBB85_22
; %bb.21:                               ;   in Loop: Header=BB85_4 Depth=1
	v_mul_f64_e32 v[18:19], s[10:11], v[10:11]
	global_store_b64 v[16:17], v[18:19], off
.LBB85_22:                              ;   in Loop: Header=BB85_4 Depth=1
	s_or_b32 exec_lo, exec_lo, s33
	s_delay_alu instid0(SALU_CYCLE_1)
	s_and_b32 exec_lo, exec_lo, s4
	s_cbranch_execz .LBB85_24
; %bb.23:                               ;   in Loop: Header=BB85_4 Depth=1
	v_mul_f64_e32 v[18:19], s[10:11], v[8:9]
	global_store_b64 v[16:17], v[18:19], off offset:128
.LBB85_24:                              ;   in Loop: Header=BB85_4 Depth=1
	s_wait_alu 0xfffe
	s_or_b32 exec_lo, exec_lo, s31
	s_cbranch_execnz .LBB85_3
.LBB85_25:                              ;   in Loop: Header=BB85_4 Depth=1
	s_and_saveexec_b32 s31, s2
	s_cbranch_execz .LBB85_2
; %bb.26:                               ;   in Loop: Header=BB85_4 Depth=1
	s_mul_u64 s[34:35], s[46:47], s[20:21]
	v_lshlrev_b64_e32 v[20:21], 3, v[0:1]
	s_wait_alu 0xfffe
	s_lshl_b64 s[34:35], s[34:35], 3
	v_lshlrev_b64_e32 v[16:17], 3, v[2:3]
	s_wait_alu 0xfffe
	v_add_co_u32 v18, vcc_lo, v30, s34
	s_wait_alu 0xfffd
	v_add_co_ci_u32_e64 v19, null, s35, v31, vcc_lo
	v_add_co_u32 v20, vcc_lo, s26, v20
	s_wait_alu 0xfffd
	v_add_co_ci_u32_e64 v21, null, s27, v21, vcc_lo
	s_and_saveexec_b32 s26, s3
	s_cbranch_execnz .LBB85_29
; %bb.27:                               ;   in Loop: Header=BB85_4 Depth=1
	s_wait_alu 0xfffe
	s_or_b32 exec_lo, exec_lo, s26
	s_and_saveexec_b32 s26, s4
	s_cbranch_execnz .LBB85_30
.LBB85_28:                              ;   in Loop: Header=BB85_4 Depth=1
	s_wait_alu 0xfffe
	s_or_b32 exec_lo, exec_lo, s26
	s_delay_alu instid0(SALU_CYCLE_1)
	s_and_b32 exec_lo, exec_lo, s5
	s_cbranch_execz .LBB85_2
	s_branch .LBB85_31
.LBB85_29:                              ;   in Loop: Header=BB85_4 Depth=1
	v_add_co_u32 v22, vcc_lo, v18, v16
	s_wait_alu 0xfffd
	v_add_co_ci_u32_e64 v23, null, v19, v17, vcc_lo
	global_load_b64 v[22:23], v[22:23], off
	s_wait_loadcnt 0x0
	v_mul_f64_e32 v[22:23], s[40:41], v[22:23]
	s_delay_alu instid0(VALU_DEP_1)
	v_fma_f64 v[14:15], s[10:11], v[14:15], v[22:23]
	v_add_co_u32 v22, vcc_lo, v20, v16
	s_wait_alu 0xfffd
	v_add_co_ci_u32_e64 v23, null, v21, v17, vcc_lo
	global_store_b64 v[22:23], v[14:15], off
	s_wait_alu 0xfffe
	s_or_b32 exec_lo, exec_lo, s26
	s_and_saveexec_b32 s26, s4
	s_cbranch_execz .LBB85_28
.LBB85_30:                              ;   in Loop: Header=BB85_4 Depth=1
	v_add_co_u32 v14, vcc_lo, v18, v16
	s_wait_alu 0xfffd
	v_add_co_ci_u32_e64 v15, null, v19, v17, vcc_lo
	global_load_b64 v[14:15], v[14:15], off offset:128
	s_wait_loadcnt 0x0
	v_mul_f64_e32 v[14:15], s[40:41], v[14:15]
	s_delay_alu instid0(VALU_DEP_1)
	v_fma_f64 v[12:13], s[10:11], v[12:13], v[14:15]
	v_add_co_u32 v14, vcc_lo, v20, v16
	s_wait_alu 0xfffd
	v_add_co_ci_u32_e64 v15, null, v21, v17, vcc_lo
	global_store_b64 v[14:15], v[12:13], off offset:128
	s_wait_alu 0xfffe
	s_or_b32 exec_lo, exec_lo, s26
	s_delay_alu instid0(SALU_CYCLE_1)
	s_and_b32 exec_lo, exec_lo, s5
	s_cbranch_execz .LBB85_2
.LBB85_31:                              ;   in Loop: Header=BB85_4 Depth=1
	v_add_co_u32 v12, vcc_lo, v18, s16
	s_lshl_b64 s[26:27], s[6:7], 3
	s_wait_alu 0xfffd
	v_add_co_ci_u32_e64 v13, null, s17, v19, vcc_lo
	s_wait_alu 0xfffe
	v_add_co_u32 v14, vcc_lo, v20, s26
	s_wait_alu 0xfffd
	v_add_co_ci_u32_e64 v15, null, s27, v21, vcc_lo
	v_add_co_u32 v12, vcc_lo, v12, v16
	s_wait_alu 0xfffd
	v_add_co_ci_u32_e64 v13, null, v13, v17, vcc_lo
	;; [unrolled: 3-line block ×3, first 2 shown]
	s_and_saveexec_b32 s26, s3
	s_cbranch_execz .LBB85_33
; %bb.32:                               ;   in Loop: Header=BB85_4 Depth=1
	global_load_b64 v[16:17], v[12:13], off
	s_wait_loadcnt 0x0
	v_mul_f64_e32 v[16:17], s[40:41], v[16:17]
	s_delay_alu instid0(VALU_DEP_1)
	v_fma_f64 v[10:11], s[10:11], v[10:11], v[16:17]
	global_store_b64 v[14:15], v[10:11], off
.LBB85_33:                              ;   in Loop: Header=BB85_4 Depth=1
	s_wait_alu 0xfffe
	s_or_b32 exec_lo, exec_lo, s26
	s_delay_alu instid0(SALU_CYCLE_1)
	s_and_b32 exec_lo, exec_lo, s4
	s_cbranch_execz .LBB85_2
; %bb.34:                               ;   in Loop: Header=BB85_4 Depth=1
	global_load_b64 v[10:11], v[12:13], off offset:128
	s_wait_loadcnt 0x0
	v_mul_f64_e32 v[10:11], s[40:41], v[10:11]
	s_delay_alu instid0(VALU_DEP_1)
	v_fma_f64 v[8:9], s[10:11], v[8:9], v[10:11]
	global_store_b64 v[14:15], v[8:9], off offset:128
	s_branch .LBB85_2
.LBB85_35:
	s_endpgm
	.section	.rodata,"a",@progbits
	.p2align	6, 0x0
	.amdhsa_kernel _ZN12_GLOBAL__N_135rocblas_gemm_batched_general_kernelIdLi16ELi16ELi32ELi32ELi8ELi32ELi8ELi8ELi32ELc78ELc67EKdS1_dEEvlllT_PT11_llS4_llS2_PT12_llPT13_lli
		.amdhsa_group_segment_fixed_size 4096
		.amdhsa_private_segment_fixed_size 0
		.amdhsa_kernarg_size 140
		.amdhsa_user_sgpr_count 2
		.amdhsa_user_sgpr_dispatch_ptr 0
		.amdhsa_user_sgpr_queue_ptr 0
		.amdhsa_user_sgpr_kernarg_segment_ptr 1
		.amdhsa_user_sgpr_dispatch_id 0
		.amdhsa_user_sgpr_private_segment_size 0
		.amdhsa_wavefront_size32 1
		.amdhsa_uses_dynamic_stack 0
		.amdhsa_enable_private_segment 0
		.amdhsa_system_sgpr_workgroup_id_x 1
		.amdhsa_system_sgpr_workgroup_id_y 1
		.amdhsa_system_sgpr_workgroup_id_z 1
		.amdhsa_system_sgpr_workgroup_info 0
		.amdhsa_system_vgpr_workitem_id 1
		.amdhsa_next_free_vgpr 48
		.amdhsa_next_free_sgpr 52
		.amdhsa_reserve_vcc 1
		.amdhsa_float_round_mode_32 0
		.amdhsa_float_round_mode_16_64 0
		.amdhsa_float_denorm_mode_32 3
		.amdhsa_float_denorm_mode_16_64 3
		.amdhsa_fp16_overflow 0
		.amdhsa_workgroup_processor_mode 1
		.amdhsa_memory_ordered 1
		.amdhsa_forward_progress 1
		.amdhsa_inst_pref_size 19
		.amdhsa_round_robin_scheduling 0
		.amdhsa_exception_fp_ieee_invalid_op 0
		.amdhsa_exception_fp_denorm_src 0
		.amdhsa_exception_fp_ieee_div_zero 0
		.amdhsa_exception_fp_ieee_overflow 0
		.amdhsa_exception_fp_ieee_underflow 0
		.amdhsa_exception_fp_ieee_inexact 0
		.amdhsa_exception_int_div_zero 0
	.end_amdhsa_kernel
	.section	.text._ZN12_GLOBAL__N_135rocblas_gemm_batched_general_kernelIdLi16ELi16ELi32ELi32ELi8ELi32ELi8ELi8ELi32ELc78ELc67EKdS1_dEEvlllT_PT11_llS4_llS2_PT12_llPT13_lli,"axG",@progbits,_ZN12_GLOBAL__N_135rocblas_gemm_batched_general_kernelIdLi16ELi16ELi32ELi32ELi8ELi32ELi8ELi8ELi32ELc78ELc67EKdS1_dEEvlllT_PT11_llS4_llS2_PT12_llPT13_lli,comdat
.Lfunc_end85:
	.size	_ZN12_GLOBAL__N_135rocblas_gemm_batched_general_kernelIdLi16ELi16ELi32ELi32ELi8ELi32ELi8ELi8ELi32ELc78ELc67EKdS1_dEEvlllT_PT11_llS4_llS2_PT12_llPT13_lli, .Lfunc_end85-_ZN12_GLOBAL__N_135rocblas_gemm_batched_general_kernelIdLi16ELi16ELi32ELi32ELi8ELi32ELi8ELi8ELi32ELc78ELc67EKdS1_dEEvlllT_PT11_llS4_llS2_PT12_llPT13_lli
                                        ; -- End function
	.set _ZN12_GLOBAL__N_135rocblas_gemm_batched_general_kernelIdLi16ELi16ELi32ELi32ELi8ELi32ELi8ELi8ELi32ELc78ELc67EKdS1_dEEvlllT_PT11_llS4_llS2_PT12_llPT13_lli.num_vgpr, 48
	.set _ZN12_GLOBAL__N_135rocblas_gemm_batched_general_kernelIdLi16ELi16ELi32ELi32ELi8ELi32ELi8ELi8ELi32ELc78ELc67EKdS1_dEEvlllT_PT11_llS4_llS2_PT12_llPT13_lli.num_agpr, 0
	.set _ZN12_GLOBAL__N_135rocblas_gemm_batched_general_kernelIdLi16ELi16ELi32ELi32ELi8ELi32ELi8ELi8ELi32ELc78ELc67EKdS1_dEEvlllT_PT11_llS4_llS2_PT12_llPT13_lli.numbered_sgpr, 52
	.set _ZN12_GLOBAL__N_135rocblas_gemm_batched_general_kernelIdLi16ELi16ELi32ELi32ELi8ELi32ELi8ELi8ELi32ELc78ELc67EKdS1_dEEvlllT_PT11_llS4_llS2_PT12_llPT13_lli.num_named_barrier, 0
	.set _ZN12_GLOBAL__N_135rocblas_gemm_batched_general_kernelIdLi16ELi16ELi32ELi32ELi8ELi32ELi8ELi8ELi32ELc78ELc67EKdS1_dEEvlllT_PT11_llS4_llS2_PT12_llPT13_lli.private_seg_size, 0
	.set _ZN12_GLOBAL__N_135rocblas_gemm_batched_general_kernelIdLi16ELi16ELi32ELi32ELi8ELi32ELi8ELi8ELi32ELc78ELc67EKdS1_dEEvlllT_PT11_llS4_llS2_PT12_llPT13_lli.uses_vcc, 1
	.set _ZN12_GLOBAL__N_135rocblas_gemm_batched_general_kernelIdLi16ELi16ELi32ELi32ELi8ELi32ELi8ELi8ELi32ELc78ELc67EKdS1_dEEvlllT_PT11_llS4_llS2_PT12_llPT13_lli.uses_flat_scratch, 0
	.set _ZN12_GLOBAL__N_135rocblas_gemm_batched_general_kernelIdLi16ELi16ELi32ELi32ELi8ELi32ELi8ELi8ELi32ELc78ELc67EKdS1_dEEvlllT_PT11_llS4_llS2_PT12_llPT13_lli.has_dyn_sized_stack, 0
	.set _ZN12_GLOBAL__N_135rocblas_gemm_batched_general_kernelIdLi16ELi16ELi32ELi32ELi8ELi32ELi8ELi8ELi32ELc78ELc67EKdS1_dEEvlllT_PT11_llS4_llS2_PT12_llPT13_lli.has_recursion, 0
	.set _ZN12_GLOBAL__N_135rocblas_gemm_batched_general_kernelIdLi16ELi16ELi32ELi32ELi8ELi32ELi8ELi8ELi32ELc78ELc67EKdS1_dEEvlllT_PT11_llS4_llS2_PT12_llPT13_lli.has_indirect_call, 0
	.section	.AMDGPU.csdata,"",@progbits
; Kernel info:
; codeLenInByte = 2420
; TotalNumSgprs: 54
; NumVgprs: 48
; ScratchSize: 0
; MemoryBound: 0
; FloatMode: 240
; IeeeMode: 1
; LDSByteSize: 4096 bytes/workgroup (compile time only)
; SGPRBlocks: 0
; VGPRBlocks: 5
; NumSGPRsForWavesPerEU: 54
; NumVGPRsForWavesPerEU: 48
; Occupancy: 16
; WaveLimiterHint : 0
; COMPUTE_PGM_RSRC2:SCRATCH_EN: 0
; COMPUTE_PGM_RSRC2:USER_SGPR: 2
; COMPUTE_PGM_RSRC2:TRAP_HANDLER: 0
; COMPUTE_PGM_RSRC2:TGID_X_EN: 1
; COMPUTE_PGM_RSRC2:TGID_Y_EN: 1
; COMPUTE_PGM_RSRC2:TGID_Z_EN: 1
; COMPUTE_PGM_RSRC2:TIDIG_COMP_CNT: 1
	.section	.text._ZN12_GLOBAL__N_135rocblas_gemm_batched_general_kernelIdLi16ELi16ELi32ELi32ELi8ELi32ELi8ELi8ELi32ELc84ELc67EKdS1_dEEvlllT_PT11_llS4_llS2_PT12_llPT13_lli,"axG",@progbits,_ZN12_GLOBAL__N_135rocblas_gemm_batched_general_kernelIdLi16ELi16ELi32ELi32ELi8ELi32ELi8ELi8ELi32ELc84ELc67EKdS1_dEEvlllT_PT11_llS4_llS2_PT12_llPT13_lli,comdat
	.globl	_ZN12_GLOBAL__N_135rocblas_gemm_batched_general_kernelIdLi16ELi16ELi32ELi32ELi8ELi32ELi8ELi8ELi32ELc84ELc67EKdS1_dEEvlllT_PT11_llS4_llS2_PT12_llPT13_lli ; -- Begin function _ZN12_GLOBAL__N_135rocblas_gemm_batched_general_kernelIdLi16ELi16ELi32ELi32ELi8ELi32ELi8ELi8ELi32ELc84ELc67EKdS1_dEEvlllT_PT11_llS4_llS2_PT12_llPT13_lli
	.p2align	8
	.type	_ZN12_GLOBAL__N_135rocblas_gemm_batched_general_kernelIdLi16ELi16ELi32ELi32ELi8ELi32ELi8ELi8ELi32ELc84ELc67EKdS1_dEEvlllT_PT11_llS4_llS2_PT12_llPT13_lli,@function
_ZN12_GLOBAL__N_135rocblas_gemm_batched_general_kernelIdLi16ELi16ELi32ELi32ELi8ELi32ELi8ELi8ELi32ELc84ELc67EKdS1_dEEvlllT_PT11_llS4_llS2_PT12_llPT13_lli: ; @_ZN12_GLOBAL__N_135rocblas_gemm_batched_general_kernelIdLi16ELi16ELi32ELi32ELi8ELi32ELi8ELi8ELi32ELc84ELc67EKdS1_dEEvlllT_PT11_llS4_llS2_PT12_llPT13_lli
; %bb.0:
	s_load_b32 s26, s[0:1], 0x88
	s_lshr_b32 s20, ttmp7, 16
	s_wait_kmcnt 0x0
	s_cmp_ge_i32 s20, s26
	s_cbranch_scc1 .LBB86_35
; %bb.1:
	s_clause 0x1
	s_load_b512 s[4:19], s[0:1], 0x0
	s_load_b512 s[36:51], s[0:1], 0x40
	v_bfe_u32 v2, v0, 10, 10
	v_and_b32_e32 v3, 0x3ff, v0
	s_mov_b32 s2, ttmp9
	s_ashr_i32 s3, ttmp9, 31
	s_and_b32 s28, ttmp7, 0xffff
	s_lshl_b64 s[24:25], s[2:3], 5
	v_lshl_add_u32 v17, v2, 4, v3
	v_dual_mov_b32 v5, s25 :: v_dual_and_b32 v24, 7, v0
	s_lshl_b32 s2, s28, 5
	s_load_b64 s[22:23], s[0:1], 0x80
	s_delay_alu instid0(VALU_DEP_2)
	v_lshrrev_b32_e32 v6, 3, v17
	v_lshrrev_b32_e32 v25, 5, v17
	v_lshlrev_b32_e32 v8, 3, v24
	v_lshl_add_u32 v29, v2, 6, 0x800
	s_mov_b32 s21, 0
	s_wait_kmcnt 0x0
	s_lshl_b64 s[16:17], s[16:17], 3
	v_mad_co_u64_u32 v[9:10], null, s36, v24, 0
	v_and_b32_e32 v0, 31, v17
	v_cmp_eq_f64_e64 s27, s[40:41], 0
	s_lshl_b64 s[30:31], s[44:45], 4
	v_or_b32_e32 v4, s24, v0
	v_lshlrev_b32_e32 v7, 3, v0
	v_add_co_u32 v0, s0, v6, s2
	s_delay_alu instid0(VALU_DEP_1) | instskip(NEXT) | instid1(VALU_DEP_4)
	v_add_co_ci_u32_e64 v1, null, 0, 0, s0
	v_cmp_gt_i64_e64 s0, s[4:5], v[4:5]
	v_add_co_u32 v5, s2, s2, v2
	v_lshl_or_b32 v6, v6, 6, v8
	v_lshl_or_b32 v26, v25, 8, v7
	v_cmp_gt_i64_e64 s1, s[6:7], v[0:1]
	s_delay_alu instid0(VALU_DEP_4) | instskip(SKIP_4) | instid1(VALU_DEP_4)
	v_mad_co_u64_u32 v[7:8], null, v5, s44, 0
	v_mad_co_u64_u32 v[0:1], null, v5, s50, 0
	v_add_nc_u32_e32 v27, 0x800, v6
	s_wait_alu 0xf1ff
	v_add_co_ci_u32_e64 v6, null, 0, 0, s2
	v_mad_co_u64_u32 v[13:14], null, v5, s45, v[8:9]
	s_delay_alu instid0(VALU_DEP_2) | instskip(NEXT) | instid1(VALU_DEP_2)
	v_cmp_gt_i64_e64 s2, s[6:7], v[5:6]
	v_mov_b32_e32 v8, v13
	v_add_co_u32 v2, s3, s24, v3
	v_lshlrev_b32_e32 v28, 3, v3
	s_wait_alu 0xf1ff
	v_add_co_ci_u32_e64 v3, null, s25, 0, s3
	s_delay_alu instid0(VALU_DEP_3) | instskip(SKIP_4) | instid1(VALU_DEP_4)
	v_mad_co_u64_u32 v[14:15], null, v5, s51, v[1:2]
	v_mov_b32_e32 v1, v10
	v_add_co_u32 v11, vcc_lo, v2, 16
	v_lshlrev_b64_e32 v[7:8], 3, v[7:8]
	v_add_co_ci_u32_e64 v12, null, 0, v3, vcc_lo
	v_mad_co_u64_u32 v[15:16], null, s37, v24, v[1:2]
	v_add_co_u32 v5, vcc_lo, v5, 16
	s_wait_alu 0xfffd
	v_add_co_ci_u32_e64 v6, null, 0, v6, vcc_lo
	v_add_co_u32 v30, vcc_lo, s42, v7
	s_delay_alu instid0(VALU_DEP_4)
	v_mov_b32_e32 v10, v15
	v_cmp_gt_i64_e64 s3, s[4:5], v[2:3]
	v_cmp_gt_i64_e64 s4, s[4:5], v[11:12]
	;; [unrolled: 1-line block ×3, first 2 shown]
	s_wait_alu 0xfffd
	v_add_co_ci_u32_e64 v31, null, s43, v8, vcc_lo
	v_lshlrev_b64_e32 v[5:6], 3, v[9:10]
	v_mul_lo_u32 v9, s15, v4
	v_mad_co_u64_u32 v[7:8], null, s14, v4, 0
	s_lshl_b32 s15, s28, 8
	v_and_b32_e32 v4, 0x1ff8, v17
	s_mul_i32 s14, s14, s25
	s_wait_alu 0xfffe
	v_add_co_u32 v5, vcc_lo, v5, s15
	s_wait_alu 0xfffd
	v_add_co_ci_u32_e64 v6, null, 0, v6, vcc_lo
	v_add3_u32 v8, v8, s14, v9
	s_delay_alu instid0(VALU_DEP_3) | instskip(SKIP_1) | instid1(VALU_DEP_3)
	v_add_co_u32 v4, vcc_lo, v5, v4
	s_wait_alu 0xfffd
	v_add_co_ci_u32_e64 v5, null, 0, v6, vcc_lo
	s_delay_alu instid0(VALU_DEP_3) | instskip(SKIP_4) | instid1(VALU_DEP_3)
	v_lshlrev_b64_e32 v[6:7], 3, v[7:8]
	v_lshlrev_b32_e32 v8, 3, v25
	v_add_co_u32 v4, vcc_lo, s18, v4
	s_wait_alu 0xfffd
	v_add_co_ci_u32_e64 v5, null, s19, v5, vcc_lo
	v_add_co_u32 v6, vcc_lo, v6, v8
	s_wait_alu 0xfffd
	v_add_co_ci_u32_e64 v7, null, 0, v7, vcc_lo
	v_cmp_gt_i64_e64 s28, s[8:9], 0
	s_delay_alu instid0(VALU_DEP_3)
	v_add_co_u32 v6, vcc_lo, s12, v6
	v_mov_b32_e32 v1, v14
	s_wait_alu 0xfffd
	v_add_co_ci_u32_e64 v7, null, s13, v7, vcc_lo
	s_lshl_b64 s[6:7], s[50:51], 4
	s_lshl_b64 s[14:15], s[38:39], 3
	s_lshl_b64 s[12:13], s[36:37], 6
	s_lshl_b64 s[18:19], s[30:31], 3
	s_branch .LBB86_4
.LBB86_2:                               ;   in Loop: Header=BB86_4 Depth=1
	s_wait_alu 0xfffe
	s_or_b32 exec_lo, exec_lo, s29
.LBB86_3:                               ;   in Loop: Header=BB86_4 Depth=1
	s_add_co_i32 s20, s20, 0x10000
	s_wait_alu 0xfffe
	s_cmp_lt_i32 s20, s26
	s_cbranch_scc0 .LBB86_35
.LBB86_4:                               ; =>This Loop Header: Depth=1
                                        ;     Child Loop BB86_7 Depth 2
	s_and_not1_b32 vcc_lo, exec_lo, s28
	s_wait_alu 0xfffe
	s_cbranch_vccnz .LBB86_11
; %bb.5:                                ;   in Loop: Header=BB86_4 Depth=1
	v_mad_co_u64_u32 v[16:17], null, s14, s20, v[4:5]
	v_mad_co_u64_u32 v[18:19], null, s16, s20, v[6:7]
	v_mov_b32_e32 v12, 0
	v_dual_mov_b32 v13, 0 :: v_dual_mov_b32 v14, 0
	s_delay_alu instid0(VALU_DEP_4) | instskip(SKIP_1) | instid1(VALU_DEP_4)
	v_dual_mov_b32 v15, 0 :: v_dual_mov_b32 v8, v17
	s_mov_b64 s[24:25], 0
	v_mov_b32_e32 v9, v19
	s_delay_alu instid0(VALU_DEP_1)
	v_mad_co_u64_u32 v[19:20], null, s15, s20, v[8:9]
	v_mad_co_u64_u32 v[20:21], null, s17, s20, v[9:10]
	v_mov_b32_e32 v8, 0
	v_dual_mov_b32 v9, 0 :: v_dual_mov_b32 v10, 0
	v_mov_b32_e32 v11, 0
	v_mov_b32_e32 v17, v19
	;; [unrolled: 1-line block ×3, first 2 shown]
	s_branch .LBB86_7
.LBB86_6:                               ;   in Loop: Header=BB86_7 Depth=2
	s_wait_alu 0xfffe
	s_or_b32 exec_lo, exec_lo, s29
	s_wait_loadcnt 0x0
	ds_store_b64 v27, v[22:23]
	s_wait_dscnt 0x0
	s_barrier_signal -1
	s_barrier_wait -1
	global_inv scope:SCOPE_SE
	ds_load_b128 v[20:23], v29
	ds_load_2addr_b64 v[32:35], v28 offset1:16
	ds_load_b128 v[36:39], v29 offset:1024
	ds_load_b128 v[40:43], v29 offset:16
	;; [unrolled: 1-line block ×3, first 2 shown]
	s_add_nc_u64 s[24:25], s[24:25], 8
	v_add_co_u32 v16, vcc_lo, v16, s12
	s_wait_alu 0xfffe
	v_cmp_lt_i64_e64 s29, s[24:25], s[8:9]
	s_wait_alu 0xfffd
	v_add_co_ci_u32_e64 v17, null, s13, v17, vcc_lo
	v_add_co_u32 v18, vcc_lo, v18, 64
	s_wait_alu 0xfffd
	v_add_co_ci_u32_e64 v19, null, 0, v19, vcc_lo
	s_and_b32 vcc_lo, exec_lo, s29
	s_wait_dscnt 0x3
	v_fma_f64 v[14:15], v[32:33], v[20:21], v[14:15]
	v_fma_f64 v[12:13], v[34:35], v[20:21], v[12:13]
	s_wait_dscnt 0x2
	v_fma_f64 v[20:21], v[32:33], v[36:37], v[10:11]
	v_fma_f64 v[32:33], v[34:35], v[36:37], v[8:9]
	ds_load_2addr_b64 v[8:11], v28 offset0:32 offset1:48
	s_wait_dscnt 0x0
	v_fma_f64 v[14:15], v[8:9], v[22:23], v[14:15]
	v_fma_f64 v[12:13], v[10:11], v[22:23], v[12:13]
	v_fma_f64 v[20:21], v[8:9], v[38:39], v[20:21]
	v_fma_f64 v[22:23], v[10:11], v[38:39], v[32:33]
	ds_load_2addr_b64 v[8:11], v28 offset0:64 offset1:80
	s_wait_dscnt 0x0
	v_fma_f64 v[14:15], v[8:9], v[40:41], v[14:15]
	v_fma_f64 v[12:13], v[10:11], v[40:41], v[12:13]
	;; [unrolled: 6-line block ×3, first 2 shown]
	v_fma_f64 v[44:45], v[8:9], v[46:47], v[20:21]
	v_fma_f64 v[46:47], v[10:11], v[46:47], v[22:23]
	ds_load_b128 v[8:11], v29 offset:32
	ds_load_2addr_b64 v[12:15], v28 offset0:128 offset1:144
	ds_load_b128 v[20:23], v29 offset:1056
	ds_load_b128 v[32:35], v29 offset:48
	;; [unrolled: 1-line block ×3, first 2 shown]
	s_wait_dscnt 0x3
	v_fma_f64 v[40:41], v[12:13], v[8:9], v[40:41]
	v_fma_f64 v[8:9], v[14:15], v[8:9], v[42:43]
	s_wait_dscnt 0x2
	v_fma_f64 v[42:43], v[12:13], v[20:21], v[44:45]
	v_fma_f64 v[20:21], v[14:15], v[20:21], v[46:47]
	ds_load_2addr_b64 v[12:15], v28 offset0:160 offset1:176
	s_wait_dscnt 0x0
	v_fma_f64 v[40:41], v[12:13], v[10:11], v[40:41]
	v_fma_f64 v[44:45], v[14:15], v[10:11], v[8:9]
	;; [unrolled: 1-line block ×4, first 2 shown]
	ds_load_2addr_b64 v[8:11], v28 offset0:192 offset1:208
	ds_load_2addr_b64 v[20:23], v28 offset0:224 offset1:240
	s_wait_loadcnt_dscnt 0x0
	s_barrier_signal -1
	s_barrier_wait -1
	global_inv scope:SCOPE_SE
	v_fma_f64 v[40:41], v[8:9], v[32:33], v[40:41]
	v_fma_f64 v[32:33], v[10:11], v[32:33], v[44:45]
	;; [unrolled: 1-line block ×4, first 2 shown]
	s_delay_alu instid0(VALU_DEP_4) | instskip(NEXT) | instid1(VALU_DEP_4)
	v_fma_f64 v[14:15], v[20:21], v[34:35], v[40:41]
	v_fma_f64 v[12:13], v[22:23], v[34:35], v[32:33]
	s_delay_alu instid0(VALU_DEP_4) | instskip(NEXT) | instid1(VALU_DEP_4)
	v_fma_f64 v[10:11], v[20:21], v[38:39], v[8:9]
	v_fma_f64 v[8:9], v[22:23], v[38:39], v[36:37]
	s_wait_alu 0xfffe
	s_cbranch_vccz .LBB86_12
.LBB86_7:                               ;   Parent Loop BB86_4 Depth=1
                                        ; =>  This Inner Loop Header: Depth=2
	s_wait_alu 0xfffe
	v_add_co_u32 v20, s29, v25, s24
	s_wait_alu 0xf1ff
	v_add_co_ci_u32_e64 v21, null, 0, s25, s29
	s_delay_alu instid0(VALU_DEP_1)
	v_cmp_gt_i64_e32 vcc_lo, s[8:9], v[20:21]
	v_mov_b32_e32 v20, 0
	v_mov_b32_e32 v21, 0
	s_and_b32 s30, s0, vcc_lo
	s_wait_alu 0xfffe
	s_and_saveexec_b32 s29, s30
	s_cbranch_execz .LBB86_9
; %bb.8:                                ;   in Loop: Header=BB86_7 Depth=2
	global_load_b64 v[20:21], v[18:19], off
.LBB86_9:                               ;   in Loop: Header=BB86_7 Depth=2
	s_wait_alu 0xfffe
	s_or_b32 exec_lo, exec_lo, s29
	v_add_co_u32 v22, s29, v24, s24
	s_wait_alu 0xf1ff
	v_add_co_ci_u32_e64 v23, null, 0, s25, s29
	s_wait_loadcnt 0x0
	ds_store_b64 v26, v[20:21]
	v_cmp_gt_i64_e32 vcc_lo, s[8:9], v[22:23]
	v_mov_b32_e32 v22, 0
	v_mov_b32_e32 v23, 0
	s_and_b32 s30, vcc_lo, s1
	s_wait_alu 0xfffe
	s_and_saveexec_b32 s29, s30
	s_cbranch_execz .LBB86_6
; %bb.10:                               ;   in Loop: Header=BB86_7 Depth=2
	global_load_b64 v[22:23], v[16:17], off
	s_branch .LBB86_6
.LBB86_11:                              ;   in Loop: Header=BB86_4 Depth=1
	v_mov_b32_e32 v14, 0
	v_dual_mov_b32 v10, 0 :: v_dual_mov_b32 v15, 0
	v_dual_mov_b32 v12, 0 :: v_dual_mov_b32 v11, 0
	;; [unrolled: 1-line block ×3, first 2 shown]
	v_mov_b32_e32 v9, 0
.LBB86_12:                              ;   in Loop: Header=BB86_4 Depth=1
	s_mul_u64 s[24:25], s[22:23], s[20:21]
	s_and_not1_b32 vcc_lo, exec_lo, s27
	s_wait_alu 0xfffe
	s_lshl_b64 s[24:25], s[24:25], 3
	s_wait_alu 0xfffe
	s_add_nc_u64 s[24:25], s[48:49], s[24:25]
	s_cbranch_vccnz .LBB86_17
; %bb.13:                               ;   in Loop: Header=BB86_4 Depth=1
	s_and_saveexec_b32 s29, s2
	s_cbranch_execz .LBB86_24
; %bb.14:                               ;   in Loop: Header=BB86_4 Depth=1
	v_lshlrev_b64_e32 v[16:17], 3, v[0:1]
	s_wait_alu 0xfffe
	s_delay_alu instid0(VALU_DEP_1) | instskip(SKIP_1) | instid1(VALU_DEP_2)
	v_add_co_u32 v16, vcc_lo, s24, v16
	s_wait_alu 0xfffd
	v_add_co_ci_u32_e64 v17, null, s25, v17, vcc_lo
	s_and_saveexec_b32 s30, s3
	s_cbranch_execnz .LBB86_18
; %bb.15:                               ;   in Loop: Header=BB86_4 Depth=1
	s_wait_alu 0xfffe
	s_or_b32 exec_lo, exec_lo, s30
	s_and_saveexec_b32 s30, s4
	s_cbranch_execnz .LBB86_19
.LBB86_16:                              ;   in Loop: Header=BB86_4 Depth=1
	s_wait_alu 0xfffe
	s_or_b32 exec_lo, exec_lo, s30
	s_delay_alu instid0(SALU_CYCLE_1)
	s_and_b32 exec_lo, exec_lo, s5
	s_cbranch_execnz .LBB86_20
	s_branch .LBB86_24
.LBB86_17:                              ;   in Loop: Header=BB86_4 Depth=1
	s_branch .LBB86_25
.LBB86_18:                              ;   in Loop: Header=BB86_4 Depth=1
	v_mul_f64_e32 v[18:19], s[10:11], v[14:15]
	v_lshlrev_b64_e32 v[20:21], 3, v[2:3]
	s_delay_alu instid0(VALU_DEP_1) | instskip(SKIP_1) | instid1(VALU_DEP_2)
	v_add_co_u32 v20, vcc_lo, v16, v20
	s_wait_alu 0xfffd
	v_add_co_ci_u32_e64 v21, null, v17, v21, vcc_lo
	global_store_b64 v[20:21], v[18:19], off
	s_wait_alu 0xfffe
	s_or_b32 exec_lo, exec_lo, s30
	s_and_saveexec_b32 s30, s4
	s_cbranch_execz .LBB86_16
.LBB86_19:                              ;   in Loop: Header=BB86_4 Depth=1
	v_mul_f64_e32 v[18:19], s[10:11], v[12:13]
	v_lshlrev_b64_e32 v[20:21], 3, v[2:3]
	s_delay_alu instid0(VALU_DEP_1) | instskip(SKIP_1) | instid1(VALU_DEP_2)
	v_add_co_u32 v20, vcc_lo, v16, v20
	s_wait_alu 0xfffd
	v_add_co_ci_u32_e64 v21, null, v17, v21, vcc_lo
	global_store_b64 v[20:21], v[18:19], off offset:128
	s_wait_alu 0xfffe
	s_or_b32 exec_lo, exec_lo, s30
	s_delay_alu instid0(SALU_CYCLE_1)
	s_and_b32 exec_lo, exec_lo, s5
	s_cbranch_execz .LBB86_24
.LBB86_20:                              ;   in Loop: Header=BB86_4 Depth=1
	s_lshl_b64 s[30:31], s[6:7], 3
	v_lshlrev_b64_e32 v[18:19], 3, v[2:3]
	s_wait_alu 0xfffe
	v_add_co_u32 v16, vcc_lo, v16, s30
	s_wait_alu 0xfffd
	v_add_co_ci_u32_e64 v17, null, s31, v17, vcc_lo
	s_delay_alu instid0(VALU_DEP_2) | instskip(SKIP_1) | instid1(VALU_DEP_2)
	v_add_co_u32 v16, vcc_lo, v16, v18
	s_wait_alu 0xfffd
	v_add_co_ci_u32_e64 v17, null, v17, v19, vcc_lo
	s_and_saveexec_b32 s30, s3
	s_cbranch_execz .LBB86_22
; %bb.21:                               ;   in Loop: Header=BB86_4 Depth=1
	v_mul_f64_e32 v[18:19], s[10:11], v[10:11]
	global_store_b64 v[16:17], v[18:19], off
.LBB86_22:                              ;   in Loop: Header=BB86_4 Depth=1
	s_wait_alu 0xfffe
	s_or_b32 exec_lo, exec_lo, s30
	s_delay_alu instid0(SALU_CYCLE_1)
	s_and_b32 exec_lo, exec_lo, s4
	s_cbranch_execz .LBB86_24
; %bb.23:                               ;   in Loop: Header=BB86_4 Depth=1
	v_mul_f64_e32 v[18:19], s[10:11], v[8:9]
	global_store_b64 v[16:17], v[18:19], off offset:128
.LBB86_24:                              ;   in Loop: Header=BB86_4 Depth=1
	s_wait_alu 0xfffe
	s_or_b32 exec_lo, exec_lo, s29
	s_cbranch_execnz .LBB86_3
.LBB86_25:                              ;   in Loop: Header=BB86_4 Depth=1
	s_and_saveexec_b32 s29, s2
	s_cbranch_execz .LBB86_2
; %bb.26:                               ;   in Loop: Header=BB86_4 Depth=1
	s_mul_u64 s[30:31], s[46:47], s[20:21]
	v_lshlrev_b64_e32 v[20:21], 3, v[0:1]
	s_wait_alu 0xfffe
	s_lshl_b64 s[30:31], s[30:31], 3
	v_lshlrev_b64_e32 v[16:17], 3, v[2:3]
	s_wait_alu 0xfffe
	v_add_co_u32 v18, vcc_lo, v30, s30
	s_wait_alu 0xfffd
	v_add_co_ci_u32_e64 v19, null, s31, v31, vcc_lo
	v_add_co_u32 v20, vcc_lo, s24, v20
	s_wait_alu 0xfffd
	v_add_co_ci_u32_e64 v21, null, s25, v21, vcc_lo
	s_and_saveexec_b32 s24, s3
	s_cbranch_execnz .LBB86_29
; %bb.27:                               ;   in Loop: Header=BB86_4 Depth=1
	s_wait_alu 0xfffe
	s_or_b32 exec_lo, exec_lo, s24
	s_and_saveexec_b32 s24, s4
	s_cbranch_execnz .LBB86_30
.LBB86_28:                              ;   in Loop: Header=BB86_4 Depth=1
	s_wait_alu 0xfffe
	s_or_b32 exec_lo, exec_lo, s24
	s_delay_alu instid0(SALU_CYCLE_1)
	s_and_b32 exec_lo, exec_lo, s5
	s_cbranch_execz .LBB86_2
	s_branch .LBB86_31
.LBB86_29:                              ;   in Loop: Header=BB86_4 Depth=1
	v_add_co_u32 v22, vcc_lo, v18, v16
	s_wait_alu 0xfffd
	v_add_co_ci_u32_e64 v23, null, v19, v17, vcc_lo
	global_load_b64 v[22:23], v[22:23], off
	s_wait_loadcnt 0x0
	v_mul_f64_e32 v[22:23], s[40:41], v[22:23]
	s_delay_alu instid0(VALU_DEP_1)
	v_fma_f64 v[14:15], s[10:11], v[14:15], v[22:23]
	v_add_co_u32 v22, vcc_lo, v20, v16
	s_wait_alu 0xfffd
	v_add_co_ci_u32_e64 v23, null, v21, v17, vcc_lo
	global_store_b64 v[22:23], v[14:15], off
	s_wait_alu 0xfffe
	s_or_b32 exec_lo, exec_lo, s24
	s_and_saveexec_b32 s24, s4
	s_cbranch_execz .LBB86_28
.LBB86_30:                              ;   in Loop: Header=BB86_4 Depth=1
	v_add_co_u32 v14, vcc_lo, v18, v16
	s_wait_alu 0xfffd
	v_add_co_ci_u32_e64 v15, null, v19, v17, vcc_lo
	global_load_b64 v[14:15], v[14:15], off offset:128
	s_wait_loadcnt 0x0
	v_mul_f64_e32 v[14:15], s[40:41], v[14:15]
	s_delay_alu instid0(VALU_DEP_1)
	v_fma_f64 v[12:13], s[10:11], v[12:13], v[14:15]
	v_add_co_u32 v14, vcc_lo, v20, v16
	s_wait_alu 0xfffd
	v_add_co_ci_u32_e64 v15, null, v21, v17, vcc_lo
	global_store_b64 v[14:15], v[12:13], off offset:128
	s_wait_alu 0xfffe
	s_or_b32 exec_lo, exec_lo, s24
	s_delay_alu instid0(SALU_CYCLE_1)
	s_and_b32 exec_lo, exec_lo, s5
	s_cbranch_execz .LBB86_2
.LBB86_31:                              ;   in Loop: Header=BB86_4 Depth=1
	v_add_co_u32 v12, vcc_lo, v18, s18
	s_lshl_b64 s[24:25], s[6:7], 3
	s_wait_alu 0xfffd
	v_add_co_ci_u32_e64 v13, null, s19, v19, vcc_lo
	s_wait_alu 0xfffe
	v_add_co_u32 v14, vcc_lo, v20, s24
	s_wait_alu 0xfffd
	v_add_co_ci_u32_e64 v15, null, s25, v21, vcc_lo
	v_add_co_u32 v12, vcc_lo, v12, v16
	s_wait_alu 0xfffd
	v_add_co_ci_u32_e64 v13, null, v13, v17, vcc_lo
	;; [unrolled: 3-line block ×3, first 2 shown]
	s_and_saveexec_b32 s24, s3
	s_cbranch_execz .LBB86_33
; %bb.32:                               ;   in Loop: Header=BB86_4 Depth=1
	global_load_b64 v[16:17], v[12:13], off
	s_wait_loadcnt 0x0
	v_mul_f64_e32 v[16:17], s[40:41], v[16:17]
	s_delay_alu instid0(VALU_DEP_1)
	v_fma_f64 v[10:11], s[10:11], v[10:11], v[16:17]
	global_store_b64 v[14:15], v[10:11], off
.LBB86_33:                              ;   in Loop: Header=BB86_4 Depth=1
	s_wait_alu 0xfffe
	s_or_b32 exec_lo, exec_lo, s24
	s_delay_alu instid0(SALU_CYCLE_1)
	s_and_b32 exec_lo, exec_lo, s4
	s_cbranch_execz .LBB86_2
; %bb.34:                               ;   in Loop: Header=BB86_4 Depth=1
	global_load_b64 v[10:11], v[12:13], off offset:128
	s_wait_loadcnt 0x0
	v_mul_f64_e32 v[10:11], s[40:41], v[10:11]
	s_delay_alu instid0(VALU_DEP_1)
	v_fma_f64 v[8:9], s[10:11], v[8:9], v[10:11]
	global_store_b64 v[14:15], v[8:9], off offset:128
	s_branch .LBB86_2
.LBB86_35:
	s_endpgm
	.section	.rodata,"a",@progbits
	.p2align	6, 0x0
	.amdhsa_kernel _ZN12_GLOBAL__N_135rocblas_gemm_batched_general_kernelIdLi16ELi16ELi32ELi32ELi8ELi32ELi8ELi8ELi32ELc84ELc67EKdS1_dEEvlllT_PT11_llS4_llS2_PT12_llPT13_lli
		.amdhsa_group_segment_fixed_size 4096
		.amdhsa_private_segment_fixed_size 0
		.amdhsa_kernarg_size 140
		.amdhsa_user_sgpr_count 2
		.amdhsa_user_sgpr_dispatch_ptr 0
		.amdhsa_user_sgpr_queue_ptr 0
		.amdhsa_user_sgpr_kernarg_segment_ptr 1
		.amdhsa_user_sgpr_dispatch_id 0
		.amdhsa_user_sgpr_private_segment_size 0
		.amdhsa_wavefront_size32 1
		.amdhsa_uses_dynamic_stack 0
		.amdhsa_enable_private_segment 0
		.amdhsa_system_sgpr_workgroup_id_x 1
		.amdhsa_system_sgpr_workgroup_id_y 1
		.amdhsa_system_sgpr_workgroup_id_z 1
		.amdhsa_system_sgpr_workgroup_info 0
		.amdhsa_system_vgpr_workitem_id 1
		.amdhsa_next_free_vgpr 48
		.amdhsa_next_free_sgpr 52
		.amdhsa_reserve_vcc 1
		.amdhsa_float_round_mode_32 0
		.amdhsa_float_round_mode_16_64 0
		.amdhsa_float_denorm_mode_32 3
		.amdhsa_float_denorm_mode_16_64 3
		.amdhsa_fp16_overflow 0
		.amdhsa_workgroup_processor_mode 1
		.amdhsa_memory_ordered 1
		.amdhsa_forward_progress 1
		.amdhsa_inst_pref_size 19
		.amdhsa_round_robin_scheduling 0
		.amdhsa_exception_fp_ieee_invalid_op 0
		.amdhsa_exception_fp_denorm_src 0
		.amdhsa_exception_fp_ieee_div_zero 0
		.amdhsa_exception_fp_ieee_overflow 0
		.amdhsa_exception_fp_ieee_underflow 0
		.amdhsa_exception_fp_ieee_inexact 0
		.amdhsa_exception_int_div_zero 0
	.end_amdhsa_kernel
	.section	.text._ZN12_GLOBAL__N_135rocblas_gemm_batched_general_kernelIdLi16ELi16ELi32ELi32ELi8ELi32ELi8ELi8ELi32ELc84ELc67EKdS1_dEEvlllT_PT11_llS4_llS2_PT12_llPT13_lli,"axG",@progbits,_ZN12_GLOBAL__N_135rocblas_gemm_batched_general_kernelIdLi16ELi16ELi32ELi32ELi8ELi32ELi8ELi8ELi32ELc84ELc67EKdS1_dEEvlllT_PT11_llS4_llS2_PT12_llPT13_lli,comdat
.Lfunc_end86:
	.size	_ZN12_GLOBAL__N_135rocblas_gemm_batched_general_kernelIdLi16ELi16ELi32ELi32ELi8ELi32ELi8ELi8ELi32ELc84ELc67EKdS1_dEEvlllT_PT11_llS4_llS2_PT12_llPT13_lli, .Lfunc_end86-_ZN12_GLOBAL__N_135rocblas_gemm_batched_general_kernelIdLi16ELi16ELi32ELi32ELi8ELi32ELi8ELi8ELi32ELc84ELc67EKdS1_dEEvlllT_PT11_llS4_llS2_PT12_llPT13_lli
                                        ; -- End function
	.set _ZN12_GLOBAL__N_135rocblas_gemm_batched_general_kernelIdLi16ELi16ELi32ELi32ELi8ELi32ELi8ELi8ELi32ELc84ELc67EKdS1_dEEvlllT_PT11_llS4_llS2_PT12_llPT13_lli.num_vgpr, 48
	.set _ZN12_GLOBAL__N_135rocblas_gemm_batched_general_kernelIdLi16ELi16ELi32ELi32ELi8ELi32ELi8ELi8ELi32ELc84ELc67EKdS1_dEEvlllT_PT11_llS4_llS2_PT12_llPT13_lli.num_agpr, 0
	.set _ZN12_GLOBAL__N_135rocblas_gemm_batched_general_kernelIdLi16ELi16ELi32ELi32ELi8ELi32ELi8ELi8ELi32ELc84ELc67EKdS1_dEEvlllT_PT11_llS4_llS2_PT12_llPT13_lli.numbered_sgpr, 52
	.set _ZN12_GLOBAL__N_135rocblas_gemm_batched_general_kernelIdLi16ELi16ELi32ELi32ELi8ELi32ELi8ELi8ELi32ELc84ELc67EKdS1_dEEvlllT_PT11_llS4_llS2_PT12_llPT13_lli.num_named_barrier, 0
	.set _ZN12_GLOBAL__N_135rocblas_gemm_batched_general_kernelIdLi16ELi16ELi32ELi32ELi8ELi32ELi8ELi8ELi32ELc84ELc67EKdS1_dEEvlllT_PT11_llS4_llS2_PT12_llPT13_lli.private_seg_size, 0
	.set _ZN12_GLOBAL__N_135rocblas_gemm_batched_general_kernelIdLi16ELi16ELi32ELi32ELi8ELi32ELi8ELi8ELi32ELc84ELc67EKdS1_dEEvlllT_PT11_llS4_llS2_PT12_llPT13_lli.uses_vcc, 1
	.set _ZN12_GLOBAL__N_135rocblas_gemm_batched_general_kernelIdLi16ELi16ELi32ELi32ELi8ELi32ELi8ELi8ELi32ELc84ELc67EKdS1_dEEvlllT_PT11_llS4_llS2_PT12_llPT13_lli.uses_flat_scratch, 0
	.set _ZN12_GLOBAL__N_135rocblas_gemm_batched_general_kernelIdLi16ELi16ELi32ELi32ELi8ELi32ELi8ELi8ELi32ELc84ELc67EKdS1_dEEvlllT_PT11_llS4_llS2_PT12_llPT13_lli.has_dyn_sized_stack, 0
	.set _ZN12_GLOBAL__N_135rocblas_gemm_batched_general_kernelIdLi16ELi16ELi32ELi32ELi8ELi32ELi8ELi8ELi32ELc84ELc67EKdS1_dEEvlllT_PT11_llS4_llS2_PT12_llPT13_lli.has_recursion, 0
	.set _ZN12_GLOBAL__N_135rocblas_gemm_batched_general_kernelIdLi16ELi16ELi32ELi32ELi8ELi32ELi8ELi8ELi32ELc84ELc67EKdS1_dEEvlllT_PT11_llS4_llS2_PT12_llPT13_lli.has_indirect_call, 0
	.section	.AMDGPU.csdata,"",@progbits
; Kernel info:
; codeLenInByte = 2432
; TotalNumSgprs: 54
; NumVgprs: 48
; ScratchSize: 0
; MemoryBound: 0
; FloatMode: 240
; IeeeMode: 1
; LDSByteSize: 4096 bytes/workgroup (compile time only)
; SGPRBlocks: 0
; VGPRBlocks: 5
; NumSGPRsForWavesPerEU: 54
; NumVGPRsForWavesPerEU: 48
; Occupancy: 16
; WaveLimiterHint : 0
; COMPUTE_PGM_RSRC2:SCRATCH_EN: 0
; COMPUTE_PGM_RSRC2:USER_SGPR: 2
; COMPUTE_PGM_RSRC2:TRAP_HANDLER: 0
; COMPUTE_PGM_RSRC2:TGID_X_EN: 1
; COMPUTE_PGM_RSRC2:TGID_Y_EN: 1
; COMPUTE_PGM_RSRC2:TGID_Z_EN: 1
; COMPUTE_PGM_RSRC2:TIDIG_COMP_CNT: 1
	.section	.text._ZN12_GLOBAL__N_125rocblas_gemm_scale_kernelILi32ELi32E19rocblas_complex_numIfEPS2_EEviiT1_T2_llli,"axG",@progbits,_ZN12_GLOBAL__N_125rocblas_gemm_scale_kernelILi32ELi32E19rocblas_complex_numIfEPS2_EEviiT1_T2_llli,comdat
	.globl	_ZN12_GLOBAL__N_125rocblas_gemm_scale_kernelILi32ELi32E19rocblas_complex_numIfEPS2_EEviiT1_T2_llli ; -- Begin function _ZN12_GLOBAL__N_125rocblas_gemm_scale_kernelILi32ELi32E19rocblas_complex_numIfEPS2_EEviiT1_T2_llli
	.p2align	8
	.type	_ZN12_GLOBAL__N_125rocblas_gemm_scale_kernelILi32ELi32E19rocblas_complex_numIfEPS2_EEviiT1_T2_llli,@function
_ZN12_GLOBAL__N_125rocblas_gemm_scale_kernelILi32ELi32E19rocblas_complex_numIfEPS2_EEviiT1_T2_llli: ; @_ZN12_GLOBAL__N_125rocblas_gemm_scale_kernelILi32ELi32E19rocblas_complex_numIfEPS2_EEviiT1_T2_llli
; %bb.0:
	s_load_b32 s14, s[0:1], 0x30
	s_lshr_b32 s12, ttmp7, 16
	s_wait_kmcnt 0x0
	s_cmp_ge_u32 s12, s14
	s_cbranch_scc1 .LBB87_7
; %bb.1:
	s_load_b256 s[4:11], s[0:1], 0x10
	v_bfe_u32 v1, v0, 10, 10
	s_and_b32 s2, ttmp7, 0xffff
	s_mov_b32 s13, 0
	s_delay_alu instid0(VALU_DEP_1) | instskip(SKIP_2) | instid1(VALU_DEP_1)
	v_lshl_add_u32 v7, s2, 5, v1
	s_load_b128 s[0:3], s[0:1], 0x0
	s_wait_kmcnt 0x0
	v_mad_co_u64_u32 v[2:3], null, s8, v7, 0
	s_delay_alu instid0(VALU_DEP_1) | instskip(NEXT) | instid1(VALU_DEP_1)
	v_dual_mov_b32 v0, v3 :: v_dual_and_b32 v1, 0x3ff, v0
	v_lshl_add_u32 v3, ttmp9, 5, v1
	s_delay_alu instid0(VALU_DEP_2) | instskip(SKIP_1) | instid1(VALU_DEP_3)
	v_mad_co_u64_u32 v[5:6], null, s9, v7, v[0:1]
	v_mov_b32_e32 v4, 0
	v_cmp_gt_u32_e32 vcc_lo, s0, v3
	v_cmp_gt_u32_e64 s0, s1, v7
	s_or_b32 s1, s2, s3
	s_lshl_b64 s[8:9], s[6:7], 3
	v_lshlrev_b64_e32 v[0:1], 3, v[3:4]
	v_mov_b32_e32 v3, v5
	s_wait_alu 0xfffe
	s_bitset0_b32 s1, 31
	s_and_b32 s6, vcc_lo, s0
	s_wait_alu 0xfffe
	s_cmp_lg_u32 s1, 0
	s_add_nc_u64 s[0:1], s[4:5], s[8:9]
	v_lshlrev_b64_e32 v[2:3], 3, v[2:3]
	s_cselect_b32 s7, -1, 0
	s_branch .LBB87_4
.LBB87_2:                               ;   in Loop: Header=BB87_4 Depth=1
	s_wait_alu 0xfffe
	v_add_co_u32 v6, vcc_lo, s4, v2
	s_wait_alu 0xfffd
	v_add_co_ci_u32_e64 v7, null, s5, v3, vcc_lo
	s_delay_alu instid0(VALU_DEP_2) | instskip(SKIP_1) | instid1(VALU_DEP_2)
	v_add_co_u32 v6, vcc_lo, v6, v0
	s_wait_alu 0xfffd
	v_add_co_ci_u32_e64 v7, null, v7, v1, vcc_lo
	global_store_b64 v[6:7], v[4:5], off
.LBB87_3:                               ;   in Loop: Header=BB87_4 Depth=1
	s_wait_alu 0xfffe
	s_or_b32 exec_lo, exec_lo, s8
	s_add_co_i32 s12, s12, 0x10000
	s_delay_alu instid0(SALU_CYCLE_1)
	s_cmp_lt_u32 s12, s14
	s_cbranch_scc0 .LBB87_7
.LBB87_4:                               ; =>This Inner Loop Header: Depth=1
	s_and_saveexec_b32 s8, s6
	s_cbranch_execz .LBB87_3
; %bb.5:                                ;   in Loop: Header=BB87_4 Depth=1
	s_mul_u64 s[4:5], s[10:11], s[12:13]
	v_dual_mov_b32 v5, 0 :: v_dual_mov_b32 v4, 0
	s_wait_alu 0xfffe
	s_lshl_b64 s[4:5], s[4:5], 3
	s_and_not1_b32 vcc_lo, exec_lo, s7
	s_wait_alu 0xfffe
	s_add_nc_u64 s[4:5], s[0:1], s[4:5]
	s_cbranch_vccnz .LBB87_2
; %bb.6:                                ;   in Loop: Header=BB87_4 Depth=1
	s_wait_alu 0xfffe
	v_add_co_u32 v4, vcc_lo, s4, v2
	s_wait_alu 0xfffd
	v_add_co_ci_u32_e64 v5, null, s5, v3, vcc_lo
	s_delay_alu instid0(VALU_DEP_2) | instskip(SKIP_1) | instid1(VALU_DEP_2)
	v_add_co_u32 v4, vcc_lo, v4, v0
	s_wait_alu 0xfffd
	v_add_co_ci_u32_e64 v5, null, v5, v1, vcc_lo
	global_load_b64 v[6:7], v[4:5], off
	s_wait_loadcnt 0x0
	v_mul_f32_e32 v5, s2, v7
	s_delay_alu instid0(VALU_DEP_1) | instskip(NEXT) | instid1(VALU_DEP_1)
	v_dual_mul_f32 v4, s3, v7 :: v_dual_fmac_f32 v5, s3, v6
	v_fma_f32 v4, v6, s2, -v4
	s_branch .LBB87_2
.LBB87_7:
	s_endpgm
	.section	.rodata,"a",@progbits
	.p2align	6, 0x0
	.amdhsa_kernel _ZN12_GLOBAL__N_125rocblas_gemm_scale_kernelILi32ELi32E19rocblas_complex_numIfEPS2_EEviiT1_T2_llli
		.amdhsa_group_segment_fixed_size 0
		.amdhsa_private_segment_fixed_size 0
		.amdhsa_kernarg_size 52
		.amdhsa_user_sgpr_count 2
		.amdhsa_user_sgpr_dispatch_ptr 0
		.amdhsa_user_sgpr_queue_ptr 0
		.amdhsa_user_sgpr_kernarg_segment_ptr 1
		.amdhsa_user_sgpr_dispatch_id 0
		.amdhsa_user_sgpr_private_segment_size 0
		.amdhsa_wavefront_size32 1
		.amdhsa_uses_dynamic_stack 0
		.amdhsa_enable_private_segment 0
		.amdhsa_system_sgpr_workgroup_id_x 1
		.amdhsa_system_sgpr_workgroup_id_y 1
		.amdhsa_system_sgpr_workgroup_id_z 1
		.amdhsa_system_sgpr_workgroup_info 0
		.amdhsa_system_vgpr_workitem_id 1
		.amdhsa_next_free_vgpr 8
		.amdhsa_next_free_sgpr 15
		.amdhsa_reserve_vcc 1
		.amdhsa_float_round_mode_32 0
		.amdhsa_float_round_mode_16_64 0
		.amdhsa_float_denorm_mode_32 3
		.amdhsa_float_denorm_mode_16_64 3
		.amdhsa_fp16_overflow 0
		.amdhsa_workgroup_processor_mode 1
		.amdhsa_memory_ordered 1
		.amdhsa_forward_progress 1
		.amdhsa_inst_pref_size 4
		.amdhsa_round_robin_scheduling 0
		.amdhsa_exception_fp_ieee_invalid_op 0
		.amdhsa_exception_fp_denorm_src 0
		.amdhsa_exception_fp_ieee_div_zero 0
		.amdhsa_exception_fp_ieee_overflow 0
		.amdhsa_exception_fp_ieee_underflow 0
		.amdhsa_exception_fp_ieee_inexact 0
		.amdhsa_exception_int_div_zero 0
	.end_amdhsa_kernel
	.section	.text._ZN12_GLOBAL__N_125rocblas_gemm_scale_kernelILi32ELi32E19rocblas_complex_numIfEPS2_EEviiT1_T2_llli,"axG",@progbits,_ZN12_GLOBAL__N_125rocblas_gemm_scale_kernelILi32ELi32E19rocblas_complex_numIfEPS2_EEviiT1_T2_llli,comdat
.Lfunc_end87:
	.size	_ZN12_GLOBAL__N_125rocblas_gemm_scale_kernelILi32ELi32E19rocblas_complex_numIfEPS2_EEviiT1_T2_llli, .Lfunc_end87-_ZN12_GLOBAL__N_125rocblas_gemm_scale_kernelILi32ELi32E19rocblas_complex_numIfEPS2_EEviiT1_T2_llli
                                        ; -- End function
	.set _ZN12_GLOBAL__N_125rocblas_gemm_scale_kernelILi32ELi32E19rocblas_complex_numIfEPS2_EEviiT1_T2_llli.num_vgpr, 8
	.set _ZN12_GLOBAL__N_125rocblas_gemm_scale_kernelILi32ELi32E19rocblas_complex_numIfEPS2_EEviiT1_T2_llli.num_agpr, 0
	.set _ZN12_GLOBAL__N_125rocblas_gemm_scale_kernelILi32ELi32E19rocblas_complex_numIfEPS2_EEviiT1_T2_llli.numbered_sgpr, 15
	.set _ZN12_GLOBAL__N_125rocblas_gemm_scale_kernelILi32ELi32E19rocblas_complex_numIfEPS2_EEviiT1_T2_llli.num_named_barrier, 0
	.set _ZN12_GLOBAL__N_125rocblas_gemm_scale_kernelILi32ELi32E19rocblas_complex_numIfEPS2_EEviiT1_T2_llli.private_seg_size, 0
	.set _ZN12_GLOBAL__N_125rocblas_gemm_scale_kernelILi32ELi32E19rocblas_complex_numIfEPS2_EEviiT1_T2_llli.uses_vcc, 1
	.set _ZN12_GLOBAL__N_125rocblas_gemm_scale_kernelILi32ELi32E19rocblas_complex_numIfEPS2_EEviiT1_T2_llli.uses_flat_scratch, 0
	.set _ZN12_GLOBAL__N_125rocblas_gemm_scale_kernelILi32ELi32E19rocblas_complex_numIfEPS2_EEviiT1_T2_llli.has_dyn_sized_stack, 0
	.set _ZN12_GLOBAL__N_125rocblas_gemm_scale_kernelILi32ELi32E19rocblas_complex_numIfEPS2_EEviiT1_T2_llli.has_recursion, 0
	.set _ZN12_GLOBAL__N_125rocblas_gemm_scale_kernelILi32ELi32E19rocblas_complex_numIfEPS2_EEviiT1_T2_llli.has_indirect_call, 0
	.section	.AMDGPU.csdata,"",@progbits
; Kernel info:
; codeLenInByte = 416
; TotalNumSgprs: 17
; NumVgprs: 8
; ScratchSize: 0
; MemoryBound: 0
; FloatMode: 240
; IeeeMode: 1
; LDSByteSize: 0 bytes/workgroup (compile time only)
; SGPRBlocks: 0
; VGPRBlocks: 0
; NumSGPRsForWavesPerEU: 17
; NumVGPRsForWavesPerEU: 8
; Occupancy: 16
; WaveLimiterHint : 0
; COMPUTE_PGM_RSRC2:SCRATCH_EN: 0
; COMPUTE_PGM_RSRC2:USER_SGPR: 2
; COMPUTE_PGM_RSRC2:TRAP_HANDLER: 0
; COMPUTE_PGM_RSRC2:TGID_X_EN: 1
; COMPUTE_PGM_RSRC2:TGID_Y_EN: 1
; COMPUTE_PGM_RSRC2:TGID_Z_EN: 1
; COMPUTE_PGM_RSRC2:TIDIG_COMP_CNT: 1
	.section	.text._ZN12_GLOBAL__N_120gemm_ex_scale_kernelILi32ELi32E19rocblas_complex_numIfEPKS2_PS2_EEviiT1_T2_lllT3_llli,"axG",@progbits,_ZN12_GLOBAL__N_120gemm_ex_scale_kernelILi32ELi32E19rocblas_complex_numIfEPKS2_PS2_EEviiT1_T2_lllT3_llli,comdat
	.globl	_ZN12_GLOBAL__N_120gemm_ex_scale_kernelILi32ELi32E19rocblas_complex_numIfEPKS2_PS2_EEviiT1_T2_lllT3_llli ; -- Begin function _ZN12_GLOBAL__N_120gemm_ex_scale_kernelILi32ELi32E19rocblas_complex_numIfEPKS2_PS2_EEviiT1_T2_lllT3_llli
	.p2align	8
	.type	_ZN12_GLOBAL__N_120gemm_ex_scale_kernelILi32ELi32E19rocblas_complex_numIfEPKS2_PS2_EEviiT1_T2_lllT3_llli,@function
_ZN12_GLOBAL__N_120gemm_ex_scale_kernelILi32ELi32E19rocblas_complex_numIfEPKS2_PS2_EEviiT1_T2_lllT3_llli: ; @_ZN12_GLOBAL__N_120gemm_ex_scale_kernelILi32ELi32E19rocblas_complex_numIfEPKS2_PS2_EEviiT1_T2_lllT3_llli
; %bb.0:
	s_load_b32 s22, s[0:1], 0x50
	s_lshr_b32 s20, ttmp7, 16
	s_wait_kmcnt 0x0
	s_cmp_ge_u32 s20, s22
	s_cbranch_scc1 .LBB88_7
; %bb.1:
	s_load_b512 s[4:19], s[0:1], 0x10
	v_bfe_u32 v1, v0, 10, 10
	s_and_b32 s2, ttmp7, 0xffff
	v_dual_mov_b32 v6, 0 :: v_dual_and_b32 v5, 0x3ff, v0
	s_mov_b32 s21, 0
	s_delay_alu instid0(VALU_DEP_2) | instskip(SKIP_1) | instid1(VALU_DEP_2)
	v_lshl_add_u32 v12, s2, 5, v1
	s_load_b128 s[0:3], s[0:1], 0x0
	v_lshl_add_u32 v5, ttmp9, 5, v5
	s_wait_kmcnt 0x0
	s_delay_alu instid0(VALU_DEP_2) | instskip(SKIP_2) | instid1(SALU_CYCLE_1)
	v_mad_co_u64_u32 v[1:2], null, s8, v12, 0
	v_mad_co_u64_u32 v[3:4], null, s16, v12, 0
	s_lshl_b64 s[6:7], s[6:7], 3
	s_add_nc_u64 s[4:5], s[4:5], s[6:7]
	v_cmp_gt_u32_e32 vcc_lo, s0, v5
	v_mov_b32_e32 v0, v2
	v_cmp_gt_u32_e64 s0, s1, v12
	v_mov_b32_e32 v2, v4
	s_or_b32 s1, s2, s3
	s_wait_alu 0xfffe
	s_bitset0_b32 s1, 31
	v_mad_co_u64_u32 v[7:8], null, s9, v12, v[0:1]
	v_mad_co_u64_u32 v[10:11], null, s17, v12, v[2:3]
	s_lshl_b64 s[8:9], s[14:15], 3
	v_lshlrev_b64_e32 v[8:9], 3, v[5:6]
	s_wait_alu 0xfffe
	s_add_nc_u64 s[8:9], s[12:13], s[8:9]
	s_and_b32 s0, vcc_lo, s0
	v_mov_b32_e32 v2, v7
	s_cmp_lg_u32 s1, 0
	v_mov_b32_e32 v4, v10
	s_cselect_b32 s1, -1, 0
	s_delay_alu instid0(VALU_DEP_2) | instskip(NEXT) | instid1(VALU_DEP_2)
	v_lshlrev_b64_e32 v[0:1], 3, v[1:2]
	v_lshlrev_b64_e32 v[2:3], 3, v[3:4]
	s_delay_alu instid0(VALU_DEP_2) | instskip(NEXT) | instid1(VALU_DEP_1)
	v_add_co_u32 v0, vcc_lo, s4, v0
	v_add_co_ci_u32_e64 v1, null, s5, v1, vcc_lo
	s_wait_alu 0xfffe
	s_delay_alu instid0(VALU_DEP_3)
	v_add_co_u32 v4, vcc_lo, s8, v2
	s_wait_alu 0xfffd
	v_add_co_ci_u32_e64 v5, null, s9, v3, vcc_lo
	v_add_co_u32 v2, vcc_lo, v0, v8
	s_wait_alu 0xfffd
	v_add_co_ci_u32_e64 v3, null, v1, v9, vcc_lo
	;; [unrolled: 3-line block ×3, first 2 shown]
	s_branch .LBB88_4
.LBB88_2:                               ;   in Loop: Header=BB88_4 Depth=1
	s_mul_u64 s[6:7], s[18:19], s[20:21]
	s_wait_alu 0xfffe
	s_lshl_b64 s[6:7], s[6:7], 3
	s_wait_alu 0xfffe
	v_add_co_u32 v6, vcc_lo, v4, s6
	s_wait_alu 0xfffd
	v_add_co_ci_u32_e64 v7, null, s7, v5, vcc_lo
	global_store_b64 v[6:7], v[0:1], off
.LBB88_3:                               ;   in Loop: Header=BB88_4 Depth=1
	s_wait_alu 0xfffe
	s_or_b32 exec_lo, exec_lo, s4
	s_add_co_i32 s20, s20, 0x10000
	s_delay_alu instid0(SALU_CYCLE_1)
	s_cmp_lt_u32 s20, s22
	s_cbranch_scc0 .LBB88_7
.LBB88_4:                               ; =>This Inner Loop Header: Depth=1
	s_and_saveexec_b32 s4, s0
	s_cbranch_execz .LBB88_3
; %bb.5:                                ;   in Loop: Header=BB88_4 Depth=1
	v_dual_mov_b32 v1, 0 :: v_dual_mov_b32 v0, 0
	s_and_not1_b32 vcc_lo, exec_lo, s1
	s_wait_alu 0xfffe
	s_cbranch_vccnz .LBB88_2
; %bb.6:                                ;   in Loop: Header=BB88_4 Depth=1
	s_mul_u64 s[6:7], s[10:11], s[20:21]
	s_wait_alu 0xfffe
	s_lshl_b64 s[6:7], s[6:7], 3
	s_wait_alu 0xfffe
	v_add_co_u32 v0, vcc_lo, v2, s6
	s_wait_alu 0xfffd
	v_add_co_ci_u32_e64 v1, null, s7, v3, vcc_lo
	global_load_b64 v[6:7], v[0:1], off
	s_wait_loadcnt 0x0
	v_mul_f32_e32 v1, s2, v7
	s_delay_alu instid0(VALU_DEP_1) | instskip(NEXT) | instid1(VALU_DEP_1)
	v_dual_mul_f32 v0, s3, v7 :: v_dual_fmac_f32 v1, s3, v6
	v_fma_f32 v0, v6, s2, -v0
	s_branch .LBB88_2
.LBB88_7:
	s_endpgm
	.section	.rodata,"a",@progbits
	.p2align	6, 0x0
	.amdhsa_kernel _ZN12_GLOBAL__N_120gemm_ex_scale_kernelILi32ELi32E19rocblas_complex_numIfEPKS2_PS2_EEviiT1_T2_lllT3_llli
		.amdhsa_group_segment_fixed_size 0
		.amdhsa_private_segment_fixed_size 0
		.amdhsa_kernarg_size 84
		.amdhsa_user_sgpr_count 2
		.amdhsa_user_sgpr_dispatch_ptr 0
		.amdhsa_user_sgpr_queue_ptr 0
		.amdhsa_user_sgpr_kernarg_segment_ptr 1
		.amdhsa_user_sgpr_dispatch_id 0
		.amdhsa_user_sgpr_private_segment_size 0
		.amdhsa_wavefront_size32 1
		.amdhsa_uses_dynamic_stack 0
		.amdhsa_enable_private_segment 0
		.amdhsa_system_sgpr_workgroup_id_x 1
		.amdhsa_system_sgpr_workgroup_id_y 1
		.amdhsa_system_sgpr_workgroup_id_z 1
		.amdhsa_system_sgpr_workgroup_info 0
		.amdhsa_system_vgpr_workitem_id 1
		.amdhsa_next_free_vgpr 13
		.amdhsa_next_free_sgpr 23
		.amdhsa_reserve_vcc 1
		.amdhsa_float_round_mode_32 0
		.amdhsa_float_round_mode_16_64 0
		.amdhsa_float_denorm_mode_32 3
		.amdhsa_float_denorm_mode_16_64 3
		.amdhsa_fp16_overflow 0
		.amdhsa_workgroup_processor_mode 1
		.amdhsa_memory_ordered 1
		.amdhsa_forward_progress 1
		.amdhsa_inst_pref_size 4
		.amdhsa_round_robin_scheduling 0
		.amdhsa_exception_fp_ieee_invalid_op 0
		.amdhsa_exception_fp_denorm_src 0
		.amdhsa_exception_fp_ieee_div_zero 0
		.amdhsa_exception_fp_ieee_overflow 0
		.amdhsa_exception_fp_ieee_underflow 0
		.amdhsa_exception_fp_ieee_inexact 0
		.amdhsa_exception_int_div_zero 0
	.end_amdhsa_kernel
	.section	.text._ZN12_GLOBAL__N_120gemm_ex_scale_kernelILi32ELi32E19rocblas_complex_numIfEPKS2_PS2_EEviiT1_T2_lllT3_llli,"axG",@progbits,_ZN12_GLOBAL__N_120gemm_ex_scale_kernelILi32ELi32E19rocblas_complex_numIfEPKS2_PS2_EEviiT1_T2_lllT3_llli,comdat
.Lfunc_end88:
	.size	_ZN12_GLOBAL__N_120gemm_ex_scale_kernelILi32ELi32E19rocblas_complex_numIfEPKS2_PS2_EEviiT1_T2_lllT3_llli, .Lfunc_end88-_ZN12_GLOBAL__N_120gemm_ex_scale_kernelILi32ELi32E19rocblas_complex_numIfEPKS2_PS2_EEviiT1_T2_lllT3_llli
                                        ; -- End function
	.set _ZN12_GLOBAL__N_120gemm_ex_scale_kernelILi32ELi32E19rocblas_complex_numIfEPKS2_PS2_EEviiT1_T2_lllT3_llli.num_vgpr, 13
	.set _ZN12_GLOBAL__N_120gemm_ex_scale_kernelILi32ELi32E19rocblas_complex_numIfEPKS2_PS2_EEviiT1_T2_lllT3_llli.num_agpr, 0
	.set _ZN12_GLOBAL__N_120gemm_ex_scale_kernelILi32ELi32E19rocblas_complex_numIfEPKS2_PS2_EEviiT1_T2_lllT3_llli.numbered_sgpr, 23
	.set _ZN12_GLOBAL__N_120gemm_ex_scale_kernelILi32ELi32E19rocblas_complex_numIfEPKS2_PS2_EEviiT1_T2_lllT3_llli.num_named_barrier, 0
	.set _ZN12_GLOBAL__N_120gemm_ex_scale_kernelILi32ELi32E19rocblas_complex_numIfEPKS2_PS2_EEviiT1_T2_lllT3_llli.private_seg_size, 0
	.set _ZN12_GLOBAL__N_120gemm_ex_scale_kernelILi32ELi32E19rocblas_complex_numIfEPKS2_PS2_EEviiT1_T2_lllT3_llli.uses_vcc, 1
	.set _ZN12_GLOBAL__N_120gemm_ex_scale_kernelILi32ELi32E19rocblas_complex_numIfEPKS2_PS2_EEviiT1_T2_lllT3_llli.uses_flat_scratch, 0
	.set _ZN12_GLOBAL__N_120gemm_ex_scale_kernelILi32ELi32E19rocblas_complex_numIfEPKS2_PS2_EEviiT1_T2_lllT3_llli.has_dyn_sized_stack, 0
	.set _ZN12_GLOBAL__N_120gemm_ex_scale_kernelILi32ELi32E19rocblas_complex_numIfEPKS2_PS2_EEviiT1_T2_lllT3_llli.has_recursion, 0
	.set _ZN12_GLOBAL__N_120gemm_ex_scale_kernelILi32ELi32E19rocblas_complex_numIfEPKS2_PS2_EEviiT1_T2_lllT3_llli.has_indirect_call, 0
	.section	.AMDGPU.csdata,"",@progbits
; Kernel info:
; codeLenInByte = 500
; TotalNumSgprs: 25
; NumVgprs: 13
; ScratchSize: 0
; MemoryBound: 0
; FloatMode: 240
; IeeeMode: 1
; LDSByteSize: 0 bytes/workgroup (compile time only)
; SGPRBlocks: 0
; VGPRBlocks: 1
; NumSGPRsForWavesPerEU: 25
; NumVGPRsForWavesPerEU: 13
; Occupancy: 16
; WaveLimiterHint : 0
; COMPUTE_PGM_RSRC2:SCRATCH_EN: 0
; COMPUTE_PGM_RSRC2:USER_SGPR: 2
; COMPUTE_PGM_RSRC2:TRAP_HANDLER: 0
; COMPUTE_PGM_RSRC2:TGID_X_EN: 1
; COMPUTE_PGM_RSRC2:TGID_Y_EN: 1
; COMPUTE_PGM_RSRC2:TGID_Z_EN: 1
; COMPUTE_PGM_RSRC2:TIDIG_COMP_CNT: 1
	.section	.text._ZN12_GLOBAL__N_127rocblas_gemm_batched_kernelI19rocblas_complex_numIfELi16ELi16ELi64ELi64ELi4ELi64ELi4ELi4ELi64ELc78ELc78EKS2_S3_S2_EEvlllT_PT11_llS6_llS4_PT12_llPT13_lli,"axG",@progbits,_ZN12_GLOBAL__N_127rocblas_gemm_batched_kernelI19rocblas_complex_numIfELi16ELi16ELi64ELi64ELi4ELi64ELi4ELi4ELi64ELc78ELc78EKS2_S3_S2_EEvlllT_PT11_llS6_llS4_PT12_llPT13_lli,comdat
	.globl	_ZN12_GLOBAL__N_127rocblas_gemm_batched_kernelI19rocblas_complex_numIfELi16ELi16ELi64ELi64ELi4ELi64ELi4ELi4ELi64ELc78ELc78EKS2_S3_S2_EEvlllT_PT11_llS6_llS4_PT12_llPT13_lli ; -- Begin function _ZN12_GLOBAL__N_127rocblas_gemm_batched_kernelI19rocblas_complex_numIfELi16ELi16ELi64ELi64ELi4ELi64ELi4ELi4ELi64ELc78ELc78EKS2_S3_S2_EEvlllT_PT11_llS6_llS4_PT12_llPT13_lli
	.p2align	8
	.type	_ZN12_GLOBAL__N_127rocblas_gemm_batched_kernelI19rocblas_complex_numIfELi16ELi16ELi64ELi64ELi4ELi64ELi4ELi4ELi64ELc78ELc78EKS2_S3_S2_EEvlllT_PT11_llS6_llS4_PT12_llPT13_lli,@function
_ZN12_GLOBAL__N_127rocblas_gemm_batched_kernelI19rocblas_complex_numIfELi16ELi16ELi64ELi64ELi4ELi64ELi4ELi4ELi64ELc78ELc78EKS2_S3_S2_EEvlllT_PT11_llS6_llS4_PT12_llPT13_lli: ; @_ZN12_GLOBAL__N_127rocblas_gemm_batched_kernelI19rocblas_complex_numIfELi16ELi16ELi64ELi64ELi4ELi64ELi4ELi4ELi64ELc78ELc78EKS2_S3_S2_EEvlllT_PT11_llS6_llS4_PT12_llPT13_lli
; %bb.0:
	s_load_b32 s33, s[0:1], 0x88
	s_lshr_b32 s28, ttmp7, 16
	s_wait_kmcnt 0x0
	s_cmp_ge_i32 s28, s33
	s_cbranch_scc1 .LBB89_10
; %bb.1:
	s_clause 0x2
	s_load_b128 s[20:23], s[0:1], 0x10
	s_load_b256 s[12:19], s[0:1], 0x20
	s_load_b256 s[4:11], s[0:1], 0x58
	v_and_b32_e32 v3, 0x3ff, v0
	v_bfe_u32 v1, v0, 10, 10
	s_mov_b32 s34, ttmp9
	s_ashr_i32 s35, ttmp9, 31
	s_lshl_b32 s29, ttmp7, 6
	s_lshl_b64 s[36:37], s[34:35], 6
	v_lshl_add_u32 v2, v1, 4, v3
	s_and_b32 s29, s29, 0x3fffc0
	s_clause 0x1
	s_load_b128 s[24:27], s[0:1], 0x40
	s_load_b64 s[30:31], s[0:1], 0x50
	v_add_nc_u32_e32 v13, s29, v1
	s_load_b128 s[0:3], s[0:1], 0x78
	v_lshrrev_b32_e32 v11, 6, v2
	v_and_b32_e32 v14, 63, v2
	v_lshrrev_b32_e32 v2, 2, v2
	v_lshl_add_u32 v19, v1, 5, 0x800
	s_delay_alu instid0(VALU_DEP_2) | instskip(SKIP_3) | instid1(VALU_DEP_1)
	v_add_nc_u32_e32 v20, s29, v2
	s_wait_kmcnt 0x0
	v_mad_co_u64_u32 v[6:7], null, s14, v11, s[36:37]
	v_lshlrev_b32_e32 v0, 3, v0
	v_and_b32_e32 v15, 24, v0
	s_or_b32 s29, s30, s31
	s_wait_alu 0xfffe
	s_and_b32 s34, s29, 0x7fffffff
	s_delay_alu instid0(VALU_DEP_1) | instskip(SKIP_3) | instid1(VALU_DEP_1)
	v_lshl_or_b32 v4, v2, 5, v15
	s_cmp_eq_u32 s34, 0
	s_mov_b32 s29, 0
	s_cselect_b32 s34, -1, 0
	v_add_nc_u32_e32 v17, 0x800, v4
	v_mad_co_u64_u32 v[4:5], null, v13, s6, 0
	s_delay_alu instid0(VALU_DEP_1) | instskip(SKIP_1) | instid1(VALU_DEP_2)
	v_dual_mov_b32 v2, v5 :: v_dual_mov_b32 v5, v7
	v_lshlrev_b32_e32 v18, 3, v3
	v_mad_co_u64_u32 v[8:9], null, v13, s7, v[2:3]
	v_mad_co_u64_u32 v[9:10], null, s24, v20, 0
	v_add_co_u32 v2, s24, s36, v3
	s_wait_alu 0xf1ff
	v_add_co_ci_u32_e64 v3, null, s37, 0, s24
	s_lshl_b64 s[36:37], s[6:7], 4
	s_lshl_b64 s[6:7], s[14:15], 5
	v_dual_mov_b32 v7, v10 :: v_dual_lshlrev_b32 v0, 3, v14
	v_add_co_u32 v10, vcc_lo, v6, v14
	s_delay_alu instid0(VALU_DEP_2)
	v_lshl_or_b32 v16, v11, 9, v0
	v_mad_co_u64_u32 v[0:1], null, v13, s0, 0
	v_mad_co_u64_u32 v[11:12], null, s15, v11, v[5:6]
	v_mov_b32_e32 v5, v8
	s_wait_alu 0xfffe
	s_lshl_b64 s[14:15], s[36:37], 3
	s_delay_alu instid0(VALU_DEP_3) | instskip(NEXT) | instid1(VALU_DEP_3)
	v_mad_co_u64_u32 v[12:13], null, v13, s1, v[1:2]
	v_add_co_ci_u32_e64 v11, null, 0, v11, vcc_lo
	v_lshlrev_b64_e32 v[4:5], 3, v[4:5]
	s_delay_alu instid0(VALU_DEP_3) | instskip(SKIP_1) | instid1(VALU_DEP_4)
	v_mov_b32_e32 v1, v12
	v_mad_co_u64_u32 v[7:8], null, s25, v20, v[7:8]
	v_lshlrev_b64_e32 v[11:12], 3, v[10:11]
	s_lshl_b64 s[24:25], s[0:1], 4
	s_delay_alu instid0(VALU_DEP_4)
	v_add_co_u32 v20, vcc_lo, s4, v4
	v_cmp_gt_i64_e64 s0, s[20:21], 0
	s_wait_alu 0xfffd
	v_add_co_ci_u32_e64 v21, null, s5, v5, vcc_lo
	v_mov_b32_e32 v10, v7
	v_add_co_u32 v4, vcc_lo, s12, v11
	s_wait_alu 0xfffd
	v_add_co_ci_u32_e64 v5, null, s13, v12, vcc_lo
	s_delay_alu instid0(VALU_DEP_3)
	v_lshlrev_b64_e32 v[6:7], 3, v[9:10]
	s_wait_alu 0xf1ff
	v_cndmask_b32_e64 v8, 0, 1, s0
	s_lshl_b64 s[4:5], s[16:17], 3
	s_lshl_b64 s[12:13], s[26:27], 3
	s_wait_alu 0xfffe
	s_lshl_b64 s[16:17], s[24:25], 3
	v_add_co_u32 v6, vcc_lo, v6, v15
	s_wait_alu 0xfffd
	v_add_co_ci_u32_e64 v7, null, 0, v7, vcc_lo
	v_cmp_ne_u32_e64 s0, 1, v8
	s_delay_alu instid0(VALU_DEP_3) | instskip(SKIP_1) | instid1(VALU_DEP_3)
	v_add_co_u32 v6, vcc_lo, s18, v6
	s_wait_alu 0xfffd
	v_add_co_ci_u32_e64 v7, null, s19, v7, vcc_lo
	s_branch .LBB89_3
.LBB89_2:                               ;   in Loop: Header=BB89_3 Depth=1
	s_add_co_i32 s28, s28, 0x10000
	global_store_b32 v[8:9], v10, off offset:4
	s_wait_alu 0xfffe
	s_cmp_lt_i32 s28, s33
	s_cbranch_scc0 .LBB89_10
.LBB89_3:                               ; =>This Loop Header: Depth=1
                                        ;     Child Loop BB89_5 Depth 2
	v_dual_mov_b32 v52, 0 :: v_dual_mov_b32 v53, 0
	v_dual_mov_b32 v50, 0 :: v_dual_mov_b32 v51, 0
	;; [unrolled: 1-line block ×16, first 2 shown]
	s_and_b32 vcc_lo, exec_lo, s0
	s_wait_alu 0xfffe
	s_cbranch_vccnz .LBB89_6
; %bb.4:                                ;   in Loop: Header=BB89_3 Depth=1
	v_mad_co_u64_u32 v[8:9], null, s4, s28, v[4:5]
	v_mad_co_u64_u32 v[10:11], null, s12, s28, v[6:7]
	v_dual_mov_b32 v23, 0 :: v_dual_mov_b32 v22, 0
	v_dual_mov_b32 v25, 0 :: v_dual_mov_b32 v24, 0
	v_dual_mov_b32 v27, 0 :: v_dual_mov_b32 v26, 0
	s_delay_alu instid0(VALU_DEP_4) | instskip(SKIP_3) | instid1(VALU_DEP_4)
	v_mad_co_u64_u32 v[12:13], null, s5, s28, v[9:10]
	v_dual_mov_b32 v29, 0 :: v_dual_mov_b32 v28, 0
	v_dual_mov_b32 v31, 0 :: v_dual_mov_b32 v30, 0
	;; [unrolled: 1-line block ×3, first 2 shown]
	v_mad_co_u64_u32 v[13:14], null, s13, s28, v[11:12]
	v_dual_mov_b32 v9, v12 :: v_dual_mov_b32 v32, 0
	v_dual_mov_b32 v35, 0 :: v_dual_mov_b32 v38, 0
	;; [unrolled: 1-line block ×3, first 2 shown]
	s_delay_alu instid0(VALU_DEP_4)
	v_dual_mov_b32 v40, 0 :: v_dual_mov_b32 v11, v13
	v_dual_mov_b32 v39, 0 :: v_dual_mov_b32 v42, 0
	;; [unrolled: 1-line block ×7, first 2 shown]
	v_mov_b32_e32 v51, 0
	v_mov_b32_e32 v53, 0
	s_mov_b64 s[18:19], 0
.LBB89_5:                               ;   Parent Loop BB89_3 Depth=1
                                        ; =>  This Inner Loop Header: Depth=2
	global_load_b64 v[12:13], v[8:9], off
	global_load_b64 v[14:15], v[10:11], off
	s_wait_alu 0xfffe
	s_add_nc_u64 s[18:19], s[18:19], 4
	v_add_co_u32 v8, vcc_lo, v8, s6
	s_wait_alu 0xfffe
	v_cmp_lt_i64_e64 s1, s[18:19], s[20:21]
	s_wait_alu 0xfffd
	v_add_co_ci_u32_e64 v9, null, s7, v9, vcc_lo
	v_add_co_u32 v10, vcc_lo, v10, 32
	s_wait_alu 0xfffd
	v_add_co_ci_u32_e64 v11, null, 0, v11, vcc_lo
	s_and_b32 vcc_lo, exec_lo, s1
	s_wait_loadcnt 0x1
	ds_store_b64 v16, v[12:13]
	s_wait_loadcnt 0x0
	ds_store_b64 v17, v[14:15]
	s_wait_dscnt 0x0
	s_barrier_signal -1
	s_barrier_wait -1
	global_inv scope:SCOPE_SE
	ds_load_2addr_b64 v[12:15], v18 offset1:16
	ds_load_b128 v[54:57], v19
	ds_load_b128 v[58:61], v19 offset:16
	ds_load_b128 v[62:65], v19 offset:512
	;; [unrolled: 1-line block ×7, first 2 shown]
	ds_load_2addr_b64 v[86:89], v18 offset0:32 offset1:48
	ds_load_2addr_b64 v[90:93], v18 offset0:64 offset1:80
	;; [unrolled: 1-line block ×7, first 2 shown]
	s_wait_loadcnt_dscnt 0x0
	s_barrier_signal -1
	s_barrier_wait -1
	global_inv scope:SCOPE_SE
	v_dual_mul_f32 v114, v55, v13 :: v_dual_mul_f32 v117, v54, v15
	v_dual_mul_f32 v115, v54, v13 :: v_dual_mul_f32 v116, v55, v15
	v_dual_mul_f32 v118, v63, v13 :: v_dual_mul_f32 v121, v62, v15
	v_dual_mul_f32 v119, v62, v13 :: v_dual_mul_f32 v120, v63, v15
	v_dual_mul_f32 v122, v71, v13 :: v_dual_mul_f32 v125, v70, v15
	v_dual_mul_f32 v123, v70, v13 :: v_dual_mul_f32 v124, v71, v15
	v_mul_f32_e32 v126, v79, v13
	v_dual_mul_f32 v13, v78, v13 :: v_dual_mul_f32 v128, v55, v87
	v_dual_mul_f32 v127, v79, v15 :: v_dual_mul_f32 v144, v57, v93
	v_dual_mul_f32 v129, v54, v87 :: v_dual_mul_f32 v130, v55, v89
	v_dual_mul_f32 v131, v54, v89 :: v_dual_mul_f32 v132, v63, v87
	v_dual_mul_f32 v133, v62, v87 :: v_dual_mul_f32 v134, v63, v89
	v_dual_mul_f32 v135, v62, v89 :: v_dual_mul_f32 v136, v71, v87
	v_dual_mul_f32 v137, v70, v87 :: v_dual_mul_f32 v138, v71, v89
	v_dual_mul_f32 v139, v70, v89 :: v_dual_mul_f32 v140, v79, v87
	v_dual_mul_f32 v141, v79, v89 :: v_dual_mul_f32 v142, v57, v91
	v_mul_f32_e32 v15, v78, v15
	v_dual_mul_f32 v87, v78, v87 :: v_dual_mul_f32 v148, v57, v97
	v_dual_mul_f32 v89, v78, v89 :: v_dual_mul_f32 v146, v57, v95
	;; [unrolled: 1-line block ×19, first 2 shown]
	v_mul_f32_e32 v181, v74, v101
	v_fma_f32 v114, v54, v12, -v114
	v_fmac_f32_e32 v115, v55, v12
	v_fma_f32 v116, v54, v14, -v116
	v_fmac_f32_e32 v117, v55, v14
	v_fma_f32 v118, v62, v12, -v118
	v_fmac_f32_e32 v119, v63, v12
	v_fma_f32 v120, v62, v14, -v120
	v_fmac_f32_e32 v121, v63, v14
	v_fma_f32 v122, v70, v12, -v122
	v_fmac_f32_e32 v123, v71, v12
	v_fma_f32 v124, v70, v14, -v124
	v_fmac_f32_e32 v125, v71, v14
	v_fma_f32 v126, v78, v12, -v126
	v_fmac_f32_e32 v13, v79, v12
	v_fma_f32 v12, v78, v14, -v127
	v_fma_f32 v128, v54, v86, -v128
	v_dual_fmac_f32 v129, v55, v86 :: v_dual_mul_f32 v194, v77, v113
	v_fma_f32 v54, v54, v88, -v130
	v_fmac_f32_e32 v131, v55, v88
	v_fma_f32 v55, v62, v86, -v132
	v_fmac_f32_e32 v133, v63, v86
	;; [unrolled: 2-line block ×3, first 2 shown]
	v_fmac_f32_e32 v139, v71, v88
	v_fma_f32 v71, v78, v86, -v140
	v_fma_f32 v78, v78, v88, -v141
	v_fma_f32 v134, v56, v92, -v144
	v_dual_mul_f32 v144, v60, v107 :: v_dual_fmac_f32 v135, v63, v88
	v_fma_f32 v63, v70, v86, -v136
	v_fma_f32 v70, v70, v88, -v138
	v_dual_mul_f32 v97, v80, v97 :: v_dual_mul_f32 v182, v83, v99
	v_dual_mul_f32 v171, v58, v99 :: v_dual_mul_f32 v188, v67, v105
	;; [unrolled: 1-line block ×3, first 2 shown]
	v_mul_f32_e32 v175, v66, v99
	v_mul_f32_e32 v177, v66, v101
	v_dual_mul_f32 v179, v74, v99 :: v_dual_mul_f32 v138, v83, v105
	v_mul_f32_e32 v99, v82, v99
	v_mul_f32_e32 v183, v83, v101
	;; [unrolled: 1-line block ×5, first 2 shown]
	v_dual_fmac_f32 v15, v79, v14 :: v_dual_mul_f32 v190, v77, v107
	v_mul_f32_e32 v14, v67, v103
	v_dual_mul_f32 v127, v66, v103 :: v_dual_mul_f32 v192, v77, v109
	v_mul_f32_e32 v189, v66, v105
	v_fmac_f32_e32 v87, v79, v86
	v_dual_fmac_f32 v89, v79, v88 :: v_dual_mul_f32 v86, v74, v103
	v_mul_f32_e32 v88, v75, v105
	v_mul_f32_e32 v130, v74, v105
	v_fma_f32 v132, v56, v90, -v142
	v_fmac_f32_e32 v143, v57, v90
	v_dual_fmac_f32 v145, v57, v92 :: v_dual_fmac_f32 v86, v75, v102
	v_fma_f32 v136, v56, v94, -v146
	v_dual_fmac_f32 v147, v57, v94 :: v_dual_add_f32 v50, v50, v116
	v_fma_f32 v56, v56, v96, -v148
	v_dual_fmac_f32 v149, v57, v96 :: v_dual_add_f32 v52, v52, v114
	v_dual_mul_f32 v105, v82, v105 :: v_dual_add_f32 v48, v48, v128
	v_fma_f32 v140, v64, v90, -v150
	v_dual_fmac_f32 v151, v65, v90 :: v_dual_add_f32 v42, v42, v120
	v_fma_f32 v141, v64, v92, -v152
	v_dual_fmac_f32 v153, v65, v92 :: v_dual_add_f32 v46, v46, v54
	;; [unrolled: 2-line block ×4, first 2 shown]
	v_dual_mul_f32 v65, v61, v107 :: v_dual_add_f32 v38, v38, v62
	v_mul_f32_e32 v146, v61, v109
	v_mul_f32_e32 v148, v60, v109
	v_fma_f32 v150, v72, v90, -v158
	v_dual_fmac_f32 v159, v73, v90 :: v_dual_add_f32 v34, v34, v124
	v_fma_f32 v152, v72, v92, -v160
	v_dual_fmac_f32 v161, v73, v92 :: v_dual_add_f32 v36, v36, v122
	;; [unrolled: 2-line block ×4, first 2 shown]
	v_dual_mul_f32 v73, v61, v111 :: v_dual_add_f32 v28, v28, v126
	v_mul_f32_e32 v156, v60, v111
	v_mul_f32_e32 v160, v60, v113
	v_fma_f32 v162, v80, v90, -v166
	v_dual_fmac_f32 v91, v81, v90 :: v_dual_add_f32 v12, v26, v12
	v_fma_f32 v90, v80, v92, -v167
	v_dual_fmac_f32 v93, v81, v92 :: v_dual_add_f32 v24, v24, v71
	v_mul_f32_e32 v164, v68, v107
	v_mul_f32_e32 v79, v75, v103
	v_dual_mul_f32 v167, v68, v109 :: v_dual_add_f32 v22, v22, v78
	v_fma_f32 v168, v80, v94, -v168
	v_dual_fmac_f32 v95, v81, v94 :: v_dual_add_f32 v26, v52, v132
	v_fma_f32 v80, v80, v96, -v169
	v_mul_f32_e32 v94, v68, v111
	v_mul_f32_e32 v57, v83, v103
	v_dual_mul_f32 v103, v82, v103 :: v_dual_mul_f32 v158, v61, v113
	v_mul_f32_e32 v92, v69, v107
	v_mul_f32_e32 v166, v69, v109
	v_dual_mul_f32 v169, v68, v113 :: v_dual_add_f32 v46, v46, v56
	v_dual_mul_f32 v191, v76, v107 :: v_dual_add_f32 v42, v42, v141
	;; [unrolled: 1-line block ×3, first 2 shown]
	v_fma_f32 v170, v58, v98, -v170
	v_dual_fmac_f32 v171, v59, v98 :: v_dual_add_f32 v44, v44, v140
	v_fma_f32 v172, v58, v100, -v172
	v_dual_fmac_f32 v173, v59, v100 :: v_dual_add_f32 v40, v40, v142
	;; [unrolled: 2-line block ×8, first 2 shown]
	v_mul_f32_e32 v100, v77, v111
	v_dual_mul_f32 v183, v76, v111 :: v_dual_add_f32 v22, v22, v80
	v_dual_mul_f32 v195, v76, v113 :: v_dual_add_f32 v26, v26, v170
	v_fma_f32 v184, v58, v102, -v184
	v_fma_f32 v58, v58, v104, -v186
	v_dual_fmac_f32 v187, v59, v104 :: v_dual_add_f32 v12, v12, v90
	v_fma_f32 v14, v66, v102, -v14
	v_dual_fmac_f32 v127, v67, v102 :: v_dual_add_f32 v42, v42, v176
	s_delay_alu instid0(VALU_DEP_4)
	v_dual_fmac_f32 v189, v67, v104 :: v_dual_add_f32 v46, v46, v58
	v_fma_f32 v67, v74, v104, -v88
	v_fmac_f32_e32 v130, v75, v104
	v_dual_fmac_f32 v105, v83, v104 :: v_dual_add_f32 v44, v44, v174
	v_dual_mul_f32 v75, v85, v107 :: v_dual_add_f32 v14, v40, v14
	v_fmac_f32_e32 v144, v61, v106
	v_fma_f32 v88, v60, v108, -v146
	v_fmac_f32_e32 v148, v61, v108
	v_fmac_f32_e32 v156, v61, v110
	;; [unrolled: 1-line block ×3, first 2 shown]
	v_dual_mul_f32 v61, v85, v111 :: v_dual_add_f32 v36, v36, v178
	v_fmac_f32_e32 v164, v69, v106
	v_fmac_f32_e32 v94, v69, v110
	v_fma_f32 v57, v82, v102, -v57
	v_add_f32_e32 v51, v51, v117
	v_fmac_f32_e32 v97, v81, v96
	v_dual_mul_f32 v81, v69, v111 :: v_dual_add_f32 v48, v48, v136
	v_dual_mul_f32 v96, v69, v113 :: v_dual_fmac_f32 v185, v59, v102
	v_fma_f32 v59, v66, v104, -v188
	v_fma_f32 v66, v74, v102, -v79
	;; [unrolled: 1-line block ×3, first 2 shown]
	v_mul_f32_e32 v82, v85, v109
	v_dual_mul_f32 v104, v85, v113 :: v_dual_fmac_f32 v103, v83, v102
	v_add_f32_e32 v38, v38, v59
	v_dual_mul_f32 v79, v84, v107 :: v_dual_add_f32 v34, v34, v180
	v_dual_mul_f32 v83, v84, v109 :: v_dual_add_f32 v30, v30, v67
	v_fma_f32 v65, v60, v106, -v65
	v_fma_f32 v73, v60, v110, -v73
	v_mul_f32_e32 v102, v84, v111
	v_dual_mul_f32 v107, v84, v113 :: v_dual_add_f32 v22, v22, v74
	v_fma_f32 v92, v68, v106, -v92
	v_fma_f32 v109, v68, v108, -v166
	v_dual_fmac_f32 v167, v69, v108 :: v_dual_add_f32 v32, v32, v66
	v_fma_f32 v81, v68, v110, -v81
	v_fma_f32 v68, v68, v112, -v96
	v_dual_fmac_f32 v169, v69, v112 :: v_dual_add_f32 v28, v28, v182
	v_fma_f32 v69, v76, v106, -v190
	v_dual_fmac_f32 v191, v77, v106 :: v_dual_add_f32 v24, v24, v57
	;; [unrolled: 2-line block ×4, first 2 shown]
	v_fma_f32 v76, v76, v112, -v194
	v_fma_f32 v75, v84, v106, -v75
	;; [unrolled: 1-line block ×3, first 2 shown]
	v_dual_add_f32 v53, v53, v115 :: v_dual_add_f32 v44, v44, v92
	v_dual_add_f32 v49, v49, v129 :: v_dual_add_f32 v38, v38, v68
	;; [unrolled: 1-line block ×8, first 2 shown]
	v_add_f32_e32 v31, v31, v139
	v_add_f32_e32 v13, v29, v13
	;; [unrolled: 1-line block ×4, first 2 shown]
	v_dual_add_f32 v23, v23, v89 :: v_dual_add_f32 v48, v48, v184
	v_fmac_f32_e32 v195, v77, v112
	v_fma_f32 v77, v84, v108, -v82
	v_fma_f32 v82, v84, v112, -v104
	v_add_f32_e32 v39, v39, v135
	v_add_f32_e32 v33, v33, v137
	;; [unrolled: 1-line block ×3, first 2 shown]
	v_dual_add_f32 v29, v50, v134 :: v_dual_add_f32 v50, v51, v145
	v_add_f32_e32 v49, v49, v147
	v_add_f32_e32 v47, v47, v149
	v_add_f32_e32 v45, v45, v151
	v_add_f32_e32 v43, v43, v153
	v_add_f32_e32 v41, v41, v155
	v_add_f32_e32 v37, v37, v159
	v_add_f32_e32 v35, v35, v161
	v_add_f32_e32 v31, v31, v165
	v_add_f32_e32 v13, v13, v91
	v_add_f32_e32 v15, v15, v93
	v_add_f32_e32 v25, v25, v95
	v_add_f32_e32 v23, v23, v97
	v_add_f32_e32 v26, v12, v77
	v_dual_add_f32 v39, v39, v157 :: v_dual_add_f32 v22, v22, v82
	v_add_f32_e32 v33, v33, v163
	v_fma_f32 v60, v60, v112, -v158
	v_fmac_f32_e32 v79, v85, v106
	v_dual_fmac_f32 v83, v85, v108 :: v_dual_add_f32 v42, v42, v109
	v_fmac_f32_e32 v102, v85, v110
	v_dual_fmac_f32 v107, v85, v112 :: v_dual_add_f32 v40, v14, v81
	v_add_f32_e32 v27, v27, v171
	v_add_f32_e32 v29, v29, v172
	;; [unrolled: 1-line block ×19, first 2 shown]
	v_dual_add_f32 v51, v51, v148 :: v_dual_add_f32 v48, v48, v73
	v_add_f32_e32 v49, v49, v156
	v_add_f32_e32 v46, v46, v60
	;; [unrolled: 1-line block ×15, first 2 shown]
	s_wait_alu 0xfffe
	s_cbranch_vccnz .LBB89_5
.LBB89_6:                               ;   in Loop: Header=BB89_3 Depth=1
	s_mul_u64 s[18:19], s[2:3], s[28:29]
	s_and_not1_b32 vcc_lo, exec_lo, s34
	s_wait_alu 0xfffe
	s_lshl_b64 s[18:19], s[18:19], 3
	s_mov_b32 s1, -1
	s_wait_alu 0xfffe
	s_add_nc_u64 s[18:19], s[10:11], s[18:19]
                                        ; implicit-def: $vgpr10
                                        ; implicit-def: $vgpr8_vgpr9
	s_cbranch_vccz .LBB89_8
; %bb.7:                                ;   in Loop: Header=BB89_3 Depth=1
	s_and_not1_b32 vcc_lo, exec_lo, s1
	s_wait_alu 0xfffe
	s_cbranch_vccnz .LBB89_2
	s_branch .LBB89_9
.LBB89_8:                               ;   in Loop: Header=BB89_3 Depth=1
	v_lshlrev_b64_e32 v[8:9], 3, v[0:1]
	v_lshlrev_b64_e32 v[11:12], 3, v[2:3]
	v_dual_mul_f32 v10, s22, v53 :: v_dual_mul_f32 v55, s22, v51
	v_dual_mul_f32 v13, s23, v53 :: v_dual_mul_f32 v54, s23, v51
	v_mul_f32_e32 v57, s22, v49
	s_wait_alu 0xfffe
	v_add_co_u32 v8, vcc_lo, s18, v8
	s_wait_alu 0xfffd
	v_add_co_ci_u32_e64 v15, null, s19, v9, vcc_lo
	v_dual_mul_f32 v56, s23, v49 :: v_dual_mul_f32 v59, s22, v47
	v_fmac_f32_e32 v10, s23, v52
	v_fma_f32 v9, v52, s22, -v13
	v_add_co_u32 v13, vcc_lo, v8, v11
	v_dual_mul_f32 v58, s23, v47 :: v_dual_fmac_f32 v55, s23, v50
	s_wait_alu 0xfffd
	v_add_co_ci_u32_e64 v14, null, v15, v12, vcc_lo
	v_fma_f32 v54, v50, s22, -v54
	v_fma_f32 v56, v48, s22, -v56
	v_fmac_f32_e32 v57, s23, v48
	v_fma_f32 v58, v46, s22, -v58
	v_fmac_f32_e32 v59, s23, v46
	s_clause 0x3
	global_store_b64 v[13:14], v[9:10], off
	global_store_b64 v[13:14], v[54:55], off offset:128
	global_store_b64 v[13:14], v[56:57], off offset:256
	;; [unrolled: 1-line block ×3, first 2 shown]
	v_mul_f32_e32 v10, s23, v45
	v_dual_mul_f32 v9, s22, v45 :: v_dual_mul_f32 v58, s23, v39
	v_add_co_u32 v60, vcc_lo, v8, s16
	s_delay_alu instid0(VALU_DEP_3) | instskip(NEXT) | instid1(VALU_DEP_3)
	v_fma_f32 v8, v44, s22, -v10
	v_dual_mul_f32 v10, s23, v43 :: v_dual_fmac_f32 v9, s23, v44
	s_wait_alu 0xfffd
	v_add_co_ci_u32_e64 v15, null, s17, v15, vcc_lo
	v_mul_f32_e32 v55, s22, v43
	s_delay_alu instid0(VALU_DEP_3) | instskip(SKIP_4) | instid1(VALU_DEP_3)
	v_fma_f32 v54, v42, s22, -v10
	v_mul_f32_e32 v10, s23, v41
	v_add_co_u32 v13, vcc_lo, v60, v11
	s_wait_alu 0xfffd
	v_add_co_ci_u32_e64 v14, null, v15, v12, vcc_lo
	v_fma_f32 v56, v40, s22, -v10
	v_mul_f32_e32 v10, s23, v37
	v_mul_f32_e32 v57, s22, v41
	v_add_co_u32 v70, vcc_lo, v60, s16
	v_mul_f32_e32 v59, s22, v39
	s_delay_alu instid0(VALU_DEP_4) | instskip(SKIP_4) | instid1(VALU_DEP_3)
	v_fma_f32 v60, v36, s22, -v10
	v_dual_mul_f32 v10, s23, v35 :: v_dual_mul_f32 v61, s22, v37
	s_wait_alu 0xfffd
	v_add_co_ci_u32_e64 v15, null, s17, v15, vcc_lo
	v_dual_fmac_f32 v55, s23, v42 :: v_dual_mul_f32 v68, s23, v31
	v_fma_f32 v64, v34, s22, -v10
	v_dual_mul_f32 v65, s22, v35 :: v_dual_mul_f32 v10, s23, v33
	v_mul_f32_e32 v67, s22, v33
	v_mul_f32_e32 v69, s22, v31
	v_fmac_f32_e32 v57, s23, v40
	v_add_co_u32 v62, vcc_lo, v70, v11
	v_fma_f32 v58, v38, s22, -v58
	v_fmac_f32_e32 v59, s23, v38
	v_fmac_f32_e32 v61, s23, v36
	s_wait_alu 0xfffd
	v_add_co_ci_u32_e64 v63, null, v15, v12, vcc_lo
	v_fmac_f32_e32 v65, s23, v34
	v_fma_f32 v66, v32, s22, -v10
	v_fmac_f32_e32 v67, s23, v32
	v_fma_f32 v68, v30, s22, -v68
	v_fmac_f32_e32 v69, s23, v30
	s_clause 0x7
	global_store_b64 v[13:14], v[8:9], off
	global_store_b64 v[13:14], v[54:55], off offset:128
	global_store_b64 v[13:14], v[56:57], off offset:256
	;; [unrolled: 1-line block ×3, first 2 shown]
	global_store_b64 v[62:63], v[60:61], off
	global_store_b64 v[62:63], v[64:65], off offset:128
	global_store_b64 v[62:63], v[66:67], off offset:256
	;; [unrolled: 1-line block ×3, first 2 shown]
	v_mul_f32_e32 v8, s23, v29
	v_add_co_u32 v9, vcc_lo, v70, s16
	s_wait_alu 0xfffd
	v_add_co_ci_u32_e64 v10, null, s17, v15, vcc_lo
	s_delay_alu instid0(VALU_DEP_3)
	v_fma_f32 v13, v28, s22, -v8
	v_mul_f32_e32 v8, s23, v27
	v_add_co_u32 v11, vcc_lo, v9, v11
	v_mul_f32_e32 v14, s22, v29
	s_wait_alu 0xfffd
	v_add_co_ci_u32_e64 v12, null, v10, v12, vcc_lo
	v_fma_f32 v54, v26, s22, -v8
	v_dual_mul_f32 v8, s23, v25 :: v_dual_mul_f32 v9, s23, v23
	v_mul_f32_e32 v10, s22, v23
	v_mul_f32_e32 v55, s22, v27
	;; [unrolled: 1-line block ×3, first 2 shown]
	s_delay_alu instid0(VALU_DEP_4)
	v_fma_f32 v56, v24, s22, -v8
	v_add_co_u32 v8, vcc_lo, 0x180, v11
	v_fmac_f32_e32 v14, s23, v28
	v_fma_f32 v15, v22, s22, -v9
	v_fmac_f32_e32 v10, s23, v22
	s_wait_alu 0xfffd
	v_add_co_ci_u32_e64 v9, null, 0, v12, vcc_lo
	v_fmac_f32_e32 v55, s23, v26
	v_fmac_f32_e32 v57, s23, v24
	s_clause 0x3
	global_store_b64 v[11:12], v[13:14], off
	global_store_b64 v[11:12], v[54:55], off offset:128
	global_store_b64 v[11:12], v[56:57], off offset:256
	global_store_b32 v[11:12], v15, off offset:384
	s_cbranch_execnz .LBB89_2
.LBB89_9:                               ;   in Loop: Header=BB89_3 Depth=1
	s_mul_u64 s[24:25], s[8:9], s[28:29]
	v_lshlrev_b64_e32 v[8:9], 3, v[2:3]
	s_wait_alu 0xfffe
	s_lshl_b64 s[24:25], s[24:25], 3
	v_mul_f32_e32 v56, s23, v53
	s_wait_alu 0xfffe
	v_add_co_u32 v54, vcc_lo, v20, s24
	s_wait_alu 0xfffd
	v_add_co_ci_u32_e64 v55, null, s25, v21, vcc_lo
	v_mul_f32_e32 v53, s22, v53
	s_delay_alu instid0(VALU_DEP_3) | instskip(SKIP_1) | instid1(VALU_DEP_3)
	v_add_co_u32 v10, vcc_lo, v54, v8
	s_wait_alu 0xfffd
	v_add_co_ci_u32_e64 v11, null, v55, v9, vcc_lo
	v_lshlrev_b64_e32 v[14:15], 3, v[0:1]
	v_fmac_f32_e32 v53, s23, v52
	v_fma_f32 v56, v52, s22, -v56
	global_load_b64 v[12:13], v[10:11], off
	v_add_co_u32 v58, vcc_lo, s18, v14
	s_wait_alu 0xfffd
	v_add_co_ci_u32_e64 v59, null, s19, v15, vcc_lo
	s_wait_loadcnt 0x0
	v_mul_f32_e32 v57, s30, v13
	s_delay_alu instid0(VALU_DEP_1) | instskip(NEXT) | instid1(VALU_DEP_1)
	v_dual_mul_f32 v52, s31, v13 :: v_dual_fmac_f32 v57, s31, v12
	v_fma_f32 v14, v12, s30, -v52
	v_mul_f32_e32 v52, s23, v51
	v_add_co_u32 v12, vcc_lo, v58, v8
	s_wait_alu 0xfffd
	v_add_co_ci_u32_e64 v13, null, v59, v9, vcc_lo
	v_add_f32_e32 v14, v56, v14
	v_fma_f32 v52, v50, s22, -v52
	v_add_f32_e32 v15, v53, v57
	v_mul_f32_e32 v51, s22, v51
	global_store_b64 v[12:13], v[14:15], off
	global_load_b64 v[14:15], v[10:11], off offset:128
	v_fmac_f32_e32 v51, s23, v50
	s_wait_loadcnt 0x0
	v_mul_f32_e32 v53, s31, v15
	v_mul_f32_e32 v15, s30, v15
	s_delay_alu instid0(VALU_DEP_2) | instskip(NEXT) | instid1(VALU_DEP_2)
	v_fma_f32 v50, v14, s30, -v53
	v_fmac_f32_e32 v15, s31, v14
	s_delay_alu instid0(VALU_DEP_1)
	v_dual_add_f32 v14, v52, v50 :: v_dual_add_f32 v15, v51, v15
	v_mul_f32_e32 v50, s23, v49
	v_mul_f32_e32 v49, s22, v49
	global_store_b64 v[12:13], v[14:15], off offset:128
	global_load_b64 v[14:15], v[10:11], off offset:256
	v_fma_f32 v50, v48, s22, -v50
	v_fmac_f32_e32 v49, s23, v48
	s_wait_loadcnt 0x0
	v_mul_f32_e32 v51, s31, v15
	v_mul_f32_e32 v15, s30, v15
	s_delay_alu instid0(VALU_DEP_2) | instskip(NEXT) | instid1(VALU_DEP_1)
	v_fma_f32 v48, v14, s30, -v51
	v_dual_fmac_f32 v15, s31, v14 :: v_dual_add_f32 v14, v50, v48
	s_delay_alu instid0(VALU_DEP_1) | instskip(SKIP_4) | instid1(VALU_DEP_2)
	v_add_f32_e32 v15, v49, v15
	global_store_b64 v[12:13], v[14:15], off offset:256
	global_load_b64 v[10:11], v[10:11], off offset:384
	v_mul_f32_e32 v14, s23, v47
	v_mul_f32_e32 v15, s22, v47
	v_fma_f32 v14, v46, s22, -v14
	s_delay_alu instid0(VALU_DEP_2) | instskip(SKIP_3) | instid1(VALU_DEP_2)
	v_fmac_f32_e32 v15, s23, v46
	s_wait_loadcnt 0x0
	v_mul_f32_e32 v47, s31, v11
	v_mul_f32_e32 v11, s30, v11
	v_fma_f32 v46, v10, s30, -v47
	v_add_co_u32 v47, vcc_lo, v54, s14
	s_delay_alu instid0(VALU_DEP_3)
	v_fmac_f32_e32 v11, s31, v10
	s_wait_alu 0xfffd
	v_add_co_ci_u32_e64 v48, null, s15, v55, vcc_lo
	v_add_f32_e32 v10, v14, v46
	v_add_co_u32 v14, vcc_lo, v47, v8
	v_add_f32_e32 v11, v15, v11
	s_wait_alu 0xfffd
	v_add_co_ci_u32_e64 v15, null, v48, v9, vcc_lo
	v_add_co_u32 v46, vcc_lo, v58, s16
	global_store_b64 v[12:13], v[10:11], off offset:384
	global_load_b64 v[10:11], v[14:15], off
	v_mul_f32_e32 v12, s23, v45
	v_mul_f32_e32 v13, s22, v45
	s_wait_alu 0xfffd
	v_add_co_ci_u32_e64 v49, null, s17, v59, vcc_lo
	s_delay_alu instid0(VALU_DEP_3) | instskip(SKIP_3) | instid1(VALU_DEP_2)
	v_fma_f32 v12, v44, s22, -v12
	s_wait_loadcnt 0x0
	v_dual_fmac_f32 v13, s23, v44 :: v_dual_mul_f32 v44, s31, v11
	v_mul_f32_e32 v45, s30, v11
	v_fma_f32 v44, v10, s30, -v44
	s_delay_alu instid0(VALU_DEP_2) | instskip(SKIP_3) | instid1(VALU_DEP_3)
	v_fmac_f32_e32 v45, s31, v10
	v_add_co_u32 v10, vcc_lo, v46, v8
	s_wait_alu 0xfffd
	v_add_co_ci_u32_e64 v11, null, v49, v9, vcc_lo
	v_dual_add_f32 v12, v12, v44 :: v_dual_add_f32 v13, v13, v45
	v_mul_f32_e32 v44, s23, v43
	v_mul_f32_e32 v43, s22, v43
	global_store_b64 v[10:11], v[12:13], off
	global_load_b64 v[12:13], v[14:15], off offset:128
	v_fma_f32 v44, v42, s22, -v44
	v_fmac_f32_e32 v43, s23, v42
	s_wait_loadcnt 0x0
	v_mul_f32_e32 v45, s31, v13
	v_mul_f32_e32 v13, s30, v13
	s_delay_alu instid0(VALU_DEP_2) | instskip(NEXT) | instid1(VALU_DEP_1)
	v_fma_f32 v42, v12, s30, -v45
	v_dual_fmac_f32 v13, s31, v12 :: v_dual_add_f32 v12, v44, v42
	s_delay_alu instid0(VALU_DEP_1)
	v_add_f32_e32 v13, v43, v13
	v_mul_f32_e32 v42, s23, v41
	v_mul_f32_e32 v41, s22, v41
	global_store_b64 v[10:11], v[12:13], off offset:128
	global_load_b64 v[12:13], v[14:15], off offset:256
	v_fma_f32 v42, v40, s22, -v42
	v_fmac_f32_e32 v41, s23, v40
	s_wait_loadcnt 0x0
	v_mul_f32_e32 v43, s31, v13
	v_mul_f32_e32 v13, s30, v13
	s_delay_alu instid0(VALU_DEP_2) | instskip(NEXT) | instid1(VALU_DEP_2)
	v_fma_f32 v40, v12, s30, -v43
	v_fmac_f32_e32 v13, s31, v12
	s_delay_alu instid0(VALU_DEP_1) | instskip(SKIP_4) | instid1(VALU_DEP_2)
	v_dual_add_f32 v12, v42, v40 :: v_dual_add_f32 v13, v41, v13
	global_store_b64 v[10:11], v[12:13], off offset:256
	global_load_b64 v[12:13], v[14:15], off offset:384
	v_mul_f32_e32 v14, s23, v39
	v_mul_f32_e32 v15, s22, v39
	v_fma_f32 v14, v38, s22, -v14
	s_delay_alu instid0(VALU_DEP_2) | instskip(SKIP_3) | instid1(VALU_DEP_2)
	v_fmac_f32_e32 v15, s23, v38
	s_wait_loadcnt 0x0
	v_mul_f32_e32 v39, s31, v13
	v_mul_f32_e32 v13, s30, v13
	v_fma_f32 v38, v12, s30, -v39
	v_add_co_u32 v39, vcc_lo, v47, s14
	s_delay_alu instid0(VALU_DEP_3)
	v_fmac_f32_e32 v13, s31, v12
	s_wait_alu 0xfffd
	v_add_co_ci_u32_e64 v40, null, s15, v48, vcc_lo
	v_add_f32_e32 v12, v14, v38
	v_add_co_u32 v14, vcc_lo, v39, v8
	v_add_f32_e32 v13, v15, v13
	s_wait_alu 0xfffd
	v_add_co_ci_u32_e64 v15, null, v40, v9, vcc_lo
	v_add_co_u32 v38, vcc_lo, v46, s16
	global_store_b64 v[10:11], v[12:13], off offset:384
	global_load_b64 v[10:11], v[14:15], off
	v_mul_f32_e32 v12, s23, v37
	v_mul_f32_e32 v13, s22, v37
	s_wait_alu 0xfffd
	v_add_co_ci_u32_e64 v41, null, s17, v49, vcc_lo
	s_delay_alu instid0(VALU_DEP_3) | instskip(SKIP_3) | instid1(VALU_DEP_2)
	v_fma_f32 v12, v36, s22, -v12
	s_wait_loadcnt 0x0
	v_dual_fmac_f32 v13, s23, v36 :: v_dual_mul_f32 v36, s31, v11
	v_mul_f32_e32 v37, s30, v11
	v_fma_f32 v36, v10, s30, -v36
	s_delay_alu instid0(VALU_DEP_2) | instskip(SKIP_3) | instid1(VALU_DEP_3)
	v_fmac_f32_e32 v37, s31, v10
	v_add_co_u32 v10, vcc_lo, v38, v8
	s_wait_alu 0xfffd
	v_add_co_ci_u32_e64 v11, null, v41, v9, vcc_lo
	v_dual_add_f32 v12, v12, v36 :: v_dual_add_f32 v13, v13, v37
	v_mul_f32_e32 v36, s23, v35
	v_mul_f32_e32 v35, s22, v35
	global_store_b64 v[10:11], v[12:13], off
	global_load_b64 v[12:13], v[14:15], off offset:128
	v_fma_f32 v36, v34, s22, -v36
	v_fmac_f32_e32 v35, s23, v34
	s_wait_loadcnt 0x0
	v_mul_f32_e32 v37, s31, v13
	v_mul_f32_e32 v13, s30, v13
	s_delay_alu instid0(VALU_DEP_2) | instskip(NEXT) | instid1(VALU_DEP_1)
	v_fma_f32 v34, v12, s30, -v37
	v_dual_fmac_f32 v13, s31, v12 :: v_dual_add_f32 v12, v36, v34
	s_delay_alu instid0(VALU_DEP_1)
	v_add_f32_e32 v13, v35, v13
	v_mul_f32_e32 v34, s23, v33
	v_mul_f32_e32 v33, s22, v33
	global_store_b64 v[10:11], v[12:13], off offset:128
	global_load_b64 v[12:13], v[14:15], off offset:256
	v_fma_f32 v34, v32, s22, -v34
	v_fmac_f32_e32 v33, s23, v32
	s_wait_loadcnt 0x0
	v_mul_f32_e32 v35, s31, v13
	v_mul_f32_e32 v13, s30, v13
	s_delay_alu instid0(VALU_DEP_2) | instskip(NEXT) | instid1(VALU_DEP_2)
	v_fma_f32 v32, v12, s30, -v35
	v_fmac_f32_e32 v13, s31, v12
	s_delay_alu instid0(VALU_DEP_1) | instskip(SKIP_4) | instid1(VALU_DEP_2)
	v_dual_add_f32 v12, v34, v32 :: v_dual_add_f32 v13, v33, v13
	global_store_b64 v[10:11], v[12:13], off offset:256
	global_load_b64 v[12:13], v[14:15], off offset:384
	v_mul_f32_e32 v14, s23, v31
	v_mul_f32_e32 v15, s22, v31
	v_fma_f32 v14, v30, s22, -v14
	s_delay_alu instid0(VALU_DEP_2) | instskip(SKIP_3) | instid1(VALU_DEP_2)
	v_fmac_f32_e32 v15, s23, v30
	s_wait_loadcnt 0x0
	v_mul_f32_e32 v31, s31, v13
	v_mul_f32_e32 v13, s30, v13
	v_fma_f32 v30, v12, s30, -v31
	v_add_co_u32 v31, vcc_lo, v39, s14
	s_delay_alu instid0(VALU_DEP_3)
	v_fmac_f32_e32 v13, s31, v12
	s_wait_alu 0xfffd
	v_add_co_ci_u32_e64 v32, null, s15, v40, vcc_lo
	v_add_f32_e32 v12, v14, v30
	v_add_co_u32 v14, vcc_lo, v31, v8
	v_add_f32_e32 v13, v15, v13
	s_wait_alu 0xfffd
	v_add_co_ci_u32_e64 v15, null, v32, v9, vcc_lo
	global_store_b64 v[10:11], v[12:13], off offset:384
	global_load_b64 v[10:11], v[14:15], off
	v_mul_f32_e32 v12, s23, v29
	v_mul_f32_e32 v13, s22, v29
	s_delay_alu instid0(VALU_DEP_2) | instskip(SKIP_1) | instid1(VALU_DEP_2)
	v_fma_f32 v29, v28, s22, -v12
	s_wait_loadcnt 0x0
	v_dual_fmac_f32 v13, s23, v28 :: v_dual_mul_f32 v12, s31, v11
	v_mul_f32_e32 v28, s30, v11
	v_add_co_u32 v11, vcc_lo, v38, s16
	s_wait_alu 0xfffd
	v_add_co_ci_u32_e64 v30, null, s17, v41, vcc_lo
	v_fma_f32 v31, v10, s30, -v12
	v_fmac_f32_e32 v28, s31, v10
	v_add_co_u32 v11, vcc_lo, v11, v8
	s_wait_alu 0xfffd
	v_add_co_ci_u32_e64 v12, null, v30, v9, vcc_lo
	v_add_f32_e32 v8, v29, v31
	v_dual_add_f32 v9, v13, v28 :: v_dual_mul_f32 v10, s23, v27
	v_mul_f32_e32 v13, s22, v27
	global_store_b64 v[11:12], v[8:9], off
	global_load_b64 v[8:9], v[14:15], off offset:128
	v_fma_f32 v10, v26, s22, -v10
	v_fmac_f32_e32 v13, s23, v26
	s_wait_loadcnt 0x0
	v_mul_f32_e32 v27, s31, v9
	v_mul_f32_e32 v9, s30, v9
	s_delay_alu instid0(VALU_DEP_2) | instskip(NEXT) | instid1(VALU_DEP_1)
	v_fma_f32 v26, v8, s30, -v27
	v_dual_fmac_f32 v9, s31, v8 :: v_dual_add_f32 v8, v10, v26
	s_delay_alu instid0(VALU_DEP_1)
	v_add_f32_e32 v9, v13, v9
	v_mul_f32_e32 v10, s23, v25
	v_mul_f32_e32 v13, s22, v25
	global_store_b64 v[11:12], v[8:9], off offset:128
	global_load_b64 v[8:9], v[14:15], off offset:256
	v_fma_f32 v10, v24, s22, -v10
	v_fmac_f32_e32 v13, s23, v24
	s_wait_loadcnt 0x0
	v_mul_f32_e32 v25, s31, v9
	v_mul_f32_e32 v9, s30, v9
	s_delay_alu instid0(VALU_DEP_2) | instskip(NEXT) | instid1(VALU_DEP_2)
	v_fma_f32 v24, v8, s30, -v25
	v_fmac_f32_e32 v9, s31, v8
	s_delay_alu instid0(VALU_DEP_1)
	v_dual_add_f32 v8, v10, v24 :: v_dual_add_f32 v9, v13, v9
	v_mul_f32_e32 v10, s23, v23
	v_mul_f32_e32 v13, s22, v23
	global_store_b64 v[11:12], v[8:9], off offset:256
	global_load_b64 v[8:9], v[14:15], off offset:384
	v_fma_f32 v10, v22, s22, -v10
	s_wait_loadcnt 0x0
	v_dual_fmac_f32 v13, s23, v22 :: v_dual_mul_f32 v14, s31, v9
	v_mul_f32_e32 v9, s30, v9
	s_delay_alu instid0(VALU_DEP_2) | instskip(NEXT) | instid1(VALU_DEP_2)
	v_fma_f32 v14, v8, s30, -v14
	v_fmac_f32_e32 v9, s31, v8
	v_add_co_u32 v8, vcc_lo, 0x180, v11
	s_delay_alu instid0(VALU_DEP_3) | instskip(NEXT) | instid1(VALU_DEP_3)
	v_add_f32_e32 v14, v10, v14
	v_add_f32_e32 v10, v13, v9
	s_wait_alu 0xfffd
	v_add_co_ci_u32_e64 v9, null, 0, v12, vcc_lo
	global_store_b32 v[11:12], v14, off offset:384
	s_branch .LBB89_2
.LBB89_10:
	s_nop 0
	s_sendmsg sendmsg(MSG_DEALLOC_VGPRS)
	s_endpgm
	.section	.rodata,"a",@progbits
	.p2align	6, 0x0
	.amdhsa_kernel _ZN12_GLOBAL__N_127rocblas_gemm_batched_kernelI19rocblas_complex_numIfELi16ELi16ELi64ELi64ELi4ELi64ELi4ELi4ELi64ELc78ELc78EKS2_S3_S2_EEvlllT_PT11_llS6_llS4_PT12_llPT13_lli
		.amdhsa_group_segment_fixed_size 4096
		.amdhsa_private_segment_fixed_size 0
		.amdhsa_kernarg_size 140
		.amdhsa_user_sgpr_count 2
		.amdhsa_user_sgpr_dispatch_ptr 0
		.amdhsa_user_sgpr_queue_ptr 0
		.amdhsa_user_sgpr_kernarg_segment_ptr 1
		.amdhsa_user_sgpr_dispatch_id 0
		.amdhsa_user_sgpr_private_segment_size 0
		.amdhsa_wavefront_size32 1
		.amdhsa_uses_dynamic_stack 0
		.amdhsa_enable_private_segment 0
		.amdhsa_system_sgpr_workgroup_id_x 1
		.amdhsa_system_sgpr_workgroup_id_y 1
		.amdhsa_system_sgpr_workgroup_id_z 1
		.amdhsa_system_sgpr_workgroup_info 0
		.amdhsa_system_vgpr_workitem_id 1
		.amdhsa_next_free_vgpr 196
		.amdhsa_next_free_sgpr 38
		.amdhsa_reserve_vcc 1
		.amdhsa_float_round_mode_32 0
		.amdhsa_float_round_mode_16_64 0
		.amdhsa_float_denorm_mode_32 3
		.amdhsa_float_denorm_mode_16_64 3
		.amdhsa_fp16_overflow 0
		.amdhsa_workgroup_processor_mode 1
		.amdhsa_memory_ordered 1
		.amdhsa_forward_progress 1
		.amdhsa_inst_pref_size 44
		.amdhsa_round_robin_scheduling 0
		.amdhsa_exception_fp_ieee_invalid_op 0
		.amdhsa_exception_fp_denorm_src 0
		.amdhsa_exception_fp_ieee_div_zero 0
		.amdhsa_exception_fp_ieee_overflow 0
		.amdhsa_exception_fp_ieee_underflow 0
		.amdhsa_exception_fp_ieee_inexact 0
		.amdhsa_exception_int_div_zero 0
	.end_amdhsa_kernel
	.section	.text._ZN12_GLOBAL__N_127rocblas_gemm_batched_kernelI19rocblas_complex_numIfELi16ELi16ELi64ELi64ELi4ELi64ELi4ELi4ELi64ELc78ELc78EKS2_S3_S2_EEvlllT_PT11_llS6_llS4_PT12_llPT13_lli,"axG",@progbits,_ZN12_GLOBAL__N_127rocblas_gemm_batched_kernelI19rocblas_complex_numIfELi16ELi16ELi64ELi64ELi4ELi64ELi4ELi4ELi64ELc78ELc78EKS2_S3_S2_EEvlllT_PT11_llS6_llS4_PT12_llPT13_lli,comdat
.Lfunc_end89:
	.size	_ZN12_GLOBAL__N_127rocblas_gemm_batched_kernelI19rocblas_complex_numIfELi16ELi16ELi64ELi64ELi4ELi64ELi4ELi4ELi64ELc78ELc78EKS2_S3_S2_EEvlllT_PT11_llS6_llS4_PT12_llPT13_lli, .Lfunc_end89-_ZN12_GLOBAL__N_127rocblas_gemm_batched_kernelI19rocblas_complex_numIfELi16ELi16ELi64ELi64ELi4ELi64ELi4ELi4ELi64ELc78ELc78EKS2_S3_S2_EEvlllT_PT11_llS6_llS4_PT12_llPT13_lli
                                        ; -- End function
	.set _ZN12_GLOBAL__N_127rocblas_gemm_batched_kernelI19rocblas_complex_numIfELi16ELi16ELi64ELi64ELi4ELi64ELi4ELi4ELi64ELc78ELc78EKS2_S3_S2_EEvlllT_PT11_llS6_llS4_PT12_llPT13_lli.num_vgpr, 196
	.set _ZN12_GLOBAL__N_127rocblas_gemm_batched_kernelI19rocblas_complex_numIfELi16ELi16ELi64ELi64ELi4ELi64ELi4ELi4ELi64ELc78ELc78EKS2_S3_S2_EEvlllT_PT11_llS6_llS4_PT12_llPT13_lli.num_agpr, 0
	.set _ZN12_GLOBAL__N_127rocblas_gemm_batched_kernelI19rocblas_complex_numIfELi16ELi16ELi64ELi64ELi4ELi64ELi4ELi4ELi64ELc78ELc78EKS2_S3_S2_EEvlllT_PT11_llS6_llS4_PT12_llPT13_lli.numbered_sgpr, 38
	.set _ZN12_GLOBAL__N_127rocblas_gemm_batched_kernelI19rocblas_complex_numIfELi16ELi16ELi64ELi64ELi4ELi64ELi4ELi4ELi64ELc78ELc78EKS2_S3_S2_EEvlllT_PT11_llS6_llS4_PT12_llPT13_lli.num_named_barrier, 0
	.set _ZN12_GLOBAL__N_127rocblas_gemm_batched_kernelI19rocblas_complex_numIfELi16ELi16ELi64ELi64ELi4ELi64ELi4ELi4ELi64ELc78ELc78EKS2_S3_S2_EEvlllT_PT11_llS6_llS4_PT12_llPT13_lli.private_seg_size, 0
	.set _ZN12_GLOBAL__N_127rocblas_gemm_batched_kernelI19rocblas_complex_numIfELi16ELi16ELi64ELi64ELi4ELi64ELi4ELi4ELi64ELc78ELc78EKS2_S3_S2_EEvlllT_PT11_llS6_llS4_PT12_llPT13_lli.uses_vcc, 1
	.set _ZN12_GLOBAL__N_127rocblas_gemm_batched_kernelI19rocblas_complex_numIfELi16ELi16ELi64ELi64ELi4ELi64ELi4ELi4ELi64ELc78ELc78EKS2_S3_S2_EEvlllT_PT11_llS6_llS4_PT12_llPT13_lli.uses_flat_scratch, 0
	.set _ZN12_GLOBAL__N_127rocblas_gemm_batched_kernelI19rocblas_complex_numIfELi16ELi16ELi64ELi64ELi4ELi64ELi4ELi4ELi64ELc78ELc78EKS2_S3_S2_EEvlllT_PT11_llS6_llS4_PT12_llPT13_lli.has_dyn_sized_stack, 0
	.set _ZN12_GLOBAL__N_127rocblas_gemm_batched_kernelI19rocblas_complex_numIfELi16ELi16ELi64ELi64ELi4ELi64ELi4ELi4ELi64ELc78ELc78EKS2_S3_S2_EEvlllT_PT11_llS6_llS4_PT12_llPT13_lli.has_recursion, 0
	.set _ZN12_GLOBAL__N_127rocblas_gemm_batched_kernelI19rocblas_complex_numIfELi16ELi16ELi64ELi64ELi4ELi64ELi4ELi4ELi64ELc78ELc78EKS2_S3_S2_EEvlllT_PT11_llS6_llS4_PT12_llPT13_lli.has_indirect_call, 0
	.section	.AMDGPU.csdata,"",@progbits
; Kernel info:
; codeLenInByte = 5512
; TotalNumSgprs: 40
; NumVgprs: 196
; ScratchSize: 0
; MemoryBound: 0
; FloatMode: 240
; IeeeMode: 1
; LDSByteSize: 4096 bytes/workgroup (compile time only)
; SGPRBlocks: 0
; VGPRBlocks: 24
; NumSGPRsForWavesPerEU: 40
; NumVGPRsForWavesPerEU: 196
; Occupancy: 7
; WaveLimiterHint : 1
; COMPUTE_PGM_RSRC2:SCRATCH_EN: 0
; COMPUTE_PGM_RSRC2:USER_SGPR: 2
; COMPUTE_PGM_RSRC2:TRAP_HANDLER: 0
; COMPUTE_PGM_RSRC2:TGID_X_EN: 1
; COMPUTE_PGM_RSRC2:TGID_Y_EN: 1
; COMPUTE_PGM_RSRC2:TGID_Z_EN: 1
; COMPUTE_PGM_RSRC2:TIDIG_COMP_CNT: 1
	.section	.text._ZN12_GLOBAL__N_127rocblas_gemm_batched_kernelI19rocblas_complex_numIfELi16ELi16ELi64ELi64ELi4ELi64ELi4ELi4ELi64ELc84ELc78EKS2_S3_S2_EEvlllT_PT11_llS6_llS4_PT12_llPT13_lli,"axG",@progbits,_ZN12_GLOBAL__N_127rocblas_gemm_batched_kernelI19rocblas_complex_numIfELi16ELi16ELi64ELi64ELi4ELi64ELi4ELi4ELi64ELc84ELc78EKS2_S3_S2_EEvlllT_PT11_llS6_llS4_PT12_llPT13_lli,comdat
	.globl	_ZN12_GLOBAL__N_127rocblas_gemm_batched_kernelI19rocblas_complex_numIfELi16ELi16ELi64ELi64ELi4ELi64ELi4ELi4ELi64ELc84ELc78EKS2_S3_S2_EEvlllT_PT11_llS6_llS4_PT12_llPT13_lli ; -- Begin function _ZN12_GLOBAL__N_127rocblas_gemm_batched_kernelI19rocblas_complex_numIfELi16ELi16ELi64ELi64ELi4ELi64ELi4ELi4ELi64ELc84ELc78EKS2_S3_S2_EEvlllT_PT11_llS6_llS4_PT12_llPT13_lli
	.p2align	8
	.type	_ZN12_GLOBAL__N_127rocblas_gemm_batched_kernelI19rocblas_complex_numIfELi16ELi16ELi64ELi64ELi4ELi64ELi4ELi4ELi64ELc84ELc78EKS2_S3_S2_EEvlllT_PT11_llS6_llS4_PT12_llPT13_lli,@function
_ZN12_GLOBAL__N_127rocblas_gemm_batched_kernelI19rocblas_complex_numIfELi16ELi16ELi64ELi64ELi4ELi64ELi4ELi4ELi64ELc84ELc78EKS2_S3_S2_EEvlllT_PT11_llS6_llS4_PT12_llPT13_lli: ; @_ZN12_GLOBAL__N_127rocblas_gemm_batched_kernelI19rocblas_complex_numIfELi16ELi16ELi64ELi64ELi4ELi64ELi4ELi4ELi64ELc84ELc78EKS2_S3_S2_EEvlllT_PT11_llS6_llS4_PT12_llPT13_lli
; %bb.0:
	s_load_b32 s33, s[0:1], 0x88
	s_lshr_b32 s2, ttmp7, 16
	s_wait_kmcnt 0x0
	s_cmp_ge_i32 s2, s33
	s_cbranch_scc1 .LBB90_10
; %bb.1:
	v_and_b32_e32 v3, 0x3ff, v0
	v_bfe_u32 v2, v0, 10, 10
	s_clause 0x5
	s_load_b128 s[20:23], s[0:1], 0x10
	s_load_b256 s[12:19], s[0:1], 0x20
	s_load_b128 s[24:27], s[0:1], 0x78
	s_load_b128 s[28:31], s[0:1], 0x40
	s_load_b64 s[34:35], s[0:1], 0x50
	s_load_b256 s[4:11], s[0:1], 0x58
	s_lshl_b32 s0, ttmp7, 6
	v_lshl_add_u32 v1, v2, 4, v3
	s_and_b32 s0, s0, 0x3fffc0
	v_lshlrev_b32_e32 v0, 3, v0
	v_add_nc_u32_e32 v7, s0, v2
	s_mov_b32 s36, ttmp9
	v_and_b32_e32 v6, 63, v1
	v_lshrrev_b32_e32 v12, 6, v1
	v_lshrrev_b32_e32 v1, 2, v1
	s_ashr_i32 s37, ttmp9, 31
	v_lshl_add_u32 v19, v2, 5, 0x800
	s_lshl_b64 s[36:37], s[36:37], 6
	s_mov_b32 s3, 0
	v_add_nc_u32_e32 v11, s0, v1
	v_or_b32_e32 v8, s36, v6
	s_wait_kmcnt 0x0
	s_delay_alu instid0(VALU_DEP_2)
	v_mad_co_u64_u32 v[9:10], null, s28, v11, 0
	v_and_b32_e32 v13, 24, v0
	v_lshlrev_b32_e32 v0, 3, v6
	s_or_b32 s0, s34, s35
	v_mul_lo_u32 v14, s15, v8
	s_wait_alu 0xfffe
	s_bitset0_b32 s0, 31
	v_lshl_or_b32 v4, v1, 5, v13
	v_lshl_or_b32 v16, v12, 9, v0
	v_mad_co_u64_u32 v[0:1], null, v7, s24, 0
	s_wait_alu 0xfffe
	s_cmp_eq_u32 s0, 0
	v_add_nc_u32_e32 v17, 0x800, v4
	v_mad_co_u64_u32 v[4:5], null, v7, s6, 0
	s_cselect_b32 s1, -1, 0
	v_mov_b32_e32 v2, v5
	v_lshlrev_b32_e32 v18, 3, v3
	s_delay_alu instid0(VALU_DEP_2)
	v_mad_co_u64_u32 v[5:6], null, v7, s25, v[1:2]
	v_mad_co_u64_u32 v[6:7], null, v7, s7, v[2:3]
	;; [unrolled: 1-line block ×3, first 2 shown]
	v_add_co_u32 v2, s0, s36, v3
	s_wait_alu 0xf1ff
	v_add_co_ci_u32_e64 v3, null, s37, 0, s0
	v_mov_b32_e32 v1, v5
	v_mov_b32_e32 v5, v6
	s_mul_i32 s0, s14, s37
	v_mov_b32_e32 v6, v10
	s_wait_alu 0xfffe
	v_add3_u32 v8, v8, s0, v14
	v_cmp_gt_i64_e64 s0, s[20:21], 0
	v_lshlrev_b64_e32 v[4:5], 3, v[4:5]
	s_lshl_b64 s[14:15], s[24:25], 4
	v_mad_co_u64_u32 v[10:11], null, s29, v11, v[6:7]
	v_lshlrev_b64_e32 v[6:7], 3, v[7:8]
	v_lshlrev_b32_e32 v8, 3, v12
	s_delay_alu instid0(VALU_DEP_4) | instskip(NEXT) | instid1(VALU_DEP_1)
	v_add_co_u32 v20, vcc_lo, s4, v4
	v_add_co_ci_u32_e64 v21, null, s5, v5, vcc_lo
	s_delay_alu instid0(VALU_DEP_3) | instskip(SKIP_3) | instid1(VALU_DEP_3)
	v_add_co_u32 v4, vcc_lo, v6, v8
	s_wait_alu 0xfffd
	v_add_co_ci_u32_e64 v5, null, 0, v7, vcc_lo
	v_lshlrev_b64_e32 v[6:7], 3, v[9:10]
	v_add_co_u32 v4, vcc_lo, s12, v4
	s_wait_alu 0xfffd
	s_delay_alu instid0(VALU_DEP_3) | instskip(SKIP_1) | instid1(VALU_DEP_4)
	v_add_co_ci_u32_e64 v5, null, s13, v5, vcc_lo
	v_cndmask_b32_e64 v8, 0, 1, s0
	v_add_co_u32 v6, vcc_lo, v6, v13
	s_wait_alu 0xfffd
	v_add_co_ci_u32_e64 v7, null, 0, v7, vcc_lo
	s_delay_alu instid0(VALU_DEP_3) | instskip(NEXT) | instid1(VALU_DEP_3)
	v_cmp_ne_u32_e64 s0, 1, v8
	v_add_co_u32 v6, vcc_lo, s18, v6
	s_wait_alu 0xfffd
	s_delay_alu instid0(VALU_DEP_3)
	v_add_co_ci_u32_e64 v7, null, s19, v7, vcc_lo
	s_lshl_b64 s[24:25], s[6:7], 4
	s_lshl_b64 s[4:5], s[16:17], 3
	s_lshl_b64 s[6:7], s[30:31], 3
	s_wait_alu 0xfffe
	s_lshl_b64 s[12:13], s[24:25], 3
	s_lshl_b64 s[14:15], s[14:15], 3
	s_branch .LBB90_3
.LBB90_2:                               ;   in Loop: Header=BB90_3 Depth=1
	s_add_co_i32 s2, s2, 0x10000
	global_store_b32 v[8:9], v10, off offset:4
	s_wait_alu 0xfffe
	s_cmp_lt_i32 s2, s33
	s_cbranch_scc0 .LBB90_10
.LBB90_3:                               ; =>This Loop Header: Depth=1
                                        ;     Child Loop BB90_5 Depth 2
	v_dual_mov_b32 v52, 0 :: v_dual_mov_b32 v53, 0
	v_dual_mov_b32 v50, 0 :: v_dual_mov_b32 v51, 0
	;; [unrolled: 1-line block ×16, first 2 shown]
	s_and_b32 vcc_lo, exec_lo, s0
	s_wait_alu 0xfffe
	s_cbranch_vccnz .LBB90_6
; %bb.4:                                ;   in Loop: Header=BB90_3 Depth=1
	v_mad_co_u64_u32 v[8:9], null, s4, s2, v[4:5]
	v_mad_co_u64_u32 v[10:11], null, s6, s2, v[6:7]
	v_dual_mov_b32 v23, 0 :: v_dual_mov_b32 v22, 0
	v_dual_mov_b32 v25, 0 :: v_dual_mov_b32 v24, 0
	v_dual_mov_b32 v27, 0 :: v_dual_mov_b32 v26, 0
	s_delay_alu instid0(VALU_DEP_4) | instskip(SKIP_3) | instid1(VALU_DEP_4)
	v_mad_co_u64_u32 v[12:13], null, s5, s2, v[9:10]
	v_dual_mov_b32 v29, 0 :: v_dual_mov_b32 v28, 0
	v_dual_mov_b32 v31, 0 :: v_dual_mov_b32 v30, 0
	;; [unrolled: 1-line block ×3, first 2 shown]
	v_mad_co_u64_u32 v[13:14], null, s7, s2, v[11:12]
	v_dual_mov_b32 v9, v12 :: v_dual_mov_b32 v32, 0
	v_dual_mov_b32 v35, 0 :: v_dual_mov_b32 v38, 0
	;; [unrolled: 1-line block ×3, first 2 shown]
	s_delay_alu instid0(VALU_DEP_4)
	v_dual_mov_b32 v40, 0 :: v_dual_mov_b32 v11, v13
	v_dual_mov_b32 v39, 0 :: v_dual_mov_b32 v42, 0
	;; [unrolled: 1-line block ×7, first 2 shown]
	v_mov_b32_e32 v51, 0
	v_mov_b32_e32 v53, 0
	s_mov_b64 s[16:17], 0
.LBB90_5:                               ;   Parent Loop BB90_3 Depth=1
                                        ; =>  This Inner Loop Header: Depth=2
	global_load_b64 v[12:13], v[8:9], off
	global_load_b64 v[14:15], v[10:11], off
	s_wait_alu 0xfffe
	s_add_nc_u64 s[16:17], s[16:17], 4
	v_add_co_u32 v8, vcc_lo, v8, 32
	s_wait_alu 0xfffe
	v_cmp_lt_i64_e64 s18, s[16:17], s[20:21]
	s_wait_alu 0xfffd
	v_add_co_ci_u32_e64 v9, null, 0, v9, vcc_lo
	v_add_co_u32 v10, vcc_lo, v10, 32
	s_wait_alu 0xfffd
	v_add_co_ci_u32_e64 v11, null, 0, v11, vcc_lo
	s_and_b32 vcc_lo, exec_lo, s18
	s_wait_loadcnt 0x1
	ds_store_b64 v16, v[12:13]
	s_wait_loadcnt 0x0
	ds_store_b64 v17, v[14:15]
	s_wait_dscnt 0x0
	s_barrier_signal -1
	s_barrier_wait -1
	global_inv scope:SCOPE_SE
	ds_load_2addr_b64 v[12:15], v18 offset1:16
	ds_load_b128 v[54:57], v19
	ds_load_b128 v[58:61], v19 offset:16
	ds_load_b128 v[62:65], v19 offset:512
	;; [unrolled: 1-line block ×7, first 2 shown]
	ds_load_2addr_b64 v[86:89], v18 offset0:32 offset1:48
	ds_load_2addr_b64 v[90:93], v18 offset0:64 offset1:80
	;; [unrolled: 1-line block ×7, first 2 shown]
	s_wait_loadcnt_dscnt 0x0
	s_barrier_signal -1
	s_barrier_wait -1
	global_inv scope:SCOPE_SE
	v_dual_mul_f32 v114, v55, v13 :: v_dual_mul_f32 v117, v54, v15
	v_dual_mul_f32 v115, v54, v13 :: v_dual_mul_f32 v116, v55, v15
	;; [unrolled: 1-line block ×6, first 2 shown]
	v_mul_f32_e32 v126, v79, v13
	v_dual_mul_f32 v13, v78, v13 :: v_dual_mul_f32 v128, v55, v87
	v_dual_mul_f32 v127, v79, v15 :: v_dual_mul_f32 v144, v57, v93
	;; [unrolled: 1-line block ×9, first 2 shown]
	v_mul_f32_e32 v15, v78, v15
	v_dual_mul_f32 v87, v78, v87 :: v_dual_mul_f32 v148, v57, v97
	v_dual_mul_f32 v89, v78, v89 :: v_dual_mul_f32 v146, v57, v95
	;; [unrolled: 1-line block ×19, first 2 shown]
	v_mul_f32_e32 v181, v74, v101
	v_fma_f32 v114, v54, v12, -v114
	v_fmac_f32_e32 v115, v55, v12
	v_fma_f32 v116, v54, v14, -v116
	v_fmac_f32_e32 v117, v55, v14
	v_fma_f32 v118, v62, v12, -v118
	v_fmac_f32_e32 v119, v63, v12
	v_fma_f32 v120, v62, v14, -v120
	v_fmac_f32_e32 v121, v63, v14
	v_fma_f32 v122, v70, v12, -v122
	v_fmac_f32_e32 v123, v71, v12
	v_fma_f32 v124, v70, v14, -v124
	v_fmac_f32_e32 v125, v71, v14
	v_fma_f32 v126, v78, v12, -v126
	v_fmac_f32_e32 v13, v79, v12
	v_fma_f32 v12, v78, v14, -v127
	v_fma_f32 v128, v54, v86, -v128
	v_dual_fmac_f32 v129, v55, v86 :: v_dual_mul_f32 v194, v77, v113
	v_fma_f32 v54, v54, v88, -v130
	v_fmac_f32_e32 v131, v55, v88
	v_fma_f32 v55, v62, v86, -v132
	v_fmac_f32_e32 v133, v63, v86
	v_fma_f32 v62, v62, v88, -v134
	v_fmac_f32_e32 v137, v71, v86
	v_fmac_f32_e32 v139, v71, v88
	v_fma_f32 v71, v78, v86, -v140
	v_fma_f32 v78, v78, v88, -v141
	;; [unrolled: 1-line block ×3, first 2 shown]
	v_dual_mul_f32 v144, v60, v107 :: v_dual_fmac_f32 v135, v63, v88
	v_fma_f32 v63, v70, v86, -v136
	v_fma_f32 v70, v70, v88, -v138
	v_dual_mul_f32 v97, v80, v97 :: v_dual_mul_f32 v182, v83, v99
	v_dual_mul_f32 v171, v58, v99 :: v_dual_mul_f32 v188, v67, v105
	v_dual_mul_f32 v173, v58, v101 :: v_dual_mul_f32 v184, v59, v103
	v_mul_f32_e32 v175, v66, v99
	v_mul_f32_e32 v177, v66, v101
	v_dual_mul_f32 v179, v74, v99 :: v_dual_mul_f32 v138, v83, v105
	v_mul_f32_e32 v99, v82, v99
	v_mul_f32_e32 v183, v83, v101
	;; [unrolled: 1-line block ×5, first 2 shown]
	v_dual_fmac_f32 v15, v79, v14 :: v_dual_mul_f32 v190, v77, v107
	v_mul_f32_e32 v14, v67, v103
	v_dual_mul_f32 v127, v66, v103 :: v_dual_mul_f32 v192, v77, v109
	v_mul_f32_e32 v189, v66, v105
	v_fmac_f32_e32 v87, v79, v86
	v_dual_fmac_f32 v89, v79, v88 :: v_dual_mul_f32 v86, v74, v103
	v_mul_f32_e32 v88, v75, v105
	v_mul_f32_e32 v130, v74, v105
	v_fma_f32 v132, v56, v90, -v142
	v_fmac_f32_e32 v143, v57, v90
	v_dual_fmac_f32 v145, v57, v92 :: v_dual_fmac_f32 v86, v75, v102
	v_fma_f32 v136, v56, v94, -v146
	v_dual_fmac_f32 v147, v57, v94 :: v_dual_add_f32 v50, v50, v116
	v_fma_f32 v56, v56, v96, -v148
	v_dual_fmac_f32 v149, v57, v96 :: v_dual_add_f32 v52, v52, v114
	v_dual_mul_f32 v105, v82, v105 :: v_dual_add_f32 v48, v48, v128
	v_fma_f32 v140, v64, v90, -v150
	v_dual_fmac_f32 v151, v65, v90 :: v_dual_add_f32 v42, v42, v120
	v_fma_f32 v141, v64, v92, -v152
	v_dual_fmac_f32 v153, v65, v92 :: v_dual_add_f32 v46, v46, v54
	v_fma_f32 v142, v64, v94, -v154
	v_dual_fmac_f32 v155, v65, v94 :: v_dual_add_f32 v40, v40, v55
	v_fma_f32 v64, v64, v96, -v156
	v_dual_fmac_f32 v157, v65, v96 :: v_dual_add_f32 v44, v44, v118
	v_dual_mul_f32 v65, v61, v107 :: v_dual_add_f32 v38, v38, v62
	v_mul_f32_e32 v146, v61, v109
	v_mul_f32_e32 v148, v60, v109
	v_fma_f32 v150, v72, v90, -v158
	v_dual_fmac_f32 v159, v73, v90 :: v_dual_add_f32 v34, v34, v124
	v_fma_f32 v152, v72, v92, -v160
	v_dual_fmac_f32 v161, v73, v92 :: v_dual_add_f32 v36, v36, v122
	;; [unrolled: 2-line block ×4, first 2 shown]
	v_dual_mul_f32 v73, v61, v111 :: v_dual_add_f32 v28, v28, v126
	v_mul_f32_e32 v156, v60, v111
	v_mul_f32_e32 v160, v60, v113
	v_fma_f32 v162, v80, v90, -v166
	v_dual_fmac_f32 v91, v81, v90 :: v_dual_add_f32 v12, v26, v12
	v_fma_f32 v90, v80, v92, -v167
	v_dual_fmac_f32 v93, v81, v92 :: v_dual_add_f32 v24, v24, v71
	v_mul_f32_e32 v164, v68, v107
	v_mul_f32_e32 v79, v75, v103
	v_dual_mul_f32 v167, v68, v109 :: v_dual_add_f32 v22, v22, v78
	v_fma_f32 v168, v80, v94, -v168
	v_dual_fmac_f32 v95, v81, v94 :: v_dual_add_f32 v26, v52, v132
	v_fma_f32 v80, v80, v96, -v169
	v_mul_f32_e32 v94, v68, v111
	v_mul_f32_e32 v57, v83, v103
	v_dual_mul_f32 v103, v82, v103 :: v_dual_mul_f32 v158, v61, v113
	v_mul_f32_e32 v92, v69, v107
	v_mul_f32_e32 v166, v69, v109
	v_dual_mul_f32 v169, v68, v113 :: v_dual_add_f32 v46, v46, v56
	v_dual_mul_f32 v191, v76, v107 :: v_dual_add_f32 v42, v42, v141
	;; [unrolled: 1-line block ×3, first 2 shown]
	v_fma_f32 v170, v58, v98, -v170
	v_dual_fmac_f32 v171, v59, v98 :: v_dual_add_f32 v44, v44, v140
	v_fma_f32 v172, v58, v100, -v172
	v_dual_fmac_f32 v173, v59, v100 :: v_dual_add_f32 v40, v40, v142
	;; [unrolled: 2-line block ×8, first 2 shown]
	v_mul_f32_e32 v100, v77, v111
	v_dual_mul_f32 v183, v76, v111 :: v_dual_add_f32 v22, v22, v80
	v_dual_mul_f32 v195, v76, v113 :: v_dual_add_f32 v26, v26, v170
	v_fma_f32 v184, v58, v102, -v184
	v_fma_f32 v58, v58, v104, -v186
	v_dual_fmac_f32 v187, v59, v104 :: v_dual_add_f32 v12, v12, v90
	v_fma_f32 v14, v66, v102, -v14
	v_dual_fmac_f32 v127, v67, v102 :: v_dual_add_f32 v42, v42, v176
	s_delay_alu instid0(VALU_DEP_4)
	v_dual_fmac_f32 v189, v67, v104 :: v_dual_add_f32 v46, v46, v58
	v_fma_f32 v67, v74, v104, -v88
	v_fmac_f32_e32 v130, v75, v104
	v_dual_fmac_f32 v105, v83, v104 :: v_dual_add_f32 v44, v44, v174
	v_dual_mul_f32 v75, v85, v107 :: v_dual_add_f32 v14, v40, v14
	v_fmac_f32_e32 v144, v61, v106
	v_fma_f32 v88, v60, v108, -v146
	v_fmac_f32_e32 v148, v61, v108
	v_fmac_f32_e32 v156, v61, v110
	;; [unrolled: 1-line block ×3, first 2 shown]
	v_dual_mul_f32 v61, v85, v111 :: v_dual_add_f32 v36, v36, v178
	v_fmac_f32_e32 v164, v69, v106
	v_fmac_f32_e32 v94, v69, v110
	v_fma_f32 v57, v82, v102, -v57
	v_add_f32_e32 v51, v51, v117
	v_fmac_f32_e32 v97, v81, v96
	v_dual_mul_f32 v81, v69, v111 :: v_dual_add_f32 v48, v48, v136
	v_dual_mul_f32 v96, v69, v113 :: v_dual_fmac_f32 v185, v59, v102
	v_fma_f32 v59, v66, v104, -v188
	v_fma_f32 v66, v74, v102, -v79
	;; [unrolled: 1-line block ×3, first 2 shown]
	v_mul_f32_e32 v82, v85, v109
	v_dual_mul_f32 v104, v85, v113 :: v_dual_fmac_f32 v103, v83, v102
	v_add_f32_e32 v38, v38, v59
	v_dual_mul_f32 v79, v84, v107 :: v_dual_add_f32 v34, v34, v180
	v_dual_mul_f32 v83, v84, v109 :: v_dual_add_f32 v30, v30, v67
	v_fma_f32 v65, v60, v106, -v65
	v_fma_f32 v73, v60, v110, -v73
	v_mul_f32_e32 v102, v84, v111
	v_dual_mul_f32 v107, v84, v113 :: v_dual_add_f32 v22, v22, v74
	v_fma_f32 v92, v68, v106, -v92
	v_fma_f32 v109, v68, v108, -v166
	v_dual_fmac_f32 v167, v69, v108 :: v_dual_add_f32 v32, v32, v66
	v_fma_f32 v81, v68, v110, -v81
	v_fma_f32 v68, v68, v112, -v96
	v_dual_fmac_f32 v169, v69, v112 :: v_dual_add_f32 v28, v28, v182
	v_fma_f32 v69, v76, v106, -v190
	v_dual_fmac_f32 v191, v77, v106 :: v_dual_add_f32 v24, v24, v57
	;; [unrolled: 2-line block ×4, first 2 shown]
	v_fma_f32 v76, v76, v112, -v194
	v_fma_f32 v75, v84, v106, -v75
	;; [unrolled: 1-line block ×3, first 2 shown]
	v_dual_add_f32 v53, v53, v115 :: v_dual_add_f32 v44, v44, v92
	v_dual_add_f32 v49, v49, v129 :: v_dual_add_f32 v38, v38, v68
	;; [unrolled: 1-line block ×8, first 2 shown]
	v_add_f32_e32 v31, v31, v139
	v_add_f32_e32 v13, v29, v13
	;; [unrolled: 1-line block ×4, first 2 shown]
	v_dual_add_f32 v23, v23, v89 :: v_dual_add_f32 v48, v48, v184
	v_fmac_f32_e32 v195, v77, v112
	v_fma_f32 v77, v84, v108, -v82
	v_fma_f32 v82, v84, v112, -v104
	v_add_f32_e32 v39, v39, v135
	v_add_f32_e32 v33, v33, v137
	;; [unrolled: 1-line block ×3, first 2 shown]
	v_dual_add_f32 v29, v50, v134 :: v_dual_add_f32 v50, v51, v145
	v_add_f32_e32 v49, v49, v147
	v_add_f32_e32 v47, v47, v149
	;; [unrolled: 1-line block ×13, first 2 shown]
	v_dual_add_f32 v39, v39, v157 :: v_dual_add_f32 v22, v22, v82
	v_add_f32_e32 v33, v33, v163
	v_fma_f32 v60, v60, v112, -v158
	v_fmac_f32_e32 v79, v85, v106
	v_dual_fmac_f32 v83, v85, v108 :: v_dual_add_f32 v42, v42, v109
	v_fmac_f32_e32 v102, v85, v110
	v_dual_fmac_f32 v107, v85, v112 :: v_dual_add_f32 v40, v14, v81
	v_add_f32_e32 v27, v27, v171
	v_add_f32_e32 v29, v29, v172
	;; [unrolled: 1-line block ×19, first 2 shown]
	v_dual_add_f32 v51, v51, v148 :: v_dual_add_f32 v48, v48, v73
	v_add_f32_e32 v49, v49, v156
	v_add_f32_e32 v46, v46, v60
	;; [unrolled: 1-line block ×15, first 2 shown]
	s_wait_alu 0xfffe
	s_cbranch_vccnz .LBB90_5
.LBB90_6:                               ;   in Loop: Header=BB90_3 Depth=1
	s_mul_u64 s[16:17], s[26:27], s[2:3]
	s_and_not1_b32 vcc_lo, exec_lo, s1
	s_wait_alu 0xfffe
	s_lshl_b64 s[16:17], s[16:17], 3
	s_mov_b32 s18, -1
	s_wait_alu 0xfffe
	s_add_nc_u64 s[16:17], s[10:11], s[16:17]
                                        ; implicit-def: $vgpr10
                                        ; implicit-def: $vgpr8_vgpr9
	s_cbranch_vccz .LBB90_8
; %bb.7:                                ;   in Loop: Header=BB90_3 Depth=1
	s_and_not1_b32 vcc_lo, exec_lo, s18
	s_wait_alu 0xfffe
	s_cbranch_vccnz .LBB90_2
	s_branch .LBB90_9
.LBB90_8:                               ;   in Loop: Header=BB90_3 Depth=1
	v_lshlrev_b64_e32 v[8:9], 3, v[0:1]
	v_lshlrev_b64_e32 v[11:12], 3, v[2:3]
	v_dual_mul_f32 v10, s22, v53 :: v_dual_mul_f32 v55, s22, v51
	v_dual_mul_f32 v13, s23, v53 :: v_dual_mul_f32 v54, s23, v51
	v_mul_f32_e32 v57, s22, v49
	s_wait_alu 0xfffe
	v_add_co_u32 v8, vcc_lo, s16, v8
	s_wait_alu 0xfffd
	v_add_co_ci_u32_e64 v15, null, s17, v9, vcc_lo
	v_dual_mul_f32 v56, s23, v49 :: v_dual_mul_f32 v59, s22, v47
	v_fmac_f32_e32 v10, s23, v52
	v_fma_f32 v9, v52, s22, -v13
	v_add_co_u32 v13, vcc_lo, v8, v11
	v_dual_mul_f32 v58, s23, v47 :: v_dual_fmac_f32 v55, s23, v50
	s_wait_alu 0xfffd
	v_add_co_ci_u32_e64 v14, null, v15, v12, vcc_lo
	v_fma_f32 v54, v50, s22, -v54
	v_fma_f32 v56, v48, s22, -v56
	v_fmac_f32_e32 v57, s23, v48
	v_fma_f32 v58, v46, s22, -v58
	v_fmac_f32_e32 v59, s23, v46
	s_clause 0x3
	global_store_b64 v[13:14], v[9:10], off
	global_store_b64 v[13:14], v[54:55], off offset:128
	global_store_b64 v[13:14], v[56:57], off offset:256
	;; [unrolled: 1-line block ×3, first 2 shown]
	v_mul_f32_e32 v10, s23, v45
	v_dual_mul_f32 v9, s22, v45 :: v_dual_mul_f32 v58, s23, v39
	v_add_co_u32 v60, vcc_lo, v8, s14
	s_delay_alu instid0(VALU_DEP_3) | instskip(NEXT) | instid1(VALU_DEP_3)
	v_fma_f32 v8, v44, s22, -v10
	v_dual_mul_f32 v10, s23, v43 :: v_dual_fmac_f32 v9, s23, v44
	s_wait_alu 0xfffd
	v_add_co_ci_u32_e64 v15, null, s15, v15, vcc_lo
	v_mul_f32_e32 v55, s22, v43
	s_delay_alu instid0(VALU_DEP_3) | instskip(SKIP_4) | instid1(VALU_DEP_3)
	v_fma_f32 v54, v42, s22, -v10
	v_mul_f32_e32 v10, s23, v41
	v_add_co_u32 v13, vcc_lo, v60, v11
	s_wait_alu 0xfffd
	v_add_co_ci_u32_e64 v14, null, v15, v12, vcc_lo
	v_fma_f32 v56, v40, s22, -v10
	v_mul_f32_e32 v10, s23, v37
	v_mul_f32_e32 v57, s22, v41
	v_add_co_u32 v70, vcc_lo, v60, s14
	v_mul_f32_e32 v59, s22, v39
	s_delay_alu instid0(VALU_DEP_4) | instskip(SKIP_4) | instid1(VALU_DEP_3)
	v_fma_f32 v60, v36, s22, -v10
	v_dual_mul_f32 v10, s23, v35 :: v_dual_mul_f32 v61, s22, v37
	s_wait_alu 0xfffd
	v_add_co_ci_u32_e64 v15, null, s15, v15, vcc_lo
	v_dual_fmac_f32 v55, s23, v42 :: v_dual_mul_f32 v68, s23, v31
	v_fma_f32 v64, v34, s22, -v10
	v_dual_mul_f32 v65, s22, v35 :: v_dual_mul_f32 v10, s23, v33
	v_mul_f32_e32 v67, s22, v33
	v_mul_f32_e32 v69, s22, v31
	v_fmac_f32_e32 v57, s23, v40
	v_add_co_u32 v62, vcc_lo, v70, v11
	v_fma_f32 v58, v38, s22, -v58
	v_fmac_f32_e32 v59, s23, v38
	v_fmac_f32_e32 v61, s23, v36
	s_wait_alu 0xfffd
	v_add_co_ci_u32_e64 v63, null, v15, v12, vcc_lo
	v_fmac_f32_e32 v65, s23, v34
	v_fma_f32 v66, v32, s22, -v10
	v_fmac_f32_e32 v67, s23, v32
	v_fma_f32 v68, v30, s22, -v68
	v_fmac_f32_e32 v69, s23, v30
	s_clause 0x7
	global_store_b64 v[13:14], v[8:9], off
	global_store_b64 v[13:14], v[54:55], off offset:128
	global_store_b64 v[13:14], v[56:57], off offset:256
	;; [unrolled: 1-line block ×3, first 2 shown]
	global_store_b64 v[62:63], v[60:61], off
	global_store_b64 v[62:63], v[64:65], off offset:128
	global_store_b64 v[62:63], v[66:67], off offset:256
	;; [unrolled: 1-line block ×3, first 2 shown]
	v_mul_f32_e32 v8, s23, v29
	v_add_co_u32 v9, vcc_lo, v70, s14
	s_wait_alu 0xfffd
	v_add_co_ci_u32_e64 v10, null, s15, v15, vcc_lo
	s_delay_alu instid0(VALU_DEP_3)
	v_fma_f32 v13, v28, s22, -v8
	v_mul_f32_e32 v8, s23, v27
	v_add_co_u32 v11, vcc_lo, v9, v11
	v_mul_f32_e32 v14, s22, v29
	s_wait_alu 0xfffd
	v_add_co_ci_u32_e64 v12, null, v10, v12, vcc_lo
	v_fma_f32 v54, v26, s22, -v8
	v_dual_mul_f32 v8, s23, v25 :: v_dual_mul_f32 v9, s23, v23
	v_mul_f32_e32 v10, s22, v23
	v_mul_f32_e32 v55, s22, v27
	;; [unrolled: 1-line block ×3, first 2 shown]
	s_delay_alu instid0(VALU_DEP_4)
	v_fma_f32 v56, v24, s22, -v8
	v_add_co_u32 v8, vcc_lo, 0x180, v11
	v_fmac_f32_e32 v14, s23, v28
	v_fma_f32 v15, v22, s22, -v9
	v_fmac_f32_e32 v10, s23, v22
	s_wait_alu 0xfffd
	v_add_co_ci_u32_e64 v9, null, 0, v12, vcc_lo
	v_fmac_f32_e32 v55, s23, v26
	v_fmac_f32_e32 v57, s23, v24
	s_clause 0x3
	global_store_b64 v[11:12], v[13:14], off
	global_store_b64 v[11:12], v[54:55], off offset:128
	global_store_b64 v[11:12], v[56:57], off offset:256
	global_store_b32 v[11:12], v15, off offset:384
	s_cbranch_execnz .LBB90_2
.LBB90_9:                               ;   in Loop: Header=BB90_3 Depth=1
	s_mul_u64 s[18:19], s[8:9], s[2:3]
	v_lshlrev_b64_e32 v[8:9], 3, v[2:3]
	s_wait_alu 0xfffe
	s_lshl_b64 s[18:19], s[18:19], 3
	v_mul_f32_e32 v56, s23, v53
	s_wait_alu 0xfffe
	v_add_co_u32 v54, vcc_lo, v20, s18
	s_wait_alu 0xfffd
	v_add_co_ci_u32_e64 v55, null, s19, v21, vcc_lo
	v_mul_f32_e32 v53, s22, v53
	s_delay_alu instid0(VALU_DEP_3) | instskip(SKIP_1) | instid1(VALU_DEP_3)
	v_add_co_u32 v10, vcc_lo, v54, v8
	s_wait_alu 0xfffd
	v_add_co_ci_u32_e64 v11, null, v55, v9, vcc_lo
	v_lshlrev_b64_e32 v[14:15], 3, v[0:1]
	v_fmac_f32_e32 v53, s23, v52
	v_fma_f32 v56, v52, s22, -v56
	global_load_b64 v[12:13], v[10:11], off
	v_add_co_u32 v58, vcc_lo, s16, v14
	s_wait_alu 0xfffd
	v_add_co_ci_u32_e64 v59, null, s17, v15, vcc_lo
	s_wait_loadcnt 0x0
	v_mul_f32_e32 v57, s34, v13
	s_delay_alu instid0(VALU_DEP_1) | instskip(NEXT) | instid1(VALU_DEP_1)
	v_dual_mul_f32 v52, s35, v13 :: v_dual_fmac_f32 v57, s35, v12
	v_fma_f32 v14, v12, s34, -v52
	v_mul_f32_e32 v52, s23, v51
	v_add_co_u32 v12, vcc_lo, v58, v8
	s_wait_alu 0xfffd
	v_add_co_ci_u32_e64 v13, null, v59, v9, vcc_lo
	v_add_f32_e32 v14, v56, v14
	v_fma_f32 v52, v50, s22, -v52
	v_add_f32_e32 v15, v53, v57
	v_mul_f32_e32 v51, s22, v51
	global_store_b64 v[12:13], v[14:15], off
	global_load_b64 v[14:15], v[10:11], off offset:128
	v_fmac_f32_e32 v51, s23, v50
	s_wait_loadcnt 0x0
	v_mul_f32_e32 v53, s35, v15
	v_mul_f32_e32 v15, s34, v15
	s_delay_alu instid0(VALU_DEP_2) | instskip(NEXT) | instid1(VALU_DEP_2)
	v_fma_f32 v50, v14, s34, -v53
	v_fmac_f32_e32 v15, s35, v14
	s_delay_alu instid0(VALU_DEP_1)
	v_dual_add_f32 v14, v52, v50 :: v_dual_add_f32 v15, v51, v15
	v_mul_f32_e32 v50, s23, v49
	v_mul_f32_e32 v49, s22, v49
	global_store_b64 v[12:13], v[14:15], off offset:128
	global_load_b64 v[14:15], v[10:11], off offset:256
	v_fma_f32 v50, v48, s22, -v50
	v_fmac_f32_e32 v49, s23, v48
	s_wait_loadcnt 0x0
	v_mul_f32_e32 v51, s35, v15
	v_mul_f32_e32 v15, s34, v15
	s_delay_alu instid0(VALU_DEP_2) | instskip(NEXT) | instid1(VALU_DEP_1)
	v_fma_f32 v48, v14, s34, -v51
	v_dual_fmac_f32 v15, s35, v14 :: v_dual_add_f32 v14, v50, v48
	s_delay_alu instid0(VALU_DEP_1) | instskip(SKIP_4) | instid1(VALU_DEP_2)
	v_add_f32_e32 v15, v49, v15
	global_store_b64 v[12:13], v[14:15], off offset:256
	global_load_b64 v[10:11], v[10:11], off offset:384
	v_mul_f32_e32 v14, s23, v47
	v_mul_f32_e32 v15, s22, v47
	v_fma_f32 v14, v46, s22, -v14
	s_delay_alu instid0(VALU_DEP_2) | instskip(SKIP_3) | instid1(VALU_DEP_2)
	v_fmac_f32_e32 v15, s23, v46
	s_wait_loadcnt 0x0
	v_mul_f32_e32 v47, s35, v11
	v_mul_f32_e32 v11, s34, v11
	v_fma_f32 v46, v10, s34, -v47
	v_add_co_u32 v47, vcc_lo, v54, s12
	s_delay_alu instid0(VALU_DEP_3)
	v_fmac_f32_e32 v11, s35, v10
	s_wait_alu 0xfffd
	v_add_co_ci_u32_e64 v48, null, s13, v55, vcc_lo
	v_add_f32_e32 v10, v14, v46
	v_add_co_u32 v14, vcc_lo, v47, v8
	v_add_f32_e32 v11, v15, v11
	s_wait_alu 0xfffd
	v_add_co_ci_u32_e64 v15, null, v48, v9, vcc_lo
	v_add_co_u32 v46, vcc_lo, v58, s14
	global_store_b64 v[12:13], v[10:11], off offset:384
	global_load_b64 v[10:11], v[14:15], off
	v_mul_f32_e32 v12, s23, v45
	v_mul_f32_e32 v13, s22, v45
	s_wait_alu 0xfffd
	v_add_co_ci_u32_e64 v49, null, s15, v59, vcc_lo
	s_delay_alu instid0(VALU_DEP_3) | instskip(SKIP_3) | instid1(VALU_DEP_2)
	v_fma_f32 v12, v44, s22, -v12
	s_wait_loadcnt 0x0
	v_dual_fmac_f32 v13, s23, v44 :: v_dual_mul_f32 v44, s35, v11
	v_mul_f32_e32 v45, s34, v11
	v_fma_f32 v44, v10, s34, -v44
	s_delay_alu instid0(VALU_DEP_2) | instskip(SKIP_3) | instid1(VALU_DEP_3)
	v_fmac_f32_e32 v45, s35, v10
	v_add_co_u32 v10, vcc_lo, v46, v8
	s_wait_alu 0xfffd
	v_add_co_ci_u32_e64 v11, null, v49, v9, vcc_lo
	v_dual_add_f32 v12, v12, v44 :: v_dual_add_f32 v13, v13, v45
	v_mul_f32_e32 v44, s23, v43
	v_mul_f32_e32 v43, s22, v43
	global_store_b64 v[10:11], v[12:13], off
	global_load_b64 v[12:13], v[14:15], off offset:128
	v_fma_f32 v44, v42, s22, -v44
	v_fmac_f32_e32 v43, s23, v42
	s_wait_loadcnt 0x0
	v_mul_f32_e32 v45, s35, v13
	v_mul_f32_e32 v13, s34, v13
	s_delay_alu instid0(VALU_DEP_2) | instskip(NEXT) | instid1(VALU_DEP_1)
	v_fma_f32 v42, v12, s34, -v45
	v_dual_fmac_f32 v13, s35, v12 :: v_dual_add_f32 v12, v44, v42
	s_delay_alu instid0(VALU_DEP_1)
	v_add_f32_e32 v13, v43, v13
	v_mul_f32_e32 v42, s23, v41
	v_mul_f32_e32 v41, s22, v41
	global_store_b64 v[10:11], v[12:13], off offset:128
	global_load_b64 v[12:13], v[14:15], off offset:256
	v_fma_f32 v42, v40, s22, -v42
	v_fmac_f32_e32 v41, s23, v40
	s_wait_loadcnt 0x0
	v_mul_f32_e32 v43, s35, v13
	v_mul_f32_e32 v13, s34, v13
	s_delay_alu instid0(VALU_DEP_2) | instskip(NEXT) | instid1(VALU_DEP_2)
	v_fma_f32 v40, v12, s34, -v43
	v_fmac_f32_e32 v13, s35, v12
	s_delay_alu instid0(VALU_DEP_1) | instskip(SKIP_4) | instid1(VALU_DEP_2)
	v_dual_add_f32 v12, v42, v40 :: v_dual_add_f32 v13, v41, v13
	global_store_b64 v[10:11], v[12:13], off offset:256
	global_load_b64 v[12:13], v[14:15], off offset:384
	v_mul_f32_e32 v14, s23, v39
	v_mul_f32_e32 v15, s22, v39
	v_fma_f32 v14, v38, s22, -v14
	s_delay_alu instid0(VALU_DEP_2) | instskip(SKIP_3) | instid1(VALU_DEP_2)
	v_fmac_f32_e32 v15, s23, v38
	s_wait_loadcnt 0x0
	v_mul_f32_e32 v39, s35, v13
	v_mul_f32_e32 v13, s34, v13
	v_fma_f32 v38, v12, s34, -v39
	v_add_co_u32 v39, vcc_lo, v47, s12
	s_delay_alu instid0(VALU_DEP_3)
	v_fmac_f32_e32 v13, s35, v12
	s_wait_alu 0xfffd
	v_add_co_ci_u32_e64 v40, null, s13, v48, vcc_lo
	v_add_f32_e32 v12, v14, v38
	v_add_co_u32 v14, vcc_lo, v39, v8
	v_add_f32_e32 v13, v15, v13
	s_wait_alu 0xfffd
	v_add_co_ci_u32_e64 v15, null, v40, v9, vcc_lo
	v_add_co_u32 v38, vcc_lo, v46, s14
	global_store_b64 v[10:11], v[12:13], off offset:384
	global_load_b64 v[10:11], v[14:15], off
	v_mul_f32_e32 v12, s23, v37
	v_mul_f32_e32 v13, s22, v37
	s_wait_alu 0xfffd
	v_add_co_ci_u32_e64 v41, null, s15, v49, vcc_lo
	s_delay_alu instid0(VALU_DEP_3) | instskip(SKIP_3) | instid1(VALU_DEP_2)
	v_fma_f32 v12, v36, s22, -v12
	s_wait_loadcnt 0x0
	v_dual_fmac_f32 v13, s23, v36 :: v_dual_mul_f32 v36, s35, v11
	v_mul_f32_e32 v37, s34, v11
	v_fma_f32 v36, v10, s34, -v36
	s_delay_alu instid0(VALU_DEP_2) | instskip(SKIP_3) | instid1(VALU_DEP_3)
	v_fmac_f32_e32 v37, s35, v10
	v_add_co_u32 v10, vcc_lo, v38, v8
	s_wait_alu 0xfffd
	v_add_co_ci_u32_e64 v11, null, v41, v9, vcc_lo
	v_dual_add_f32 v12, v12, v36 :: v_dual_add_f32 v13, v13, v37
	v_mul_f32_e32 v36, s23, v35
	v_mul_f32_e32 v35, s22, v35
	global_store_b64 v[10:11], v[12:13], off
	global_load_b64 v[12:13], v[14:15], off offset:128
	v_fma_f32 v36, v34, s22, -v36
	v_fmac_f32_e32 v35, s23, v34
	s_wait_loadcnt 0x0
	v_mul_f32_e32 v37, s35, v13
	v_mul_f32_e32 v13, s34, v13
	s_delay_alu instid0(VALU_DEP_2) | instskip(NEXT) | instid1(VALU_DEP_1)
	v_fma_f32 v34, v12, s34, -v37
	v_dual_fmac_f32 v13, s35, v12 :: v_dual_add_f32 v12, v36, v34
	s_delay_alu instid0(VALU_DEP_1)
	v_add_f32_e32 v13, v35, v13
	v_mul_f32_e32 v34, s23, v33
	v_mul_f32_e32 v33, s22, v33
	global_store_b64 v[10:11], v[12:13], off offset:128
	global_load_b64 v[12:13], v[14:15], off offset:256
	v_fma_f32 v34, v32, s22, -v34
	v_fmac_f32_e32 v33, s23, v32
	s_wait_loadcnt 0x0
	v_mul_f32_e32 v35, s35, v13
	v_mul_f32_e32 v13, s34, v13
	s_delay_alu instid0(VALU_DEP_2) | instskip(NEXT) | instid1(VALU_DEP_2)
	v_fma_f32 v32, v12, s34, -v35
	v_fmac_f32_e32 v13, s35, v12
	s_delay_alu instid0(VALU_DEP_1) | instskip(SKIP_4) | instid1(VALU_DEP_2)
	v_dual_add_f32 v12, v34, v32 :: v_dual_add_f32 v13, v33, v13
	global_store_b64 v[10:11], v[12:13], off offset:256
	global_load_b64 v[12:13], v[14:15], off offset:384
	v_mul_f32_e32 v14, s23, v31
	v_mul_f32_e32 v15, s22, v31
	v_fma_f32 v14, v30, s22, -v14
	s_delay_alu instid0(VALU_DEP_2) | instskip(SKIP_3) | instid1(VALU_DEP_2)
	v_fmac_f32_e32 v15, s23, v30
	s_wait_loadcnt 0x0
	v_mul_f32_e32 v31, s35, v13
	v_mul_f32_e32 v13, s34, v13
	v_fma_f32 v30, v12, s34, -v31
	v_add_co_u32 v31, vcc_lo, v39, s12
	s_delay_alu instid0(VALU_DEP_3)
	v_fmac_f32_e32 v13, s35, v12
	s_wait_alu 0xfffd
	v_add_co_ci_u32_e64 v32, null, s13, v40, vcc_lo
	v_add_f32_e32 v12, v14, v30
	v_add_co_u32 v14, vcc_lo, v31, v8
	v_add_f32_e32 v13, v15, v13
	s_wait_alu 0xfffd
	v_add_co_ci_u32_e64 v15, null, v32, v9, vcc_lo
	global_store_b64 v[10:11], v[12:13], off offset:384
	global_load_b64 v[10:11], v[14:15], off
	v_mul_f32_e32 v12, s23, v29
	v_mul_f32_e32 v13, s22, v29
	s_delay_alu instid0(VALU_DEP_2) | instskip(SKIP_1) | instid1(VALU_DEP_2)
	v_fma_f32 v29, v28, s22, -v12
	s_wait_loadcnt 0x0
	v_dual_fmac_f32 v13, s23, v28 :: v_dual_mul_f32 v12, s35, v11
	v_mul_f32_e32 v28, s34, v11
	v_add_co_u32 v11, vcc_lo, v38, s14
	s_wait_alu 0xfffd
	v_add_co_ci_u32_e64 v30, null, s15, v41, vcc_lo
	v_fma_f32 v31, v10, s34, -v12
	v_fmac_f32_e32 v28, s35, v10
	v_add_co_u32 v11, vcc_lo, v11, v8
	s_wait_alu 0xfffd
	v_add_co_ci_u32_e64 v12, null, v30, v9, vcc_lo
	v_add_f32_e32 v8, v29, v31
	v_dual_add_f32 v9, v13, v28 :: v_dual_mul_f32 v10, s23, v27
	v_mul_f32_e32 v13, s22, v27
	global_store_b64 v[11:12], v[8:9], off
	global_load_b64 v[8:9], v[14:15], off offset:128
	v_fma_f32 v10, v26, s22, -v10
	v_fmac_f32_e32 v13, s23, v26
	s_wait_loadcnt 0x0
	v_mul_f32_e32 v27, s35, v9
	v_mul_f32_e32 v9, s34, v9
	s_delay_alu instid0(VALU_DEP_2) | instskip(NEXT) | instid1(VALU_DEP_1)
	v_fma_f32 v26, v8, s34, -v27
	v_dual_fmac_f32 v9, s35, v8 :: v_dual_add_f32 v8, v10, v26
	s_delay_alu instid0(VALU_DEP_1)
	v_add_f32_e32 v9, v13, v9
	v_mul_f32_e32 v10, s23, v25
	v_mul_f32_e32 v13, s22, v25
	global_store_b64 v[11:12], v[8:9], off offset:128
	global_load_b64 v[8:9], v[14:15], off offset:256
	v_fma_f32 v10, v24, s22, -v10
	v_fmac_f32_e32 v13, s23, v24
	s_wait_loadcnt 0x0
	v_mul_f32_e32 v25, s35, v9
	v_mul_f32_e32 v9, s34, v9
	s_delay_alu instid0(VALU_DEP_2) | instskip(NEXT) | instid1(VALU_DEP_2)
	v_fma_f32 v24, v8, s34, -v25
	v_fmac_f32_e32 v9, s35, v8
	s_delay_alu instid0(VALU_DEP_1)
	v_dual_add_f32 v8, v10, v24 :: v_dual_add_f32 v9, v13, v9
	v_mul_f32_e32 v10, s23, v23
	v_mul_f32_e32 v13, s22, v23
	global_store_b64 v[11:12], v[8:9], off offset:256
	global_load_b64 v[8:9], v[14:15], off offset:384
	v_fma_f32 v10, v22, s22, -v10
	s_wait_loadcnt 0x0
	v_dual_fmac_f32 v13, s23, v22 :: v_dual_mul_f32 v14, s35, v9
	v_mul_f32_e32 v9, s34, v9
	s_delay_alu instid0(VALU_DEP_2) | instskip(NEXT) | instid1(VALU_DEP_2)
	v_fma_f32 v14, v8, s34, -v14
	v_fmac_f32_e32 v9, s35, v8
	v_add_co_u32 v8, vcc_lo, 0x180, v11
	s_delay_alu instid0(VALU_DEP_3) | instskip(NEXT) | instid1(VALU_DEP_3)
	v_add_f32_e32 v14, v10, v14
	v_add_f32_e32 v10, v13, v9
	s_wait_alu 0xfffd
	v_add_co_ci_u32_e64 v9, null, 0, v12, vcc_lo
	global_store_b32 v[11:12], v14, off offset:384
	s_branch .LBB90_2
.LBB90_10:
	s_nop 0
	s_sendmsg sendmsg(MSG_DEALLOC_VGPRS)
	s_endpgm
	.section	.rodata,"a",@progbits
	.p2align	6, 0x0
	.amdhsa_kernel _ZN12_GLOBAL__N_127rocblas_gemm_batched_kernelI19rocblas_complex_numIfELi16ELi16ELi64ELi64ELi4ELi64ELi4ELi4ELi64ELc84ELc78EKS2_S3_S2_EEvlllT_PT11_llS6_llS4_PT12_llPT13_lli
		.amdhsa_group_segment_fixed_size 4096
		.amdhsa_private_segment_fixed_size 0
		.amdhsa_kernarg_size 140
		.amdhsa_user_sgpr_count 2
		.amdhsa_user_sgpr_dispatch_ptr 0
		.amdhsa_user_sgpr_queue_ptr 0
		.amdhsa_user_sgpr_kernarg_segment_ptr 1
		.amdhsa_user_sgpr_dispatch_id 0
		.amdhsa_user_sgpr_private_segment_size 0
		.amdhsa_wavefront_size32 1
		.amdhsa_uses_dynamic_stack 0
		.amdhsa_enable_private_segment 0
		.amdhsa_system_sgpr_workgroup_id_x 1
		.amdhsa_system_sgpr_workgroup_id_y 1
		.amdhsa_system_sgpr_workgroup_id_z 1
		.amdhsa_system_sgpr_workgroup_info 0
		.amdhsa_system_vgpr_workitem_id 1
		.amdhsa_next_free_vgpr 196
		.amdhsa_next_free_sgpr 38
		.amdhsa_reserve_vcc 1
		.amdhsa_float_round_mode_32 0
		.amdhsa_float_round_mode_16_64 0
		.amdhsa_float_denorm_mode_32 3
		.amdhsa_float_denorm_mode_16_64 3
		.amdhsa_fp16_overflow 0
		.amdhsa_workgroup_processor_mode 1
		.amdhsa_memory_ordered 1
		.amdhsa_forward_progress 1
		.amdhsa_inst_pref_size 43
		.amdhsa_round_robin_scheduling 0
		.amdhsa_exception_fp_ieee_invalid_op 0
		.amdhsa_exception_fp_denorm_src 0
		.amdhsa_exception_fp_ieee_div_zero 0
		.amdhsa_exception_fp_ieee_overflow 0
		.amdhsa_exception_fp_ieee_underflow 0
		.amdhsa_exception_fp_ieee_inexact 0
		.amdhsa_exception_int_div_zero 0
	.end_amdhsa_kernel
	.section	.text._ZN12_GLOBAL__N_127rocblas_gemm_batched_kernelI19rocblas_complex_numIfELi16ELi16ELi64ELi64ELi4ELi64ELi4ELi4ELi64ELc84ELc78EKS2_S3_S2_EEvlllT_PT11_llS6_llS4_PT12_llPT13_lli,"axG",@progbits,_ZN12_GLOBAL__N_127rocblas_gemm_batched_kernelI19rocblas_complex_numIfELi16ELi16ELi64ELi64ELi4ELi64ELi4ELi4ELi64ELc84ELc78EKS2_S3_S2_EEvlllT_PT11_llS6_llS4_PT12_llPT13_lli,comdat
.Lfunc_end90:
	.size	_ZN12_GLOBAL__N_127rocblas_gemm_batched_kernelI19rocblas_complex_numIfELi16ELi16ELi64ELi64ELi4ELi64ELi4ELi4ELi64ELc84ELc78EKS2_S3_S2_EEvlllT_PT11_llS6_llS4_PT12_llPT13_lli, .Lfunc_end90-_ZN12_GLOBAL__N_127rocblas_gemm_batched_kernelI19rocblas_complex_numIfELi16ELi16ELi64ELi64ELi4ELi64ELi4ELi4ELi64ELc84ELc78EKS2_S3_S2_EEvlllT_PT11_llS6_llS4_PT12_llPT13_lli
                                        ; -- End function
	.set _ZN12_GLOBAL__N_127rocblas_gemm_batched_kernelI19rocblas_complex_numIfELi16ELi16ELi64ELi64ELi4ELi64ELi4ELi4ELi64ELc84ELc78EKS2_S3_S2_EEvlllT_PT11_llS6_llS4_PT12_llPT13_lli.num_vgpr, 196
	.set _ZN12_GLOBAL__N_127rocblas_gemm_batched_kernelI19rocblas_complex_numIfELi16ELi16ELi64ELi64ELi4ELi64ELi4ELi4ELi64ELc84ELc78EKS2_S3_S2_EEvlllT_PT11_llS6_llS4_PT12_llPT13_lli.num_agpr, 0
	.set _ZN12_GLOBAL__N_127rocblas_gemm_batched_kernelI19rocblas_complex_numIfELi16ELi16ELi64ELi64ELi4ELi64ELi4ELi4ELi64ELc84ELc78EKS2_S3_S2_EEvlllT_PT11_llS6_llS4_PT12_llPT13_lli.numbered_sgpr, 38
	.set _ZN12_GLOBAL__N_127rocblas_gemm_batched_kernelI19rocblas_complex_numIfELi16ELi16ELi64ELi64ELi4ELi64ELi4ELi4ELi64ELc84ELc78EKS2_S3_S2_EEvlllT_PT11_llS6_llS4_PT12_llPT13_lli.num_named_barrier, 0
	.set _ZN12_GLOBAL__N_127rocblas_gemm_batched_kernelI19rocblas_complex_numIfELi16ELi16ELi64ELi64ELi4ELi64ELi4ELi4ELi64ELc84ELc78EKS2_S3_S2_EEvlllT_PT11_llS6_llS4_PT12_llPT13_lli.private_seg_size, 0
	.set _ZN12_GLOBAL__N_127rocblas_gemm_batched_kernelI19rocblas_complex_numIfELi16ELi16ELi64ELi64ELi4ELi64ELi4ELi4ELi64ELc84ELc78EKS2_S3_S2_EEvlllT_PT11_llS6_llS4_PT12_llPT13_lli.uses_vcc, 1
	.set _ZN12_GLOBAL__N_127rocblas_gemm_batched_kernelI19rocblas_complex_numIfELi16ELi16ELi64ELi64ELi4ELi64ELi4ELi4ELi64ELc84ELc78EKS2_S3_S2_EEvlllT_PT11_llS6_llS4_PT12_llPT13_lli.uses_flat_scratch, 0
	.set _ZN12_GLOBAL__N_127rocblas_gemm_batched_kernelI19rocblas_complex_numIfELi16ELi16ELi64ELi64ELi4ELi64ELi4ELi4ELi64ELc84ELc78EKS2_S3_S2_EEvlllT_PT11_llS6_llS4_PT12_llPT13_lli.has_dyn_sized_stack, 0
	.set _ZN12_GLOBAL__N_127rocblas_gemm_batched_kernelI19rocblas_complex_numIfELi16ELi16ELi64ELi64ELi4ELi64ELi4ELi4ELi64ELc84ELc78EKS2_S3_S2_EEvlllT_PT11_llS6_llS4_PT12_llPT13_lli.has_recursion, 0
	.set _ZN12_GLOBAL__N_127rocblas_gemm_batched_kernelI19rocblas_complex_numIfELi16ELi16ELi64ELi64ELi4ELi64ELi4ELi4ELi64ELc84ELc78EKS2_S3_S2_EEvlllT_PT11_llS6_llS4_PT12_llPT13_lli.has_indirect_call, 0
	.section	.AMDGPU.csdata,"",@progbits
; Kernel info:
; codeLenInByte = 5504
; TotalNumSgprs: 40
; NumVgprs: 196
; ScratchSize: 0
; MemoryBound: 0
; FloatMode: 240
; IeeeMode: 1
; LDSByteSize: 4096 bytes/workgroup (compile time only)
; SGPRBlocks: 0
; VGPRBlocks: 24
; NumSGPRsForWavesPerEU: 40
; NumVGPRsForWavesPerEU: 196
; Occupancy: 7
; WaveLimiterHint : 1
; COMPUTE_PGM_RSRC2:SCRATCH_EN: 0
; COMPUTE_PGM_RSRC2:USER_SGPR: 2
; COMPUTE_PGM_RSRC2:TRAP_HANDLER: 0
; COMPUTE_PGM_RSRC2:TGID_X_EN: 1
; COMPUTE_PGM_RSRC2:TGID_Y_EN: 1
; COMPUTE_PGM_RSRC2:TGID_Z_EN: 1
; COMPUTE_PGM_RSRC2:TIDIG_COMP_CNT: 1
	.section	.text._ZN12_GLOBAL__N_127rocblas_gemm_batched_kernelI19rocblas_complex_numIfELi16ELi16ELi64ELi64ELi4ELi64ELi4ELi4ELi64ELc78ELc84EKS2_S3_S2_EEvlllT_PT11_llS6_llS4_PT12_llPT13_lli,"axG",@progbits,_ZN12_GLOBAL__N_127rocblas_gemm_batched_kernelI19rocblas_complex_numIfELi16ELi16ELi64ELi64ELi4ELi64ELi4ELi4ELi64ELc78ELc84EKS2_S3_S2_EEvlllT_PT11_llS6_llS4_PT12_llPT13_lli,comdat
	.globl	_ZN12_GLOBAL__N_127rocblas_gemm_batched_kernelI19rocblas_complex_numIfELi16ELi16ELi64ELi64ELi4ELi64ELi4ELi4ELi64ELc78ELc84EKS2_S3_S2_EEvlllT_PT11_llS6_llS4_PT12_llPT13_lli ; -- Begin function _ZN12_GLOBAL__N_127rocblas_gemm_batched_kernelI19rocblas_complex_numIfELi16ELi16ELi64ELi64ELi4ELi64ELi4ELi4ELi64ELc78ELc84EKS2_S3_S2_EEvlllT_PT11_llS6_llS4_PT12_llPT13_lli
	.p2align	8
	.type	_ZN12_GLOBAL__N_127rocblas_gemm_batched_kernelI19rocblas_complex_numIfELi16ELi16ELi64ELi64ELi4ELi64ELi4ELi4ELi64ELc78ELc84EKS2_S3_S2_EEvlllT_PT11_llS6_llS4_PT12_llPT13_lli,@function
_ZN12_GLOBAL__N_127rocblas_gemm_batched_kernelI19rocblas_complex_numIfELi16ELi16ELi64ELi64ELi4ELi64ELi4ELi4ELi64ELc78ELc84EKS2_S3_S2_EEvlllT_PT11_llS6_llS4_PT12_llPT13_lli: ; @_ZN12_GLOBAL__N_127rocblas_gemm_batched_kernelI19rocblas_complex_numIfELi16ELi16ELi64ELi64ELi4ELi64ELi4ELi4ELi64ELc78ELc84EKS2_S3_S2_EEvlllT_PT11_llS6_llS4_PT12_llPT13_lli
; %bb.0:
	s_load_b32 s33, s[0:1], 0x88
	s_lshr_b32 s28, ttmp7, 16
	s_wait_kmcnt 0x0
	s_cmp_ge_i32 s28, s33
	s_cbranch_scc1 .LBB91_10
; %bb.1:
	s_clause 0x2
	s_load_b128 s[16:19], s[0:1], 0x10
	s_load_b256 s[8:15], s[0:1], 0x20
	s_load_b64 s[30:31], s[0:1], 0x50
	v_and_b32_e32 v12, 0x3ff, v0
	v_bfe_u32 v10, v0, 10, 10
	s_load_b128 s[24:27], s[0:1], 0x40
	s_mov_b32 s34, ttmp9
	s_lshl_b32 s2, ttmp7, 6
	s_ashr_i32 s35, ttmp9, 31
	v_lshl_add_u32 v2, v10, 4, v12
	s_and_b32 s38, s2, 0x3fffc0
	s_lshl_b64 s[36:37], s[34:35], 6
	v_add_nc_u32_e32 v14, s38, v10
	v_lshl_add_u32 v19, v10, 5, 0x800
	v_lshrrev_b32_e32 v3, 2, v2
	v_lshrrev_b32_e32 v11, 6, v2
	s_mov_b32 s29, 0
	s_wait_kmcnt 0x0
	s_delay_alu instid0(VALU_DEP_1) | instskip(SKIP_2) | instid1(VALU_DEP_1)
	v_mad_co_u64_u32 v[8:9], null, s10, v11, s[36:37]
	v_and_b32_e32 v4, 3, v0
	v_add_co_u32 v0, s2, v3, s38
	v_add_co_ci_u32_e64 v1, null, 0, 0, s2
	s_clause 0x1
	s_load_b128 s[20:23], s[0:1], 0x78
	s_load_b256 s[0:7], s[0:1], 0x58
	s_or_b32 s34, s30, s31
	v_mad_co_u64_u32 v[6:7], null, s24, v4, v[0:1]
	v_and_b32_e32 v13, 63, v2
	v_lshlrev_b32_e32 v0, 3, v4
	s_bitset0_b32 s34, 31
	s_delay_alu instid0(SALU_CYCLE_1) | instskip(NEXT) | instid1(VALU_DEP_1)
	s_cmp_eq_u32 s34, 0
	v_lshl_or_b32 v2, v3, 5, v0
	s_delay_alu instid0(VALU_DEP_4) | instskip(SKIP_1) | instid1(VALU_DEP_3)
	v_dual_mov_b32 v0, v7 :: v_dual_lshlrev_b32 v1, 3, v13
	v_add_co_u32 v8, vcc_lo, v8, v13
	v_add_nc_u32_e32 v17, 0x800, v2
	s_cselect_b32 s34, -1, 0
	s_delay_alu instid0(VALU_DEP_3) | instskip(SKIP_3) | instid1(VALU_DEP_3)
	v_mad_co_u64_u32 v[2:3], null, s25, v4, v[0:1]
	s_wait_kmcnt 0x0
	v_mad_co_u64_u32 v[4:5], null, v14, s2, 0
	v_mov_b32_e32 v3, v9
	v_dual_mov_b32 v7, v2 :: v_dual_lshlrev_b32 v18, 3, v12
	s_delay_alu instid0(VALU_DEP_3) | instskip(SKIP_2) | instid1(VALU_DEP_4)
	v_mov_b32_e32 v2, v5
	v_lshl_or_b32 v16, v11, 9, v1
	v_mad_co_u64_u32 v[0:1], null, v14, s20, 0
	v_lshlrev_b64_e32 v[6:7], 3, v[6:7]
	s_delay_alu instid0(VALU_DEP_4) | instskip(SKIP_1) | instid1(VALU_DEP_4)
	v_mad_co_u64_u32 v[9:10], null, v14, s3, v[2:3]
	v_mad_co_u64_u32 v[10:11], null, s11, v11, v[3:4]
	;; [unrolled: 1-line block ×3, first 2 shown]
	v_add_co_u32 v2, s35, s36, v12
	s_delay_alu instid0(VALU_DEP_4) | instskip(NEXT) | instid1(VALU_DEP_4)
	v_mov_b32_e32 v5, v9
	v_add_co_ci_u32_e64 v9, null, 0, v10, vcc_lo
	v_add_co_ci_u32_e64 v3, null, s37, 0, s35
	s_delay_alu instid0(VALU_DEP_3) | instskip(NEXT) | instid1(VALU_DEP_3)
	v_lshlrev_b64_e32 v[4:5], 3, v[4:5]
	v_lshlrev_b64_e32 v[8:9], 3, v[8:9]
	s_lshl_b64 s[20:21], s[20:21], 4
	s_lshl_b64 s[36:37], s[2:3], 4
	;; [unrolled: 1-line block ×4, first 2 shown]
	v_add_co_u32 v20, vcc_lo, s0, v4
	v_cmp_gt_i64_e64 s0, s[16:17], 0
	s_wait_alu 0xfffd
	v_add_co_ci_u32_e64 v21, null, s1, v5, vcc_lo
	v_add_co_u32 v4, vcc_lo, s8, v8
	s_wait_alu 0xfffd
	v_add_co_ci_u32_e64 v5, null, s9, v9, vcc_lo
	s_wait_alu 0xf1ff
	v_cndmask_b32_e64 v8, 0, 1, s0
	v_add_co_u32 v6, vcc_lo, s14, v6
	s_wait_alu 0xfffd
	v_add_co_ci_u32_e64 v7, null, s15, v7, vcc_lo
	s_delay_alu instid0(VALU_DEP_3)
	v_cmp_ne_u32_e64 s0, 1, v8
	s_lshl_b64 s[8:9], s[10:11], 5
	s_lshl_b64 s[10:11], s[26:27], 3
	s_wait_alu 0xfffe
	s_lshl_b64 s[14:15], s[36:37], 3
	s_lshl_b64 s[20:21], s[20:21], 3
	s_branch .LBB91_3
.LBB91_2:                               ;   in Loop: Header=BB91_3 Depth=1
	s_add_co_i32 s28, s28, 0x10000
	global_store_b32 v[8:9], v10, off offset:4
	s_wait_alu 0xfffe
	s_cmp_lt_i32 s28, s33
	s_cbranch_scc0 .LBB91_10
.LBB91_3:                               ; =>This Loop Header: Depth=1
                                        ;     Child Loop BB91_5 Depth 2
	v_dual_mov_b32 v52, 0 :: v_dual_mov_b32 v53, 0
	v_dual_mov_b32 v50, 0 :: v_dual_mov_b32 v51, 0
	v_dual_mov_b32 v48, 0 :: v_dual_mov_b32 v49, 0
	v_dual_mov_b32 v46, 0 :: v_dual_mov_b32 v47, 0
	v_dual_mov_b32 v44, 0 :: v_dual_mov_b32 v45, 0
	v_dual_mov_b32 v42, 0 :: v_dual_mov_b32 v43, 0
	v_dual_mov_b32 v40, 0 :: v_dual_mov_b32 v41, 0
	v_dual_mov_b32 v38, 0 :: v_dual_mov_b32 v39, 0
	v_dual_mov_b32 v36, 0 :: v_dual_mov_b32 v37, 0
	v_dual_mov_b32 v34, 0 :: v_dual_mov_b32 v35, 0
	v_dual_mov_b32 v32, 0 :: v_dual_mov_b32 v33, 0
	v_dual_mov_b32 v30, 0 :: v_dual_mov_b32 v31, 0
	v_dual_mov_b32 v28, 0 :: v_dual_mov_b32 v29, 0
	v_dual_mov_b32 v26, 0 :: v_dual_mov_b32 v27, 0
	v_dual_mov_b32 v24, 0 :: v_dual_mov_b32 v25, 0
	v_dual_mov_b32 v22, 0 :: v_dual_mov_b32 v23, 0
	s_and_b32 vcc_lo, exec_lo, s0
	s_wait_alu 0xfffe
	s_cbranch_vccnz .LBB91_6
; %bb.4:                                ;   in Loop: Header=BB91_3 Depth=1
	v_mad_co_u64_u32 v[8:9], null, s2, s28, v[4:5]
	v_mad_co_u64_u32 v[10:11], null, s10, s28, v[6:7]
	v_dual_mov_b32 v23, 0 :: v_dual_mov_b32 v22, 0
	v_dual_mov_b32 v25, 0 :: v_dual_mov_b32 v24, 0
	;; [unrolled: 1-line block ×3, first 2 shown]
	s_delay_alu instid0(VALU_DEP_4) | instskip(SKIP_3) | instid1(VALU_DEP_4)
	v_mad_co_u64_u32 v[12:13], null, s3, s28, v[9:10]
	v_dual_mov_b32 v29, 0 :: v_dual_mov_b32 v28, 0
	v_dual_mov_b32 v31, 0 :: v_dual_mov_b32 v30, 0
	;; [unrolled: 1-line block ×3, first 2 shown]
	v_mad_co_u64_u32 v[13:14], null, s11, s28, v[11:12]
	v_dual_mov_b32 v9, v12 :: v_dual_mov_b32 v32, 0
	v_dual_mov_b32 v35, 0 :: v_dual_mov_b32 v38, 0
	;; [unrolled: 1-line block ×3, first 2 shown]
	s_delay_alu instid0(VALU_DEP_4)
	v_dual_mov_b32 v40, 0 :: v_dual_mov_b32 v11, v13
	v_dual_mov_b32 v39, 0 :: v_dual_mov_b32 v42, 0
	;; [unrolled: 1-line block ×7, first 2 shown]
	v_mov_b32_e32 v51, 0
	v_mov_b32_e32 v53, 0
	s_mov_b64 s[24:25], 0
.LBB91_5:                               ;   Parent Loop BB91_3 Depth=1
                                        ; =>  This Inner Loop Header: Depth=2
	global_load_b64 v[12:13], v[8:9], off
	global_load_b64 v[14:15], v[10:11], off
	s_wait_alu 0xfffe
	s_add_nc_u64 s[24:25], s[24:25], 4
	v_add_co_u32 v8, vcc_lo, v8, s8
	s_wait_alu 0xfffe
	v_cmp_lt_i64_e64 s1, s[24:25], s[16:17]
	s_wait_alu 0xfffd
	v_add_co_ci_u32_e64 v9, null, s9, v9, vcc_lo
	v_add_co_u32 v10, vcc_lo, v10, s12
	s_wait_alu 0xfffd
	v_add_co_ci_u32_e64 v11, null, s13, v11, vcc_lo
	s_and_b32 vcc_lo, exec_lo, s1
	s_wait_loadcnt 0x1
	ds_store_b64 v16, v[12:13]
	s_wait_loadcnt 0x0
	ds_store_b64 v17, v[14:15]
	s_wait_dscnt 0x0
	s_barrier_signal -1
	s_barrier_wait -1
	global_inv scope:SCOPE_SE
	ds_load_2addr_b64 v[12:15], v18 offset1:16
	ds_load_b128 v[54:57], v19
	ds_load_b128 v[58:61], v19 offset:16
	ds_load_b128 v[62:65], v19 offset:512
	;; [unrolled: 1-line block ×7, first 2 shown]
	ds_load_2addr_b64 v[86:89], v18 offset0:32 offset1:48
	ds_load_2addr_b64 v[90:93], v18 offset0:64 offset1:80
	;; [unrolled: 1-line block ×7, first 2 shown]
	s_wait_loadcnt_dscnt 0x0
	s_barrier_signal -1
	s_barrier_wait -1
	global_inv scope:SCOPE_SE
	v_dual_mul_f32 v114, v55, v13 :: v_dual_mul_f32 v117, v54, v15
	v_dual_mul_f32 v115, v54, v13 :: v_dual_mul_f32 v116, v55, v15
	;; [unrolled: 1-line block ×6, first 2 shown]
	v_mul_f32_e32 v126, v79, v13
	v_dual_mul_f32 v13, v78, v13 :: v_dual_mul_f32 v128, v55, v87
	v_dual_mul_f32 v127, v79, v15 :: v_dual_mul_f32 v144, v57, v93
	;; [unrolled: 1-line block ×9, first 2 shown]
	v_mul_f32_e32 v15, v78, v15
	v_dual_mul_f32 v87, v78, v87 :: v_dual_mul_f32 v148, v57, v97
	v_dual_mul_f32 v89, v78, v89 :: v_dual_mul_f32 v146, v57, v95
	;; [unrolled: 1-line block ×19, first 2 shown]
	v_mul_f32_e32 v181, v74, v101
	v_fma_f32 v114, v54, v12, -v114
	v_fmac_f32_e32 v115, v55, v12
	v_fma_f32 v116, v54, v14, -v116
	v_fmac_f32_e32 v117, v55, v14
	;; [unrolled: 2-line block ×7, first 2 shown]
	v_fma_f32 v12, v78, v14, -v127
	v_fma_f32 v128, v54, v86, -v128
	v_dual_fmac_f32 v129, v55, v86 :: v_dual_mul_f32 v194, v77, v113
	v_fma_f32 v54, v54, v88, -v130
	v_fmac_f32_e32 v131, v55, v88
	v_fma_f32 v55, v62, v86, -v132
	v_fmac_f32_e32 v133, v63, v86
	;; [unrolled: 2-line block ×3, first 2 shown]
	v_fmac_f32_e32 v139, v71, v88
	v_fma_f32 v71, v78, v86, -v140
	v_fma_f32 v78, v78, v88, -v141
	;; [unrolled: 1-line block ×3, first 2 shown]
	v_dual_mul_f32 v144, v60, v107 :: v_dual_fmac_f32 v135, v63, v88
	v_fma_f32 v63, v70, v86, -v136
	v_fma_f32 v70, v70, v88, -v138
	v_dual_mul_f32 v97, v80, v97 :: v_dual_mul_f32 v182, v83, v99
	v_dual_mul_f32 v171, v58, v99 :: v_dual_mul_f32 v188, v67, v105
	;; [unrolled: 1-line block ×3, first 2 shown]
	v_mul_f32_e32 v175, v66, v99
	v_mul_f32_e32 v177, v66, v101
	v_dual_mul_f32 v179, v74, v99 :: v_dual_mul_f32 v138, v83, v105
	v_mul_f32_e32 v99, v82, v99
	v_mul_f32_e32 v183, v83, v101
	;; [unrolled: 1-line block ×5, first 2 shown]
	v_dual_fmac_f32 v15, v79, v14 :: v_dual_mul_f32 v190, v77, v107
	v_mul_f32_e32 v14, v67, v103
	v_dual_mul_f32 v127, v66, v103 :: v_dual_mul_f32 v192, v77, v109
	v_mul_f32_e32 v189, v66, v105
	v_fmac_f32_e32 v87, v79, v86
	v_dual_fmac_f32 v89, v79, v88 :: v_dual_mul_f32 v86, v74, v103
	v_mul_f32_e32 v88, v75, v105
	v_mul_f32_e32 v130, v74, v105
	v_fma_f32 v132, v56, v90, -v142
	v_fmac_f32_e32 v143, v57, v90
	v_dual_fmac_f32 v145, v57, v92 :: v_dual_fmac_f32 v86, v75, v102
	v_fma_f32 v136, v56, v94, -v146
	v_dual_fmac_f32 v147, v57, v94 :: v_dual_add_f32 v50, v50, v116
	v_fma_f32 v56, v56, v96, -v148
	v_dual_fmac_f32 v149, v57, v96 :: v_dual_add_f32 v52, v52, v114
	v_dual_mul_f32 v105, v82, v105 :: v_dual_add_f32 v48, v48, v128
	v_fma_f32 v140, v64, v90, -v150
	v_dual_fmac_f32 v151, v65, v90 :: v_dual_add_f32 v42, v42, v120
	v_fma_f32 v141, v64, v92, -v152
	v_dual_fmac_f32 v153, v65, v92 :: v_dual_add_f32 v46, v46, v54
	;; [unrolled: 2-line block ×4, first 2 shown]
	v_dual_mul_f32 v65, v61, v107 :: v_dual_add_f32 v38, v38, v62
	v_mul_f32_e32 v146, v61, v109
	v_mul_f32_e32 v148, v60, v109
	v_fma_f32 v150, v72, v90, -v158
	v_dual_fmac_f32 v159, v73, v90 :: v_dual_add_f32 v34, v34, v124
	v_fma_f32 v152, v72, v92, -v160
	v_dual_fmac_f32 v161, v73, v92 :: v_dual_add_f32 v36, v36, v122
	;; [unrolled: 2-line block ×4, first 2 shown]
	v_dual_mul_f32 v73, v61, v111 :: v_dual_add_f32 v28, v28, v126
	v_mul_f32_e32 v156, v60, v111
	v_mul_f32_e32 v160, v60, v113
	v_fma_f32 v162, v80, v90, -v166
	v_dual_fmac_f32 v91, v81, v90 :: v_dual_add_f32 v12, v26, v12
	v_fma_f32 v90, v80, v92, -v167
	v_dual_fmac_f32 v93, v81, v92 :: v_dual_add_f32 v24, v24, v71
	v_mul_f32_e32 v164, v68, v107
	v_mul_f32_e32 v79, v75, v103
	v_dual_mul_f32 v167, v68, v109 :: v_dual_add_f32 v22, v22, v78
	v_fma_f32 v168, v80, v94, -v168
	v_dual_fmac_f32 v95, v81, v94 :: v_dual_add_f32 v26, v52, v132
	v_fma_f32 v80, v80, v96, -v169
	v_mul_f32_e32 v94, v68, v111
	v_mul_f32_e32 v57, v83, v103
	v_dual_mul_f32 v103, v82, v103 :: v_dual_mul_f32 v158, v61, v113
	v_mul_f32_e32 v92, v69, v107
	v_mul_f32_e32 v166, v69, v109
	v_dual_mul_f32 v169, v68, v113 :: v_dual_add_f32 v46, v46, v56
	v_dual_mul_f32 v191, v76, v107 :: v_dual_add_f32 v42, v42, v141
	;; [unrolled: 1-line block ×3, first 2 shown]
	v_fma_f32 v170, v58, v98, -v170
	v_dual_fmac_f32 v171, v59, v98 :: v_dual_add_f32 v44, v44, v140
	v_fma_f32 v172, v58, v100, -v172
	v_dual_fmac_f32 v173, v59, v100 :: v_dual_add_f32 v40, v40, v142
	;; [unrolled: 2-line block ×8, first 2 shown]
	v_mul_f32_e32 v100, v77, v111
	v_dual_mul_f32 v183, v76, v111 :: v_dual_add_f32 v22, v22, v80
	v_dual_mul_f32 v195, v76, v113 :: v_dual_add_f32 v26, v26, v170
	v_fma_f32 v184, v58, v102, -v184
	v_fma_f32 v58, v58, v104, -v186
	v_dual_fmac_f32 v187, v59, v104 :: v_dual_add_f32 v12, v12, v90
	v_fma_f32 v14, v66, v102, -v14
	v_dual_fmac_f32 v127, v67, v102 :: v_dual_add_f32 v42, v42, v176
	s_delay_alu instid0(VALU_DEP_4)
	v_dual_fmac_f32 v189, v67, v104 :: v_dual_add_f32 v46, v46, v58
	v_fma_f32 v67, v74, v104, -v88
	v_fmac_f32_e32 v130, v75, v104
	v_dual_fmac_f32 v105, v83, v104 :: v_dual_add_f32 v44, v44, v174
	v_dual_mul_f32 v75, v85, v107 :: v_dual_add_f32 v14, v40, v14
	v_fmac_f32_e32 v144, v61, v106
	v_fma_f32 v88, v60, v108, -v146
	v_fmac_f32_e32 v148, v61, v108
	v_fmac_f32_e32 v156, v61, v110
	;; [unrolled: 1-line block ×3, first 2 shown]
	v_dual_mul_f32 v61, v85, v111 :: v_dual_add_f32 v36, v36, v178
	v_fmac_f32_e32 v164, v69, v106
	v_fmac_f32_e32 v94, v69, v110
	v_fma_f32 v57, v82, v102, -v57
	v_add_f32_e32 v51, v51, v117
	v_fmac_f32_e32 v97, v81, v96
	v_dual_mul_f32 v81, v69, v111 :: v_dual_add_f32 v48, v48, v136
	v_dual_mul_f32 v96, v69, v113 :: v_dual_fmac_f32 v185, v59, v102
	v_fma_f32 v59, v66, v104, -v188
	v_fma_f32 v66, v74, v102, -v79
	v_fma_f32 v74, v82, v104, -v138
	v_mul_f32_e32 v82, v85, v109
	v_dual_mul_f32 v104, v85, v113 :: v_dual_fmac_f32 v103, v83, v102
	v_add_f32_e32 v38, v38, v59
	v_dual_mul_f32 v79, v84, v107 :: v_dual_add_f32 v34, v34, v180
	v_dual_mul_f32 v83, v84, v109 :: v_dual_add_f32 v30, v30, v67
	v_fma_f32 v65, v60, v106, -v65
	v_fma_f32 v73, v60, v110, -v73
	v_mul_f32_e32 v102, v84, v111
	v_dual_mul_f32 v107, v84, v113 :: v_dual_add_f32 v22, v22, v74
	v_fma_f32 v92, v68, v106, -v92
	v_fma_f32 v109, v68, v108, -v166
	v_dual_fmac_f32 v167, v69, v108 :: v_dual_add_f32 v32, v32, v66
	v_fma_f32 v81, v68, v110, -v81
	v_fma_f32 v68, v68, v112, -v96
	v_dual_fmac_f32 v169, v69, v112 :: v_dual_add_f32 v28, v28, v182
	v_fma_f32 v69, v76, v106, -v190
	v_dual_fmac_f32 v191, v77, v106 :: v_dual_add_f32 v24, v24, v57
	;; [unrolled: 2-line block ×4, first 2 shown]
	v_fma_f32 v76, v76, v112, -v194
	v_fma_f32 v75, v84, v106, -v75
	;; [unrolled: 1-line block ×3, first 2 shown]
	v_dual_add_f32 v53, v53, v115 :: v_dual_add_f32 v44, v44, v92
	v_dual_add_f32 v49, v49, v129 :: v_dual_add_f32 v38, v38, v68
	;; [unrolled: 1-line block ×8, first 2 shown]
	v_add_f32_e32 v31, v31, v139
	v_add_f32_e32 v13, v29, v13
	;; [unrolled: 1-line block ×4, first 2 shown]
	v_dual_add_f32 v23, v23, v89 :: v_dual_add_f32 v48, v48, v184
	v_fmac_f32_e32 v195, v77, v112
	v_fma_f32 v77, v84, v108, -v82
	v_fma_f32 v82, v84, v112, -v104
	v_add_f32_e32 v39, v39, v135
	v_add_f32_e32 v33, v33, v137
	;; [unrolled: 1-line block ×3, first 2 shown]
	v_dual_add_f32 v29, v50, v134 :: v_dual_add_f32 v50, v51, v145
	v_add_f32_e32 v49, v49, v147
	v_add_f32_e32 v47, v47, v149
	;; [unrolled: 1-line block ×13, first 2 shown]
	v_dual_add_f32 v39, v39, v157 :: v_dual_add_f32 v22, v22, v82
	v_add_f32_e32 v33, v33, v163
	v_fma_f32 v60, v60, v112, -v158
	v_fmac_f32_e32 v79, v85, v106
	v_dual_fmac_f32 v83, v85, v108 :: v_dual_add_f32 v42, v42, v109
	v_fmac_f32_e32 v102, v85, v110
	v_dual_fmac_f32 v107, v85, v112 :: v_dual_add_f32 v40, v14, v81
	v_add_f32_e32 v27, v27, v171
	v_add_f32_e32 v29, v29, v172
	;; [unrolled: 1-line block ×19, first 2 shown]
	v_dual_add_f32 v51, v51, v148 :: v_dual_add_f32 v48, v48, v73
	v_add_f32_e32 v49, v49, v156
	v_add_f32_e32 v46, v46, v60
	;; [unrolled: 1-line block ×15, first 2 shown]
	s_wait_alu 0xfffe
	s_cbranch_vccnz .LBB91_5
.LBB91_6:                               ;   in Loop: Header=BB91_3 Depth=1
	s_mul_u64 s[24:25], s[22:23], s[28:29]
	s_and_not1_b32 vcc_lo, exec_lo, s34
	s_wait_alu 0xfffe
	s_lshl_b64 s[24:25], s[24:25], 3
	s_mov_b32 s1, -1
	s_wait_alu 0xfffe
	s_add_nc_u64 s[24:25], s[6:7], s[24:25]
                                        ; implicit-def: $vgpr10
                                        ; implicit-def: $vgpr8_vgpr9
	s_cbranch_vccz .LBB91_8
; %bb.7:                                ;   in Loop: Header=BB91_3 Depth=1
	s_and_not1_b32 vcc_lo, exec_lo, s1
	s_wait_alu 0xfffe
	s_cbranch_vccnz .LBB91_2
	s_branch .LBB91_9
.LBB91_8:                               ;   in Loop: Header=BB91_3 Depth=1
	v_lshlrev_b64_e32 v[8:9], 3, v[0:1]
	v_lshlrev_b64_e32 v[11:12], 3, v[2:3]
	v_dual_mul_f32 v10, s18, v53 :: v_dual_mul_f32 v55, s18, v51
	v_dual_mul_f32 v13, s19, v53 :: v_dual_mul_f32 v54, s19, v51
	v_mul_f32_e32 v57, s18, v49
	s_wait_alu 0xfffe
	v_add_co_u32 v8, vcc_lo, s24, v8
	s_wait_alu 0xfffd
	v_add_co_ci_u32_e64 v15, null, s25, v9, vcc_lo
	v_dual_mul_f32 v56, s19, v49 :: v_dual_mul_f32 v59, s18, v47
	v_fmac_f32_e32 v10, s19, v52
	v_fma_f32 v9, v52, s18, -v13
	v_add_co_u32 v13, vcc_lo, v8, v11
	v_dual_mul_f32 v58, s19, v47 :: v_dual_fmac_f32 v55, s19, v50
	s_wait_alu 0xfffd
	v_add_co_ci_u32_e64 v14, null, v15, v12, vcc_lo
	v_fma_f32 v54, v50, s18, -v54
	v_fma_f32 v56, v48, s18, -v56
	v_fmac_f32_e32 v57, s19, v48
	v_fma_f32 v58, v46, s18, -v58
	v_fmac_f32_e32 v59, s19, v46
	s_clause 0x3
	global_store_b64 v[13:14], v[9:10], off
	global_store_b64 v[13:14], v[54:55], off offset:128
	global_store_b64 v[13:14], v[56:57], off offset:256
	;; [unrolled: 1-line block ×3, first 2 shown]
	v_mul_f32_e32 v10, s19, v45
	v_dual_mul_f32 v9, s18, v45 :: v_dual_mul_f32 v58, s19, v39
	v_add_co_u32 v60, vcc_lo, v8, s20
	s_delay_alu instid0(VALU_DEP_3) | instskip(NEXT) | instid1(VALU_DEP_3)
	v_fma_f32 v8, v44, s18, -v10
	v_dual_mul_f32 v10, s19, v43 :: v_dual_fmac_f32 v9, s19, v44
	s_wait_alu 0xfffd
	v_add_co_ci_u32_e64 v15, null, s21, v15, vcc_lo
	v_mul_f32_e32 v55, s18, v43
	s_delay_alu instid0(VALU_DEP_3) | instskip(SKIP_4) | instid1(VALU_DEP_3)
	v_fma_f32 v54, v42, s18, -v10
	v_mul_f32_e32 v10, s19, v41
	v_add_co_u32 v13, vcc_lo, v60, v11
	s_wait_alu 0xfffd
	v_add_co_ci_u32_e64 v14, null, v15, v12, vcc_lo
	v_fma_f32 v56, v40, s18, -v10
	v_mul_f32_e32 v10, s19, v37
	v_mul_f32_e32 v57, s18, v41
	v_add_co_u32 v70, vcc_lo, v60, s20
	v_mul_f32_e32 v59, s18, v39
	s_delay_alu instid0(VALU_DEP_4) | instskip(SKIP_4) | instid1(VALU_DEP_3)
	v_fma_f32 v60, v36, s18, -v10
	v_dual_mul_f32 v10, s19, v35 :: v_dual_mul_f32 v61, s18, v37
	s_wait_alu 0xfffd
	v_add_co_ci_u32_e64 v15, null, s21, v15, vcc_lo
	v_dual_fmac_f32 v55, s19, v42 :: v_dual_mul_f32 v68, s19, v31
	v_fma_f32 v64, v34, s18, -v10
	v_dual_mul_f32 v65, s18, v35 :: v_dual_mul_f32 v10, s19, v33
	v_mul_f32_e32 v67, s18, v33
	v_mul_f32_e32 v69, s18, v31
	v_fmac_f32_e32 v57, s19, v40
	v_add_co_u32 v62, vcc_lo, v70, v11
	v_fma_f32 v58, v38, s18, -v58
	v_fmac_f32_e32 v59, s19, v38
	v_fmac_f32_e32 v61, s19, v36
	s_wait_alu 0xfffd
	v_add_co_ci_u32_e64 v63, null, v15, v12, vcc_lo
	v_fmac_f32_e32 v65, s19, v34
	v_fma_f32 v66, v32, s18, -v10
	v_fmac_f32_e32 v67, s19, v32
	v_fma_f32 v68, v30, s18, -v68
	v_fmac_f32_e32 v69, s19, v30
	s_clause 0x7
	global_store_b64 v[13:14], v[8:9], off
	global_store_b64 v[13:14], v[54:55], off offset:128
	global_store_b64 v[13:14], v[56:57], off offset:256
	;; [unrolled: 1-line block ×3, first 2 shown]
	global_store_b64 v[62:63], v[60:61], off
	global_store_b64 v[62:63], v[64:65], off offset:128
	global_store_b64 v[62:63], v[66:67], off offset:256
	;; [unrolled: 1-line block ×3, first 2 shown]
	v_mul_f32_e32 v8, s19, v29
	v_add_co_u32 v9, vcc_lo, v70, s20
	s_wait_alu 0xfffd
	v_add_co_ci_u32_e64 v10, null, s21, v15, vcc_lo
	s_delay_alu instid0(VALU_DEP_3)
	v_fma_f32 v13, v28, s18, -v8
	v_mul_f32_e32 v8, s19, v27
	v_add_co_u32 v11, vcc_lo, v9, v11
	v_mul_f32_e32 v14, s18, v29
	s_wait_alu 0xfffd
	v_add_co_ci_u32_e64 v12, null, v10, v12, vcc_lo
	v_fma_f32 v54, v26, s18, -v8
	v_dual_mul_f32 v8, s19, v25 :: v_dual_mul_f32 v9, s19, v23
	v_mul_f32_e32 v10, s18, v23
	v_mul_f32_e32 v55, s18, v27
	;; [unrolled: 1-line block ×3, first 2 shown]
	s_delay_alu instid0(VALU_DEP_4)
	v_fma_f32 v56, v24, s18, -v8
	v_add_co_u32 v8, vcc_lo, 0x180, v11
	v_fmac_f32_e32 v14, s19, v28
	v_fma_f32 v15, v22, s18, -v9
	v_fmac_f32_e32 v10, s19, v22
	s_wait_alu 0xfffd
	v_add_co_ci_u32_e64 v9, null, 0, v12, vcc_lo
	v_fmac_f32_e32 v55, s19, v26
	v_fmac_f32_e32 v57, s19, v24
	s_clause 0x3
	global_store_b64 v[11:12], v[13:14], off
	global_store_b64 v[11:12], v[54:55], off offset:128
	global_store_b64 v[11:12], v[56:57], off offset:256
	global_store_b32 v[11:12], v15, off offset:384
	s_cbranch_execnz .LBB91_2
.LBB91_9:                               ;   in Loop: Header=BB91_3 Depth=1
	s_mul_u64 s[26:27], s[4:5], s[28:29]
	v_lshlrev_b64_e32 v[8:9], 3, v[2:3]
	s_wait_alu 0xfffe
	s_lshl_b64 s[26:27], s[26:27], 3
	v_mul_f32_e32 v56, s19, v53
	s_wait_alu 0xfffe
	v_add_co_u32 v54, vcc_lo, v20, s26
	s_wait_alu 0xfffd
	v_add_co_ci_u32_e64 v55, null, s27, v21, vcc_lo
	v_mul_f32_e32 v53, s18, v53
	s_delay_alu instid0(VALU_DEP_3) | instskip(SKIP_1) | instid1(VALU_DEP_3)
	v_add_co_u32 v10, vcc_lo, v54, v8
	s_wait_alu 0xfffd
	v_add_co_ci_u32_e64 v11, null, v55, v9, vcc_lo
	v_lshlrev_b64_e32 v[14:15], 3, v[0:1]
	v_fmac_f32_e32 v53, s19, v52
	v_fma_f32 v56, v52, s18, -v56
	global_load_b64 v[12:13], v[10:11], off
	v_add_co_u32 v58, vcc_lo, s24, v14
	s_wait_alu 0xfffd
	v_add_co_ci_u32_e64 v59, null, s25, v15, vcc_lo
	s_wait_loadcnt 0x0
	v_mul_f32_e32 v57, s30, v13
	s_delay_alu instid0(VALU_DEP_1) | instskip(NEXT) | instid1(VALU_DEP_1)
	v_dual_mul_f32 v52, s31, v13 :: v_dual_fmac_f32 v57, s31, v12
	v_fma_f32 v14, v12, s30, -v52
	v_mul_f32_e32 v52, s19, v51
	v_add_co_u32 v12, vcc_lo, v58, v8
	s_wait_alu 0xfffd
	v_add_co_ci_u32_e64 v13, null, v59, v9, vcc_lo
	v_add_f32_e32 v14, v56, v14
	v_fma_f32 v52, v50, s18, -v52
	v_add_f32_e32 v15, v53, v57
	v_mul_f32_e32 v51, s18, v51
	global_store_b64 v[12:13], v[14:15], off
	global_load_b64 v[14:15], v[10:11], off offset:128
	v_fmac_f32_e32 v51, s19, v50
	s_wait_loadcnt 0x0
	v_mul_f32_e32 v53, s31, v15
	v_mul_f32_e32 v15, s30, v15
	s_delay_alu instid0(VALU_DEP_2) | instskip(NEXT) | instid1(VALU_DEP_2)
	v_fma_f32 v50, v14, s30, -v53
	v_fmac_f32_e32 v15, s31, v14
	s_delay_alu instid0(VALU_DEP_1)
	v_dual_add_f32 v14, v52, v50 :: v_dual_add_f32 v15, v51, v15
	v_mul_f32_e32 v50, s19, v49
	v_mul_f32_e32 v49, s18, v49
	global_store_b64 v[12:13], v[14:15], off offset:128
	global_load_b64 v[14:15], v[10:11], off offset:256
	v_fma_f32 v50, v48, s18, -v50
	v_fmac_f32_e32 v49, s19, v48
	s_wait_loadcnt 0x0
	v_mul_f32_e32 v51, s31, v15
	v_mul_f32_e32 v15, s30, v15
	s_delay_alu instid0(VALU_DEP_2) | instskip(NEXT) | instid1(VALU_DEP_1)
	v_fma_f32 v48, v14, s30, -v51
	v_dual_fmac_f32 v15, s31, v14 :: v_dual_add_f32 v14, v50, v48
	s_delay_alu instid0(VALU_DEP_1) | instskip(SKIP_4) | instid1(VALU_DEP_2)
	v_add_f32_e32 v15, v49, v15
	global_store_b64 v[12:13], v[14:15], off offset:256
	global_load_b64 v[10:11], v[10:11], off offset:384
	v_mul_f32_e32 v14, s19, v47
	v_mul_f32_e32 v15, s18, v47
	v_fma_f32 v14, v46, s18, -v14
	s_delay_alu instid0(VALU_DEP_2) | instskip(SKIP_3) | instid1(VALU_DEP_2)
	v_fmac_f32_e32 v15, s19, v46
	s_wait_loadcnt 0x0
	v_mul_f32_e32 v47, s31, v11
	v_mul_f32_e32 v11, s30, v11
	v_fma_f32 v46, v10, s30, -v47
	v_add_co_u32 v47, vcc_lo, v54, s14
	s_delay_alu instid0(VALU_DEP_3)
	v_fmac_f32_e32 v11, s31, v10
	s_wait_alu 0xfffd
	v_add_co_ci_u32_e64 v48, null, s15, v55, vcc_lo
	v_add_f32_e32 v10, v14, v46
	v_add_co_u32 v14, vcc_lo, v47, v8
	v_add_f32_e32 v11, v15, v11
	s_wait_alu 0xfffd
	v_add_co_ci_u32_e64 v15, null, v48, v9, vcc_lo
	v_add_co_u32 v46, vcc_lo, v58, s20
	global_store_b64 v[12:13], v[10:11], off offset:384
	global_load_b64 v[10:11], v[14:15], off
	v_mul_f32_e32 v12, s19, v45
	v_mul_f32_e32 v13, s18, v45
	s_wait_alu 0xfffd
	v_add_co_ci_u32_e64 v49, null, s21, v59, vcc_lo
	s_delay_alu instid0(VALU_DEP_3) | instskip(SKIP_3) | instid1(VALU_DEP_2)
	v_fma_f32 v12, v44, s18, -v12
	s_wait_loadcnt 0x0
	v_dual_fmac_f32 v13, s19, v44 :: v_dual_mul_f32 v44, s31, v11
	v_mul_f32_e32 v45, s30, v11
	v_fma_f32 v44, v10, s30, -v44
	s_delay_alu instid0(VALU_DEP_2) | instskip(SKIP_3) | instid1(VALU_DEP_3)
	v_fmac_f32_e32 v45, s31, v10
	v_add_co_u32 v10, vcc_lo, v46, v8
	s_wait_alu 0xfffd
	v_add_co_ci_u32_e64 v11, null, v49, v9, vcc_lo
	v_dual_add_f32 v12, v12, v44 :: v_dual_add_f32 v13, v13, v45
	v_mul_f32_e32 v44, s19, v43
	v_mul_f32_e32 v43, s18, v43
	global_store_b64 v[10:11], v[12:13], off
	global_load_b64 v[12:13], v[14:15], off offset:128
	v_fma_f32 v44, v42, s18, -v44
	v_fmac_f32_e32 v43, s19, v42
	s_wait_loadcnt 0x0
	v_mul_f32_e32 v45, s31, v13
	v_mul_f32_e32 v13, s30, v13
	s_delay_alu instid0(VALU_DEP_2) | instskip(NEXT) | instid1(VALU_DEP_1)
	v_fma_f32 v42, v12, s30, -v45
	v_dual_fmac_f32 v13, s31, v12 :: v_dual_add_f32 v12, v44, v42
	s_delay_alu instid0(VALU_DEP_1)
	v_add_f32_e32 v13, v43, v13
	v_mul_f32_e32 v42, s19, v41
	v_mul_f32_e32 v41, s18, v41
	global_store_b64 v[10:11], v[12:13], off offset:128
	global_load_b64 v[12:13], v[14:15], off offset:256
	v_fma_f32 v42, v40, s18, -v42
	v_fmac_f32_e32 v41, s19, v40
	s_wait_loadcnt 0x0
	v_mul_f32_e32 v43, s31, v13
	v_mul_f32_e32 v13, s30, v13
	s_delay_alu instid0(VALU_DEP_2) | instskip(NEXT) | instid1(VALU_DEP_2)
	v_fma_f32 v40, v12, s30, -v43
	v_fmac_f32_e32 v13, s31, v12
	s_delay_alu instid0(VALU_DEP_1) | instskip(SKIP_4) | instid1(VALU_DEP_2)
	v_dual_add_f32 v12, v42, v40 :: v_dual_add_f32 v13, v41, v13
	global_store_b64 v[10:11], v[12:13], off offset:256
	global_load_b64 v[12:13], v[14:15], off offset:384
	v_mul_f32_e32 v14, s19, v39
	v_mul_f32_e32 v15, s18, v39
	v_fma_f32 v14, v38, s18, -v14
	s_delay_alu instid0(VALU_DEP_2) | instskip(SKIP_3) | instid1(VALU_DEP_2)
	v_fmac_f32_e32 v15, s19, v38
	s_wait_loadcnt 0x0
	v_mul_f32_e32 v39, s31, v13
	v_mul_f32_e32 v13, s30, v13
	v_fma_f32 v38, v12, s30, -v39
	v_add_co_u32 v39, vcc_lo, v47, s14
	s_delay_alu instid0(VALU_DEP_3)
	v_fmac_f32_e32 v13, s31, v12
	s_wait_alu 0xfffd
	v_add_co_ci_u32_e64 v40, null, s15, v48, vcc_lo
	v_add_f32_e32 v12, v14, v38
	v_add_co_u32 v14, vcc_lo, v39, v8
	v_add_f32_e32 v13, v15, v13
	s_wait_alu 0xfffd
	v_add_co_ci_u32_e64 v15, null, v40, v9, vcc_lo
	v_add_co_u32 v38, vcc_lo, v46, s20
	global_store_b64 v[10:11], v[12:13], off offset:384
	global_load_b64 v[10:11], v[14:15], off
	v_mul_f32_e32 v12, s19, v37
	v_mul_f32_e32 v13, s18, v37
	s_wait_alu 0xfffd
	v_add_co_ci_u32_e64 v41, null, s21, v49, vcc_lo
	s_delay_alu instid0(VALU_DEP_3) | instskip(SKIP_3) | instid1(VALU_DEP_2)
	v_fma_f32 v12, v36, s18, -v12
	s_wait_loadcnt 0x0
	v_dual_fmac_f32 v13, s19, v36 :: v_dual_mul_f32 v36, s31, v11
	v_mul_f32_e32 v37, s30, v11
	v_fma_f32 v36, v10, s30, -v36
	s_delay_alu instid0(VALU_DEP_2) | instskip(SKIP_3) | instid1(VALU_DEP_3)
	v_fmac_f32_e32 v37, s31, v10
	v_add_co_u32 v10, vcc_lo, v38, v8
	s_wait_alu 0xfffd
	v_add_co_ci_u32_e64 v11, null, v41, v9, vcc_lo
	v_dual_add_f32 v12, v12, v36 :: v_dual_add_f32 v13, v13, v37
	v_mul_f32_e32 v36, s19, v35
	v_mul_f32_e32 v35, s18, v35
	global_store_b64 v[10:11], v[12:13], off
	global_load_b64 v[12:13], v[14:15], off offset:128
	v_fma_f32 v36, v34, s18, -v36
	v_fmac_f32_e32 v35, s19, v34
	s_wait_loadcnt 0x0
	v_mul_f32_e32 v37, s31, v13
	v_mul_f32_e32 v13, s30, v13
	s_delay_alu instid0(VALU_DEP_2) | instskip(NEXT) | instid1(VALU_DEP_1)
	v_fma_f32 v34, v12, s30, -v37
	v_dual_fmac_f32 v13, s31, v12 :: v_dual_add_f32 v12, v36, v34
	s_delay_alu instid0(VALU_DEP_1)
	v_add_f32_e32 v13, v35, v13
	v_mul_f32_e32 v34, s19, v33
	v_mul_f32_e32 v33, s18, v33
	global_store_b64 v[10:11], v[12:13], off offset:128
	global_load_b64 v[12:13], v[14:15], off offset:256
	v_fma_f32 v34, v32, s18, -v34
	v_fmac_f32_e32 v33, s19, v32
	s_wait_loadcnt 0x0
	v_mul_f32_e32 v35, s31, v13
	v_mul_f32_e32 v13, s30, v13
	s_delay_alu instid0(VALU_DEP_2) | instskip(NEXT) | instid1(VALU_DEP_2)
	v_fma_f32 v32, v12, s30, -v35
	v_fmac_f32_e32 v13, s31, v12
	s_delay_alu instid0(VALU_DEP_1) | instskip(SKIP_4) | instid1(VALU_DEP_2)
	v_dual_add_f32 v12, v34, v32 :: v_dual_add_f32 v13, v33, v13
	global_store_b64 v[10:11], v[12:13], off offset:256
	global_load_b64 v[12:13], v[14:15], off offset:384
	v_mul_f32_e32 v14, s19, v31
	v_mul_f32_e32 v15, s18, v31
	v_fma_f32 v14, v30, s18, -v14
	s_delay_alu instid0(VALU_DEP_2) | instskip(SKIP_3) | instid1(VALU_DEP_2)
	v_fmac_f32_e32 v15, s19, v30
	s_wait_loadcnt 0x0
	v_mul_f32_e32 v31, s31, v13
	v_mul_f32_e32 v13, s30, v13
	v_fma_f32 v30, v12, s30, -v31
	v_add_co_u32 v31, vcc_lo, v39, s14
	s_delay_alu instid0(VALU_DEP_3)
	v_fmac_f32_e32 v13, s31, v12
	s_wait_alu 0xfffd
	v_add_co_ci_u32_e64 v32, null, s15, v40, vcc_lo
	v_add_f32_e32 v12, v14, v30
	v_add_co_u32 v14, vcc_lo, v31, v8
	v_add_f32_e32 v13, v15, v13
	s_wait_alu 0xfffd
	v_add_co_ci_u32_e64 v15, null, v32, v9, vcc_lo
	global_store_b64 v[10:11], v[12:13], off offset:384
	global_load_b64 v[10:11], v[14:15], off
	v_mul_f32_e32 v12, s19, v29
	v_mul_f32_e32 v13, s18, v29
	s_delay_alu instid0(VALU_DEP_2) | instskip(SKIP_1) | instid1(VALU_DEP_2)
	v_fma_f32 v29, v28, s18, -v12
	s_wait_loadcnt 0x0
	v_dual_fmac_f32 v13, s19, v28 :: v_dual_mul_f32 v12, s31, v11
	v_mul_f32_e32 v28, s30, v11
	v_add_co_u32 v11, vcc_lo, v38, s20
	s_wait_alu 0xfffd
	v_add_co_ci_u32_e64 v30, null, s21, v41, vcc_lo
	v_fma_f32 v31, v10, s30, -v12
	v_fmac_f32_e32 v28, s31, v10
	v_add_co_u32 v11, vcc_lo, v11, v8
	s_wait_alu 0xfffd
	v_add_co_ci_u32_e64 v12, null, v30, v9, vcc_lo
	v_add_f32_e32 v8, v29, v31
	v_dual_add_f32 v9, v13, v28 :: v_dual_mul_f32 v10, s19, v27
	v_mul_f32_e32 v13, s18, v27
	global_store_b64 v[11:12], v[8:9], off
	global_load_b64 v[8:9], v[14:15], off offset:128
	v_fma_f32 v10, v26, s18, -v10
	v_fmac_f32_e32 v13, s19, v26
	s_wait_loadcnt 0x0
	v_mul_f32_e32 v27, s31, v9
	v_mul_f32_e32 v9, s30, v9
	s_delay_alu instid0(VALU_DEP_2) | instskip(NEXT) | instid1(VALU_DEP_1)
	v_fma_f32 v26, v8, s30, -v27
	v_dual_fmac_f32 v9, s31, v8 :: v_dual_add_f32 v8, v10, v26
	s_delay_alu instid0(VALU_DEP_1)
	v_add_f32_e32 v9, v13, v9
	v_mul_f32_e32 v10, s19, v25
	v_mul_f32_e32 v13, s18, v25
	global_store_b64 v[11:12], v[8:9], off offset:128
	global_load_b64 v[8:9], v[14:15], off offset:256
	v_fma_f32 v10, v24, s18, -v10
	v_fmac_f32_e32 v13, s19, v24
	s_wait_loadcnt 0x0
	v_mul_f32_e32 v25, s31, v9
	v_mul_f32_e32 v9, s30, v9
	s_delay_alu instid0(VALU_DEP_2) | instskip(NEXT) | instid1(VALU_DEP_2)
	v_fma_f32 v24, v8, s30, -v25
	v_fmac_f32_e32 v9, s31, v8
	s_delay_alu instid0(VALU_DEP_1)
	v_dual_add_f32 v8, v10, v24 :: v_dual_add_f32 v9, v13, v9
	v_mul_f32_e32 v10, s19, v23
	v_mul_f32_e32 v13, s18, v23
	global_store_b64 v[11:12], v[8:9], off offset:256
	global_load_b64 v[8:9], v[14:15], off offset:384
	v_fma_f32 v10, v22, s18, -v10
	s_wait_loadcnt 0x0
	v_dual_fmac_f32 v13, s19, v22 :: v_dual_mul_f32 v14, s31, v9
	v_mul_f32_e32 v9, s30, v9
	s_delay_alu instid0(VALU_DEP_2) | instskip(NEXT) | instid1(VALU_DEP_2)
	v_fma_f32 v14, v8, s30, -v14
	v_fmac_f32_e32 v9, s31, v8
	v_add_co_u32 v8, vcc_lo, 0x180, v11
	s_delay_alu instid0(VALU_DEP_3) | instskip(NEXT) | instid1(VALU_DEP_3)
	v_add_f32_e32 v14, v10, v14
	v_add_f32_e32 v10, v13, v9
	s_wait_alu 0xfffd
	v_add_co_ci_u32_e64 v9, null, 0, v12, vcc_lo
	global_store_b32 v[11:12], v14, off offset:384
	s_branch .LBB91_2
.LBB91_10:
	s_nop 0
	s_sendmsg sendmsg(MSG_DEALLOC_VGPRS)
	s_endpgm
	.section	.rodata,"a",@progbits
	.p2align	6, 0x0
	.amdhsa_kernel _ZN12_GLOBAL__N_127rocblas_gemm_batched_kernelI19rocblas_complex_numIfELi16ELi16ELi64ELi64ELi4ELi64ELi4ELi4ELi64ELc78ELc84EKS2_S3_S2_EEvlllT_PT11_llS6_llS4_PT12_llPT13_lli
		.amdhsa_group_segment_fixed_size 4096
		.amdhsa_private_segment_fixed_size 0
		.amdhsa_kernarg_size 140
		.amdhsa_user_sgpr_count 2
		.amdhsa_user_sgpr_dispatch_ptr 0
		.amdhsa_user_sgpr_queue_ptr 0
		.amdhsa_user_sgpr_kernarg_segment_ptr 1
		.amdhsa_user_sgpr_dispatch_id 0
		.amdhsa_user_sgpr_private_segment_size 0
		.amdhsa_wavefront_size32 1
		.amdhsa_uses_dynamic_stack 0
		.amdhsa_enable_private_segment 0
		.amdhsa_system_sgpr_workgroup_id_x 1
		.amdhsa_system_sgpr_workgroup_id_y 1
		.amdhsa_system_sgpr_workgroup_id_z 1
		.amdhsa_system_sgpr_workgroup_info 0
		.amdhsa_system_vgpr_workitem_id 1
		.amdhsa_next_free_vgpr 196
		.amdhsa_next_free_sgpr 39
		.amdhsa_reserve_vcc 1
		.amdhsa_float_round_mode_32 0
		.amdhsa_float_round_mode_16_64 0
		.amdhsa_float_denorm_mode_32 3
		.amdhsa_float_denorm_mode_16_64 3
		.amdhsa_fp16_overflow 0
		.amdhsa_workgroup_processor_mode 1
		.amdhsa_memory_ordered 1
		.amdhsa_forward_progress 1
		.amdhsa_inst_pref_size 43
		.amdhsa_round_robin_scheduling 0
		.amdhsa_exception_fp_ieee_invalid_op 0
		.amdhsa_exception_fp_denorm_src 0
		.amdhsa_exception_fp_ieee_div_zero 0
		.amdhsa_exception_fp_ieee_overflow 0
		.amdhsa_exception_fp_ieee_underflow 0
		.amdhsa_exception_fp_ieee_inexact 0
		.amdhsa_exception_int_div_zero 0
	.end_amdhsa_kernel
	.section	.text._ZN12_GLOBAL__N_127rocblas_gemm_batched_kernelI19rocblas_complex_numIfELi16ELi16ELi64ELi64ELi4ELi64ELi4ELi4ELi64ELc78ELc84EKS2_S3_S2_EEvlllT_PT11_llS6_llS4_PT12_llPT13_lli,"axG",@progbits,_ZN12_GLOBAL__N_127rocblas_gemm_batched_kernelI19rocblas_complex_numIfELi16ELi16ELi64ELi64ELi4ELi64ELi4ELi4ELi64ELc78ELc84EKS2_S3_S2_EEvlllT_PT11_llS6_llS4_PT12_llPT13_lli,comdat
.Lfunc_end91:
	.size	_ZN12_GLOBAL__N_127rocblas_gemm_batched_kernelI19rocblas_complex_numIfELi16ELi16ELi64ELi64ELi4ELi64ELi4ELi4ELi64ELc78ELc84EKS2_S3_S2_EEvlllT_PT11_llS6_llS4_PT12_llPT13_lli, .Lfunc_end91-_ZN12_GLOBAL__N_127rocblas_gemm_batched_kernelI19rocblas_complex_numIfELi16ELi16ELi64ELi64ELi4ELi64ELi4ELi4ELi64ELc78ELc84EKS2_S3_S2_EEvlllT_PT11_llS6_llS4_PT12_llPT13_lli
                                        ; -- End function
	.set _ZN12_GLOBAL__N_127rocblas_gemm_batched_kernelI19rocblas_complex_numIfELi16ELi16ELi64ELi64ELi4ELi64ELi4ELi4ELi64ELc78ELc84EKS2_S3_S2_EEvlllT_PT11_llS6_llS4_PT12_llPT13_lli.num_vgpr, 196
	.set _ZN12_GLOBAL__N_127rocblas_gemm_batched_kernelI19rocblas_complex_numIfELi16ELi16ELi64ELi64ELi4ELi64ELi4ELi4ELi64ELc78ELc84EKS2_S3_S2_EEvlllT_PT11_llS6_llS4_PT12_llPT13_lli.num_agpr, 0
	.set _ZN12_GLOBAL__N_127rocblas_gemm_batched_kernelI19rocblas_complex_numIfELi16ELi16ELi64ELi64ELi4ELi64ELi4ELi4ELi64ELc78ELc84EKS2_S3_S2_EEvlllT_PT11_llS6_llS4_PT12_llPT13_lli.numbered_sgpr, 39
	.set _ZN12_GLOBAL__N_127rocblas_gemm_batched_kernelI19rocblas_complex_numIfELi16ELi16ELi64ELi64ELi4ELi64ELi4ELi4ELi64ELc78ELc84EKS2_S3_S2_EEvlllT_PT11_llS6_llS4_PT12_llPT13_lli.num_named_barrier, 0
	.set _ZN12_GLOBAL__N_127rocblas_gemm_batched_kernelI19rocblas_complex_numIfELi16ELi16ELi64ELi64ELi4ELi64ELi4ELi4ELi64ELc78ELc84EKS2_S3_S2_EEvlllT_PT11_llS6_llS4_PT12_llPT13_lli.private_seg_size, 0
	.set _ZN12_GLOBAL__N_127rocblas_gemm_batched_kernelI19rocblas_complex_numIfELi16ELi16ELi64ELi64ELi4ELi64ELi4ELi4ELi64ELc78ELc84EKS2_S3_S2_EEvlllT_PT11_llS6_llS4_PT12_llPT13_lli.uses_vcc, 1
	.set _ZN12_GLOBAL__N_127rocblas_gemm_batched_kernelI19rocblas_complex_numIfELi16ELi16ELi64ELi64ELi4ELi64ELi4ELi4ELi64ELc78ELc84EKS2_S3_S2_EEvlllT_PT11_llS6_llS4_PT12_llPT13_lli.uses_flat_scratch, 0
	.set _ZN12_GLOBAL__N_127rocblas_gemm_batched_kernelI19rocblas_complex_numIfELi16ELi16ELi64ELi64ELi4ELi64ELi4ELi4ELi64ELc78ELc84EKS2_S3_S2_EEvlllT_PT11_llS6_llS4_PT12_llPT13_lli.has_dyn_sized_stack, 0
	.set _ZN12_GLOBAL__N_127rocblas_gemm_batched_kernelI19rocblas_complex_numIfELi16ELi16ELi64ELi64ELi4ELi64ELi4ELi4ELi64ELc78ELc84EKS2_S3_S2_EEvlllT_PT11_llS6_llS4_PT12_llPT13_lli.has_recursion, 0
	.set _ZN12_GLOBAL__N_127rocblas_gemm_batched_kernelI19rocblas_complex_numIfELi16ELi16ELi64ELi64ELi4ELi64ELi4ELi4ELi64ELc78ELc84EKS2_S3_S2_EEvlllT_PT11_llS6_llS4_PT12_llPT13_lli.has_indirect_call, 0
	.section	.AMDGPU.csdata,"",@progbits
; Kernel info:
; codeLenInByte = 5492
; TotalNumSgprs: 41
; NumVgprs: 196
; ScratchSize: 0
; MemoryBound: 0
; FloatMode: 240
; IeeeMode: 1
; LDSByteSize: 4096 bytes/workgroup (compile time only)
; SGPRBlocks: 0
; VGPRBlocks: 24
; NumSGPRsForWavesPerEU: 41
; NumVGPRsForWavesPerEU: 196
; Occupancy: 7
; WaveLimiterHint : 1
; COMPUTE_PGM_RSRC2:SCRATCH_EN: 0
; COMPUTE_PGM_RSRC2:USER_SGPR: 2
; COMPUTE_PGM_RSRC2:TRAP_HANDLER: 0
; COMPUTE_PGM_RSRC2:TGID_X_EN: 1
; COMPUTE_PGM_RSRC2:TGID_Y_EN: 1
; COMPUTE_PGM_RSRC2:TGID_Z_EN: 1
; COMPUTE_PGM_RSRC2:TIDIG_COMP_CNT: 1
	.section	.text._ZN12_GLOBAL__N_127rocblas_gemm_batched_kernelI19rocblas_complex_numIfELi16ELi16ELi64ELi64ELi4ELi64ELi4ELi4ELi64ELc84ELc84EKS2_S3_S2_EEvlllT_PT11_llS6_llS4_PT12_llPT13_lli,"axG",@progbits,_ZN12_GLOBAL__N_127rocblas_gemm_batched_kernelI19rocblas_complex_numIfELi16ELi16ELi64ELi64ELi4ELi64ELi4ELi4ELi64ELc84ELc84EKS2_S3_S2_EEvlllT_PT11_llS6_llS4_PT12_llPT13_lli,comdat
	.globl	_ZN12_GLOBAL__N_127rocblas_gemm_batched_kernelI19rocblas_complex_numIfELi16ELi16ELi64ELi64ELi4ELi64ELi4ELi4ELi64ELc84ELc84EKS2_S3_S2_EEvlllT_PT11_llS6_llS4_PT12_llPT13_lli ; -- Begin function _ZN12_GLOBAL__N_127rocblas_gemm_batched_kernelI19rocblas_complex_numIfELi16ELi16ELi64ELi64ELi4ELi64ELi4ELi4ELi64ELc84ELc84EKS2_S3_S2_EEvlllT_PT11_llS6_llS4_PT12_llPT13_lli
	.p2align	8
	.type	_ZN12_GLOBAL__N_127rocblas_gemm_batched_kernelI19rocblas_complex_numIfELi16ELi16ELi64ELi64ELi4ELi64ELi4ELi4ELi64ELc84ELc84EKS2_S3_S2_EEvlllT_PT11_llS6_llS4_PT12_llPT13_lli,@function
_ZN12_GLOBAL__N_127rocblas_gemm_batched_kernelI19rocblas_complex_numIfELi16ELi16ELi64ELi64ELi4ELi64ELi4ELi4ELi64ELc84ELc84EKS2_S3_S2_EEvlllT_PT11_llS6_llS4_PT12_llPT13_lli: ; @_ZN12_GLOBAL__N_127rocblas_gemm_batched_kernelI19rocblas_complex_numIfELi16ELi16ELi64ELi64ELi4ELi64ELi4ELi4ELi64ELc84ELc84EKS2_S3_S2_EEvlllT_PT11_llS6_llS4_PT12_llPT13_lli
; %bb.0:
	s_load_b32 s33, s[0:1], 0x88
	s_lshr_b32 s2, ttmp7, 16
	s_wait_kmcnt 0x0
	s_cmp_ge_i32 s2, s33
	s_cbranch_scc1 .LBB92_10
; %bb.1:
	v_and_b32_e32 v12, 0x3ff, v0
	v_bfe_u32 v8, v0, 10, 10
	s_load_b128 s[28:31], s[0:1], 0x40
	s_lshl_b32 s3, ttmp7, 6
	s_clause 0x1
	s_load_b128 s[20:23], s[0:1], 0x10
	s_load_b256 s[4:11], s[0:1], 0x58
	s_and_b32 s38, s3, 0x3fffc0
	v_lshl_add_u32 v2, v8, 4, v12
	v_and_b32_e32 v6, 3, v0
	s_clause 0x2
	s_load_b256 s[12:19], s[0:1], 0x20
	s_load_b128 s[24:27], s[0:1], 0x78
	s_load_b64 s[34:35], s[0:1], 0x50
	v_add_nc_u32_e32 v10, s38, v8
	s_mov_b32 s36, ttmp9
	v_lshrrev_b32_e32 v3, 2, v2
	v_and_b32_e32 v9, 63, v2
	v_lshrrev_b32_e32 v13, 6, v2
	s_ashr_i32 s37, ttmp9, 31
	v_lshl_add_u32 v19, v8, 5, 0x800
	v_add_co_u32 v0, s3, v3, s38
	s_delay_alu instid0(VALU_DEP_1)
	v_add_co_ci_u32_e64 v1, null, 0, 0, s3
	s_lshl_b64 s[36:37], s[36:37], 6
	s_mov_b32 s3, 0
	s_wait_kmcnt 0x0
	v_mad_co_u64_u32 v[4:5], null, s28, v6, v[0:1]
	v_lshlrev_b32_e32 v1, 3, v6
	s_or_b32 s0, s34, s35
	s_delay_alu instid0(SALU_CYCLE_1) | instskip(NEXT) | instid1(VALU_DEP_2)
	s_bitset0_b32 s0, 31
	v_mov_b32_e32 v0, v5
	s_delay_alu instid0(VALU_DEP_2)
	v_lshl_or_b32 v1, v3, 5, v1
	v_lshlrev_b32_e32 v5, 3, v9
	s_cmp_eq_u32 s0, 0
	s_mul_i32 s0, s14, s37
	s_cselect_b32 s1, -1, 0
	v_mad_co_u64_u32 v[2:3], null, s29, v6, v[0:1]
	v_mad_co_u64_u32 v[6:7], null, v10, s6, 0
	v_lshl_or_b32 v17, v13, 9, v5
	v_add_nc_u32_e32 v18, 0x800, v1
	v_mad_co_u64_u32 v[0:1], null, v10, s24, 0
	s_delay_alu instid0(VALU_DEP_4) | instskip(SKIP_1) | instid1(VALU_DEP_2)
	v_dual_mov_b32 v5, v2 :: v_dual_mov_b32 v2, v7
	v_or_b32_e32 v7, s36, v9
	v_mad_co_u64_u32 v[2:3], null, v10, s7, v[2:3]
	s_delay_alu instid0(VALU_DEP_2) | instskip(SKIP_1) | instid1(VALU_DEP_3)
	v_mul_lo_u32 v14, s15, v7
	v_mad_co_u64_u32 v[8:9], null, s14, v7, 0
	v_mad_co_u64_u32 v[10:11], null, v10, s25, v[1:2]
	v_mov_b32_e32 v7, v2
	s_delay_alu instid0(VALU_DEP_3)
	v_add3_u32 v9, v9, s0, v14
	v_lshlrev_b32_e32 v16, 3, v12
	v_cmp_gt_i64_e64 s0, s[20:21], 0
	v_add_co_u32 v2, s14, s36, v12
	v_lshlrev_b64_e32 v[6:7], 3, v[6:7]
	v_lshlrev_b64_e32 v[8:9], 3, v[8:9]
	v_dual_mov_b32 v1, v10 :: v_dual_lshlrev_b32 v10, 3, v13
	s_wait_alu 0xf1ff
	v_add_co_ci_u32_e64 v3, null, s37, 0, s14
	s_delay_alu instid0(VALU_DEP_4) | instskip(NEXT) | instid1(VALU_DEP_1)
	v_add_co_u32 v20, vcc_lo, s4, v6
	v_add_co_ci_u32_e64 v21, null, s5, v7, vcc_lo
	v_add_co_u32 v8, vcc_lo, v8, v10
	v_lshlrev_b64_e32 v[6:7], 3, v[4:5]
	s_wait_alu 0xfffd
	v_add_co_ci_u32_e64 v9, null, 0, v9, vcc_lo
	s_delay_alu instid0(VALU_DEP_3) | instskip(SKIP_2) | instid1(VALU_DEP_3)
	v_add_co_u32 v4, vcc_lo, s12, v8
	v_cndmask_b32_e64 v8, 0, 1, s0
	s_wait_alu 0xfffd
	v_add_co_ci_u32_e64 v5, null, s13, v9, vcc_lo
	v_add_co_u32 v6, vcc_lo, s18, v6
	s_wait_alu 0xfffd
	v_add_co_ci_u32_e64 v7, null, s19, v7, vcc_lo
	v_cmp_ne_u32_e64 s0, 1, v8
	s_lshl_b64 s[24:25], s[24:25], 4
	s_lshl_b64 s[14:15], s[6:7], 4
	;; [unrolled: 1-line block ×5, first 2 shown]
	s_wait_alu 0xfffe
	s_lshl_b64 s[14:15], s[14:15], 3
	s_lshl_b64 s[16:17], s[24:25], 3
	s_branch .LBB92_3
.LBB92_2:                               ;   in Loop: Header=BB92_3 Depth=1
	s_add_co_i32 s2, s2, 0x10000
	global_store_b32 v[8:9], v10, off offset:4
	s_wait_alu 0xfffe
	s_cmp_lt_i32 s2, s33
	s_cbranch_scc0 .LBB92_10
.LBB92_3:                               ; =>This Loop Header: Depth=1
                                        ;     Child Loop BB92_5 Depth 2
	v_dual_mov_b32 v52, 0 :: v_dual_mov_b32 v53, 0
	v_dual_mov_b32 v50, 0 :: v_dual_mov_b32 v51, 0
	;; [unrolled: 1-line block ×16, first 2 shown]
	s_and_b32 vcc_lo, exec_lo, s0
	s_wait_alu 0xfffe
	s_cbranch_vccnz .LBB92_6
; %bb.4:                                ;   in Loop: Header=BB92_3 Depth=1
	v_mad_co_u64_u32 v[8:9], null, s4, s2, v[4:5]
	v_mad_co_u64_u32 v[10:11], null, s6, s2, v[6:7]
	v_dual_mov_b32 v23, 0 :: v_dual_mov_b32 v22, 0
	v_dual_mov_b32 v25, 0 :: v_dual_mov_b32 v24, 0
	v_dual_mov_b32 v27, 0 :: v_dual_mov_b32 v26, 0
	s_delay_alu instid0(VALU_DEP_4) | instskip(SKIP_3) | instid1(VALU_DEP_4)
	v_mad_co_u64_u32 v[12:13], null, s5, s2, v[9:10]
	v_dual_mov_b32 v29, 0 :: v_dual_mov_b32 v28, 0
	v_dual_mov_b32 v31, 0 :: v_dual_mov_b32 v30, 0
	;; [unrolled: 1-line block ×3, first 2 shown]
	v_mad_co_u64_u32 v[13:14], null, s7, s2, v[11:12]
	v_dual_mov_b32 v9, v12 :: v_dual_mov_b32 v32, 0
	v_dual_mov_b32 v35, 0 :: v_dual_mov_b32 v38, 0
	;; [unrolled: 1-line block ×3, first 2 shown]
	s_delay_alu instid0(VALU_DEP_4)
	v_dual_mov_b32 v40, 0 :: v_dual_mov_b32 v11, v13
	v_dual_mov_b32 v39, 0 :: v_dual_mov_b32 v42, 0
	;; [unrolled: 1-line block ×7, first 2 shown]
	v_mov_b32_e32 v51, 0
	v_mov_b32_e32 v53, 0
	s_mov_b64 s[18:19], 0
.LBB92_5:                               ;   Parent Loop BB92_3 Depth=1
                                        ; =>  This Inner Loop Header: Depth=2
	global_load_b64 v[12:13], v[8:9], off
	global_load_b64 v[14:15], v[10:11], off
	s_wait_alu 0xfffe
	s_add_nc_u64 s[18:19], s[18:19], 4
	v_add_co_u32 v8, vcc_lo, v8, 32
	s_wait_alu 0xfffe
	v_cmp_lt_i64_e64 s24, s[18:19], s[20:21]
	s_wait_alu 0xfffd
	v_add_co_ci_u32_e64 v9, null, 0, v9, vcc_lo
	v_add_co_u32 v10, vcc_lo, v10, s12
	s_wait_alu 0xfffd
	v_add_co_ci_u32_e64 v11, null, s13, v11, vcc_lo
	s_and_b32 vcc_lo, exec_lo, s24
	s_wait_loadcnt 0x1
	ds_store_b64 v17, v[12:13]
	s_wait_loadcnt 0x0
	ds_store_b64 v18, v[14:15]
	s_wait_dscnt 0x0
	s_barrier_signal -1
	s_barrier_wait -1
	global_inv scope:SCOPE_SE
	ds_load_2addr_b64 v[12:15], v16 offset1:16
	ds_load_b128 v[54:57], v19
	ds_load_b128 v[58:61], v19 offset:16
	ds_load_b128 v[62:65], v19 offset:512
	;; [unrolled: 1-line block ×7, first 2 shown]
	ds_load_2addr_b64 v[86:89], v16 offset0:32 offset1:48
	ds_load_2addr_b64 v[90:93], v16 offset0:64 offset1:80
	;; [unrolled: 1-line block ×7, first 2 shown]
	s_wait_loadcnt_dscnt 0x0
	s_barrier_signal -1
	s_barrier_wait -1
	global_inv scope:SCOPE_SE
	v_dual_mul_f32 v114, v55, v13 :: v_dual_mul_f32 v117, v54, v15
	v_dual_mul_f32 v115, v54, v13 :: v_dual_mul_f32 v116, v55, v15
	v_dual_mul_f32 v118, v63, v13 :: v_dual_mul_f32 v121, v62, v15
	v_dual_mul_f32 v119, v62, v13 :: v_dual_mul_f32 v120, v63, v15
	v_dual_mul_f32 v122, v71, v13 :: v_dual_mul_f32 v125, v70, v15
	v_dual_mul_f32 v123, v70, v13 :: v_dual_mul_f32 v124, v71, v15
	v_mul_f32_e32 v126, v79, v13
	v_dual_mul_f32 v13, v78, v13 :: v_dual_mul_f32 v128, v55, v87
	v_dual_mul_f32 v127, v79, v15 :: v_dual_mul_f32 v144, v57, v93
	;; [unrolled: 1-line block ×9, first 2 shown]
	v_mul_f32_e32 v15, v78, v15
	v_dual_mul_f32 v87, v78, v87 :: v_dual_mul_f32 v148, v57, v97
	v_dual_mul_f32 v89, v78, v89 :: v_dual_mul_f32 v146, v57, v95
	;; [unrolled: 1-line block ×19, first 2 shown]
	v_mul_f32_e32 v181, v74, v101
	v_fma_f32 v114, v54, v12, -v114
	v_fmac_f32_e32 v115, v55, v12
	v_fma_f32 v116, v54, v14, -v116
	v_fmac_f32_e32 v117, v55, v14
	;; [unrolled: 2-line block ×7, first 2 shown]
	v_fma_f32 v12, v78, v14, -v127
	v_fma_f32 v128, v54, v86, -v128
	v_dual_fmac_f32 v129, v55, v86 :: v_dual_mul_f32 v194, v77, v113
	v_fma_f32 v54, v54, v88, -v130
	v_fmac_f32_e32 v131, v55, v88
	v_fma_f32 v55, v62, v86, -v132
	v_fmac_f32_e32 v133, v63, v86
	;; [unrolled: 2-line block ×3, first 2 shown]
	v_fmac_f32_e32 v139, v71, v88
	v_fma_f32 v71, v78, v86, -v140
	v_fma_f32 v78, v78, v88, -v141
	;; [unrolled: 1-line block ×3, first 2 shown]
	v_dual_mul_f32 v144, v60, v107 :: v_dual_fmac_f32 v135, v63, v88
	v_fma_f32 v63, v70, v86, -v136
	v_fma_f32 v70, v70, v88, -v138
	v_dual_mul_f32 v97, v80, v97 :: v_dual_mul_f32 v182, v83, v99
	v_dual_mul_f32 v171, v58, v99 :: v_dual_mul_f32 v188, v67, v105
	;; [unrolled: 1-line block ×3, first 2 shown]
	v_mul_f32_e32 v175, v66, v99
	v_mul_f32_e32 v177, v66, v101
	v_dual_mul_f32 v179, v74, v99 :: v_dual_mul_f32 v138, v83, v105
	v_mul_f32_e32 v99, v82, v99
	v_mul_f32_e32 v183, v83, v101
	;; [unrolled: 1-line block ×5, first 2 shown]
	v_dual_fmac_f32 v15, v79, v14 :: v_dual_mul_f32 v190, v77, v107
	v_mul_f32_e32 v14, v67, v103
	v_dual_mul_f32 v127, v66, v103 :: v_dual_mul_f32 v192, v77, v109
	v_mul_f32_e32 v189, v66, v105
	v_fmac_f32_e32 v87, v79, v86
	v_dual_fmac_f32 v89, v79, v88 :: v_dual_mul_f32 v86, v74, v103
	v_mul_f32_e32 v88, v75, v105
	v_mul_f32_e32 v130, v74, v105
	v_fma_f32 v132, v56, v90, -v142
	v_fmac_f32_e32 v143, v57, v90
	v_dual_fmac_f32 v145, v57, v92 :: v_dual_fmac_f32 v86, v75, v102
	v_fma_f32 v136, v56, v94, -v146
	v_dual_fmac_f32 v147, v57, v94 :: v_dual_add_f32 v50, v50, v116
	v_fma_f32 v56, v56, v96, -v148
	v_dual_fmac_f32 v149, v57, v96 :: v_dual_add_f32 v52, v52, v114
	v_dual_mul_f32 v105, v82, v105 :: v_dual_add_f32 v48, v48, v128
	v_fma_f32 v140, v64, v90, -v150
	v_dual_fmac_f32 v151, v65, v90 :: v_dual_add_f32 v42, v42, v120
	v_fma_f32 v141, v64, v92, -v152
	v_dual_fmac_f32 v153, v65, v92 :: v_dual_add_f32 v46, v46, v54
	v_fma_f32 v142, v64, v94, -v154
	v_dual_fmac_f32 v155, v65, v94 :: v_dual_add_f32 v40, v40, v55
	v_fma_f32 v64, v64, v96, -v156
	v_dual_fmac_f32 v157, v65, v96 :: v_dual_add_f32 v44, v44, v118
	v_dual_mul_f32 v65, v61, v107 :: v_dual_add_f32 v38, v38, v62
	v_mul_f32_e32 v146, v61, v109
	v_mul_f32_e32 v148, v60, v109
	v_fma_f32 v150, v72, v90, -v158
	v_dual_fmac_f32 v159, v73, v90 :: v_dual_add_f32 v34, v34, v124
	v_fma_f32 v152, v72, v92, -v160
	v_dual_fmac_f32 v161, v73, v92 :: v_dual_add_f32 v36, v36, v122
	;; [unrolled: 2-line block ×4, first 2 shown]
	v_dual_mul_f32 v73, v61, v111 :: v_dual_add_f32 v28, v28, v126
	v_mul_f32_e32 v156, v60, v111
	v_mul_f32_e32 v160, v60, v113
	v_fma_f32 v162, v80, v90, -v166
	v_dual_fmac_f32 v91, v81, v90 :: v_dual_add_f32 v12, v26, v12
	v_fma_f32 v90, v80, v92, -v167
	v_dual_fmac_f32 v93, v81, v92 :: v_dual_add_f32 v24, v24, v71
	v_mul_f32_e32 v164, v68, v107
	v_mul_f32_e32 v79, v75, v103
	v_dual_mul_f32 v167, v68, v109 :: v_dual_add_f32 v22, v22, v78
	v_fma_f32 v168, v80, v94, -v168
	v_dual_fmac_f32 v95, v81, v94 :: v_dual_add_f32 v26, v52, v132
	v_fma_f32 v80, v80, v96, -v169
	v_mul_f32_e32 v94, v68, v111
	v_mul_f32_e32 v57, v83, v103
	v_dual_mul_f32 v103, v82, v103 :: v_dual_mul_f32 v158, v61, v113
	v_mul_f32_e32 v92, v69, v107
	v_mul_f32_e32 v166, v69, v109
	v_dual_mul_f32 v169, v68, v113 :: v_dual_add_f32 v46, v46, v56
	v_dual_mul_f32 v191, v76, v107 :: v_dual_add_f32 v42, v42, v141
	;; [unrolled: 1-line block ×3, first 2 shown]
	v_fma_f32 v170, v58, v98, -v170
	v_dual_fmac_f32 v171, v59, v98 :: v_dual_add_f32 v44, v44, v140
	v_fma_f32 v172, v58, v100, -v172
	v_dual_fmac_f32 v173, v59, v100 :: v_dual_add_f32 v40, v40, v142
	;; [unrolled: 2-line block ×8, first 2 shown]
	v_mul_f32_e32 v100, v77, v111
	v_dual_mul_f32 v183, v76, v111 :: v_dual_add_f32 v22, v22, v80
	v_dual_mul_f32 v195, v76, v113 :: v_dual_add_f32 v26, v26, v170
	v_fma_f32 v184, v58, v102, -v184
	v_fma_f32 v58, v58, v104, -v186
	v_dual_fmac_f32 v187, v59, v104 :: v_dual_add_f32 v12, v12, v90
	v_fma_f32 v14, v66, v102, -v14
	v_dual_fmac_f32 v127, v67, v102 :: v_dual_add_f32 v42, v42, v176
	s_delay_alu instid0(VALU_DEP_4)
	v_dual_fmac_f32 v189, v67, v104 :: v_dual_add_f32 v46, v46, v58
	v_fma_f32 v67, v74, v104, -v88
	v_fmac_f32_e32 v130, v75, v104
	v_dual_fmac_f32 v105, v83, v104 :: v_dual_add_f32 v44, v44, v174
	v_dual_mul_f32 v75, v85, v107 :: v_dual_add_f32 v14, v40, v14
	v_fmac_f32_e32 v144, v61, v106
	v_fma_f32 v88, v60, v108, -v146
	v_fmac_f32_e32 v148, v61, v108
	v_fmac_f32_e32 v156, v61, v110
	;; [unrolled: 1-line block ×3, first 2 shown]
	v_dual_mul_f32 v61, v85, v111 :: v_dual_add_f32 v36, v36, v178
	v_fmac_f32_e32 v164, v69, v106
	v_fmac_f32_e32 v94, v69, v110
	v_fma_f32 v57, v82, v102, -v57
	v_add_f32_e32 v51, v51, v117
	v_fmac_f32_e32 v97, v81, v96
	v_dual_mul_f32 v81, v69, v111 :: v_dual_add_f32 v48, v48, v136
	v_dual_mul_f32 v96, v69, v113 :: v_dual_fmac_f32 v185, v59, v102
	v_fma_f32 v59, v66, v104, -v188
	v_fma_f32 v66, v74, v102, -v79
	;; [unrolled: 1-line block ×3, first 2 shown]
	v_mul_f32_e32 v82, v85, v109
	v_dual_mul_f32 v104, v85, v113 :: v_dual_fmac_f32 v103, v83, v102
	v_add_f32_e32 v38, v38, v59
	v_dual_mul_f32 v79, v84, v107 :: v_dual_add_f32 v34, v34, v180
	v_dual_mul_f32 v83, v84, v109 :: v_dual_add_f32 v30, v30, v67
	v_fma_f32 v65, v60, v106, -v65
	v_fma_f32 v73, v60, v110, -v73
	v_mul_f32_e32 v102, v84, v111
	v_dual_mul_f32 v107, v84, v113 :: v_dual_add_f32 v22, v22, v74
	v_fma_f32 v92, v68, v106, -v92
	v_fma_f32 v109, v68, v108, -v166
	v_dual_fmac_f32 v167, v69, v108 :: v_dual_add_f32 v32, v32, v66
	v_fma_f32 v81, v68, v110, -v81
	v_fma_f32 v68, v68, v112, -v96
	v_dual_fmac_f32 v169, v69, v112 :: v_dual_add_f32 v28, v28, v182
	v_fma_f32 v69, v76, v106, -v190
	v_dual_fmac_f32 v191, v77, v106 :: v_dual_add_f32 v24, v24, v57
	;; [unrolled: 2-line block ×4, first 2 shown]
	v_fma_f32 v76, v76, v112, -v194
	v_fma_f32 v75, v84, v106, -v75
	;; [unrolled: 1-line block ×3, first 2 shown]
	v_dual_add_f32 v53, v53, v115 :: v_dual_add_f32 v44, v44, v92
	v_dual_add_f32 v49, v49, v129 :: v_dual_add_f32 v38, v38, v68
	;; [unrolled: 1-line block ×8, first 2 shown]
	v_add_f32_e32 v31, v31, v139
	v_add_f32_e32 v13, v29, v13
	;; [unrolled: 1-line block ×4, first 2 shown]
	v_dual_add_f32 v23, v23, v89 :: v_dual_add_f32 v48, v48, v184
	v_fmac_f32_e32 v195, v77, v112
	v_fma_f32 v77, v84, v108, -v82
	v_fma_f32 v82, v84, v112, -v104
	v_add_f32_e32 v39, v39, v135
	v_add_f32_e32 v33, v33, v137
	;; [unrolled: 1-line block ×3, first 2 shown]
	v_dual_add_f32 v29, v50, v134 :: v_dual_add_f32 v50, v51, v145
	v_add_f32_e32 v49, v49, v147
	v_add_f32_e32 v47, v47, v149
	;; [unrolled: 1-line block ×13, first 2 shown]
	v_dual_add_f32 v39, v39, v157 :: v_dual_add_f32 v22, v22, v82
	v_add_f32_e32 v33, v33, v163
	v_fma_f32 v60, v60, v112, -v158
	v_fmac_f32_e32 v79, v85, v106
	v_dual_fmac_f32 v83, v85, v108 :: v_dual_add_f32 v42, v42, v109
	v_fmac_f32_e32 v102, v85, v110
	v_dual_fmac_f32 v107, v85, v112 :: v_dual_add_f32 v40, v14, v81
	v_add_f32_e32 v27, v27, v171
	v_add_f32_e32 v29, v29, v172
	;; [unrolled: 1-line block ×19, first 2 shown]
	v_dual_add_f32 v51, v51, v148 :: v_dual_add_f32 v48, v48, v73
	v_add_f32_e32 v49, v49, v156
	v_add_f32_e32 v46, v46, v60
	;; [unrolled: 1-line block ×15, first 2 shown]
	s_wait_alu 0xfffe
	s_cbranch_vccnz .LBB92_5
.LBB92_6:                               ;   in Loop: Header=BB92_3 Depth=1
	s_mul_u64 s[18:19], s[26:27], s[2:3]
	s_and_not1_b32 vcc_lo, exec_lo, s1
	s_wait_alu 0xfffe
	s_lshl_b64 s[18:19], s[18:19], 3
	s_mov_b32 s24, -1
	s_wait_alu 0xfffe
	s_add_nc_u64 s[18:19], s[10:11], s[18:19]
                                        ; implicit-def: $vgpr10
                                        ; implicit-def: $vgpr8_vgpr9
	s_cbranch_vccz .LBB92_8
; %bb.7:                                ;   in Loop: Header=BB92_3 Depth=1
	s_and_not1_b32 vcc_lo, exec_lo, s24
	s_wait_alu 0xfffe
	s_cbranch_vccnz .LBB92_2
	s_branch .LBB92_9
.LBB92_8:                               ;   in Loop: Header=BB92_3 Depth=1
	v_lshlrev_b64_e32 v[8:9], 3, v[0:1]
	v_lshlrev_b64_e32 v[11:12], 3, v[2:3]
	v_dual_mul_f32 v10, s22, v53 :: v_dual_mul_f32 v55, s22, v51
	v_dual_mul_f32 v13, s23, v53 :: v_dual_mul_f32 v54, s23, v51
	v_mul_f32_e32 v57, s22, v49
	s_wait_alu 0xfffe
	v_add_co_u32 v8, vcc_lo, s18, v8
	s_wait_alu 0xfffd
	v_add_co_ci_u32_e64 v15, null, s19, v9, vcc_lo
	v_dual_mul_f32 v56, s23, v49 :: v_dual_mul_f32 v59, s22, v47
	v_fmac_f32_e32 v10, s23, v52
	v_fma_f32 v9, v52, s22, -v13
	v_add_co_u32 v13, vcc_lo, v8, v11
	v_dual_mul_f32 v58, s23, v47 :: v_dual_fmac_f32 v55, s23, v50
	s_wait_alu 0xfffd
	v_add_co_ci_u32_e64 v14, null, v15, v12, vcc_lo
	v_fma_f32 v54, v50, s22, -v54
	v_fma_f32 v56, v48, s22, -v56
	v_fmac_f32_e32 v57, s23, v48
	v_fma_f32 v58, v46, s22, -v58
	v_fmac_f32_e32 v59, s23, v46
	s_clause 0x3
	global_store_b64 v[13:14], v[9:10], off
	global_store_b64 v[13:14], v[54:55], off offset:128
	global_store_b64 v[13:14], v[56:57], off offset:256
	global_store_b64 v[13:14], v[58:59], off offset:384
	v_mul_f32_e32 v10, s23, v45
	v_dual_mul_f32 v9, s22, v45 :: v_dual_mul_f32 v58, s23, v39
	v_add_co_u32 v60, vcc_lo, v8, s16
	s_delay_alu instid0(VALU_DEP_3) | instskip(NEXT) | instid1(VALU_DEP_3)
	v_fma_f32 v8, v44, s22, -v10
	v_dual_mul_f32 v10, s23, v43 :: v_dual_fmac_f32 v9, s23, v44
	s_wait_alu 0xfffd
	v_add_co_ci_u32_e64 v15, null, s17, v15, vcc_lo
	v_mul_f32_e32 v55, s22, v43
	s_delay_alu instid0(VALU_DEP_3) | instskip(SKIP_4) | instid1(VALU_DEP_3)
	v_fma_f32 v54, v42, s22, -v10
	v_mul_f32_e32 v10, s23, v41
	v_add_co_u32 v13, vcc_lo, v60, v11
	s_wait_alu 0xfffd
	v_add_co_ci_u32_e64 v14, null, v15, v12, vcc_lo
	v_fma_f32 v56, v40, s22, -v10
	v_mul_f32_e32 v10, s23, v37
	v_mul_f32_e32 v57, s22, v41
	v_add_co_u32 v70, vcc_lo, v60, s16
	v_mul_f32_e32 v59, s22, v39
	s_delay_alu instid0(VALU_DEP_4) | instskip(SKIP_4) | instid1(VALU_DEP_3)
	v_fma_f32 v60, v36, s22, -v10
	v_dual_mul_f32 v10, s23, v35 :: v_dual_mul_f32 v61, s22, v37
	s_wait_alu 0xfffd
	v_add_co_ci_u32_e64 v15, null, s17, v15, vcc_lo
	v_dual_fmac_f32 v55, s23, v42 :: v_dual_mul_f32 v68, s23, v31
	v_fma_f32 v64, v34, s22, -v10
	v_dual_mul_f32 v65, s22, v35 :: v_dual_mul_f32 v10, s23, v33
	v_mul_f32_e32 v67, s22, v33
	v_mul_f32_e32 v69, s22, v31
	v_fmac_f32_e32 v57, s23, v40
	v_add_co_u32 v62, vcc_lo, v70, v11
	v_fma_f32 v58, v38, s22, -v58
	v_fmac_f32_e32 v59, s23, v38
	v_fmac_f32_e32 v61, s23, v36
	s_wait_alu 0xfffd
	v_add_co_ci_u32_e64 v63, null, v15, v12, vcc_lo
	v_fmac_f32_e32 v65, s23, v34
	v_fma_f32 v66, v32, s22, -v10
	v_fmac_f32_e32 v67, s23, v32
	v_fma_f32 v68, v30, s22, -v68
	v_fmac_f32_e32 v69, s23, v30
	s_clause 0x7
	global_store_b64 v[13:14], v[8:9], off
	global_store_b64 v[13:14], v[54:55], off offset:128
	global_store_b64 v[13:14], v[56:57], off offset:256
	;; [unrolled: 1-line block ×3, first 2 shown]
	global_store_b64 v[62:63], v[60:61], off
	global_store_b64 v[62:63], v[64:65], off offset:128
	global_store_b64 v[62:63], v[66:67], off offset:256
	;; [unrolled: 1-line block ×3, first 2 shown]
	v_mul_f32_e32 v8, s23, v29
	v_add_co_u32 v9, vcc_lo, v70, s16
	s_wait_alu 0xfffd
	v_add_co_ci_u32_e64 v10, null, s17, v15, vcc_lo
	s_delay_alu instid0(VALU_DEP_3)
	v_fma_f32 v13, v28, s22, -v8
	v_mul_f32_e32 v8, s23, v27
	v_add_co_u32 v11, vcc_lo, v9, v11
	v_mul_f32_e32 v14, s22, v29
	s_wait_alu 0xfffd
	v_add_co_ci_u32_e64 v12, null, v10, v12, vcc_lo
	v_fma_f32 v54, v26, s22, -v8
	v_dual_mul_f32 v8, s23, v25 :: v_dual_mul_f32 v9, s23, v23
	v_mul_f32_e32 v10, s22, v23
	v_mul_f32_e32 v55, s22, v27
	;; [unrolled: 1-line block ×3, first 2 shown]
	s_delay_alu instid0(VALU_DEP_4)
	v_fma_f32 v56, v24, s22, -v8
	v_add_co_u32 v8, vcc_lo, 0x180, v11
	v_fmac_f32_e32 v14, s23, v28
	v_fma_f32 v15, v22, s22, -v9
	v_fmac_f32_e32 v10, s23, v22
	s_wait_alu 0xfffd
	v_add_co_ci_u32_e64 v9, null, 0, v12, vcc_lo
	v_fmac_f32_e32 v55, s23, v26
	v_fmac_f32_e32 v57, s23, v24
	s_clause 0x3
	global_store_b64 v[11:12], v[13:14], off
	global_store_b64 v[11:12], v[54:55], off offset:128
	global_store_b64 v[11:12], v[56:57], off offset:256
	global_store_b32 v[11:12], v15, off offset:384
	s_cbranch_execnz .LBB92_2
.LBB92_9:                               ;   in Loop: Header=BB92_3 Depth=1
	s_mul_u64 s[24:25], s[8:9], s[2:3]
	v_lshlrev_b64_e32 v[8:9], 3, v[2:3]
	s_wait_alu 0xfffe
	s_lshl_b64 s[24:25], s[24:25], 3
	v_mul_f32_e32 v56, s23, v53
	s_wait_alu 0xfffe
	v_add_co_u32 v54, vcc_lo, v20, s24
	s_wait_alu 0xfffd
	v_add_co_ci_u32_e64 v55, null, s25, v21, vcc_lo
	v_mul_f32_e32 v53, s22, v53
	s_delay_alu instid0(VALU_DEP_3) | instskip(SKIP_1) | instid1(VALU_DEP_3)
	v_add_co_u32 v10, vcc_lo, v54, v8
	s_wait_alu 0xfffd
	v_add_co_ci_u32_e64 v11, null, v55, v9, vcc_lo
	v_lshlrev_b64_e32 v[14:15], 3, v[0:1]
	v_fmac_f32_e32 v53, s23, v52
	v_fma_f32 v56, v52, s22, -v56
	global_load_b64 v[12:13], v[10:11], off
	v_add_co_u32 v58, vcc_lo, s18, v14
	s_wait_alu 0xfffd
	v_add_co_ci_u32_e64 v59, null, s19, v15, vcc_lo
	s_wait_loadcnt 0x0
	v_mul_f32_e32 v57, s34, v13
	s_delay_alu instid0(VALU_DEP_1) | instskip(NEXT) | instid1(VALU_DEP_1)
	v_dual_mul_f32 v52, s35, v13 :: v_dual_fmac_f32 v57, s35, v12
	v_fma_f32 v14, v12, s34, -v52
	v_mul_f32_e32 v52, s23, v51
	v_add_co_u32 v12, vcc_lo, v58, v8
	s_wait_alu 0xfffd
	v_add_co_ci_u32_e64 v13, null, v59, v9, vcc_lo
	v_add_f32_e32 v14, v56, v14
	v_fma_f32 v52, v50, s22, -v52
	v_add_f32_e32 v15, v53, v57
	v_mul_f32_e32 v51, s22, v51
	global_store_b64 v[12:13], v[14:15], off
	global_load_b64 v[14:15], v[10:11], off offset:128
	v_fmac_f32_e32 v51, s23, v50
	s_wait_loadcnt 0x0
	v_mul_f32_e32 v53, s35, v15
	v_mul_f32_e32 v15, s34, v15
	s_delay_alu instid0(VALU_DEP_2) | instskip(NEXT) | instid1(VALU_DEP_2)
	v_fma_f32 v50, v14, s34, -v53
	v_fmac_f32_e32 v15, s35, v14
	s_delay_alu instid0(VALU_DEP_1)
	v_dual_add_f32 v14, v52, v50 :: v_dual_add_f32 v15, v51, v15
	v_mul_f32_e32 v50, s23, v49
	v_mul_f32_e32 v49, s22, v49
	global_store_b64 v[12:13], v[14:15], off offset:128
	global_load_b64 v[14:15], v[10:11], off offset:256
	v_fma_f32 v50, v48, s22, -v50
	v_fmac_f32_e32 v49, s23, v48
	s_wait_loadcnt 0x0
	v_mul_f32_e32 v51, s35, v15
	v_mul_f32_e32 v15, s34, v15
	s_delay_alu instid0(VALU_DEP_2) | instskip(NEXT) | instid1(VALU_DEP_1)
	v_fma_f32 v48, v14, s34, -v51
	v_dual_fmac_f32 v15, s35, v14 :: v_dual_add_f32 v14, v50, v48
	s_delay_alu instid0(VALU_DEP_1) | instskip(SKIP_4) | instid1(VALU_DEP_2)
	v_add_f32_e32 v15, v49, v15
	global_store_b64 v[12:13], v[14:15], off offset:256
	global_load_b64 v[10:11], v[10:11], off offset:384
	v_mul_f32_e32 v14, s23, v47
	v_mul_f32_e32 v15, s22, v47
	v_fma_f32 v14, v46, s22, -v14
	s_delay_alu instid0(VALU_DEP_2) | instskip(SKIP_3) | instid1(VALU_DEP_2)
	v_fmac_f32_e32 v15, s23, v46
	s_wait_loadcnt 0x0
	v_mul_f32_e32 v47, s35, v11
	v_mul_f32_e32 v11, s34, v11
	v_fma_f32 v46, v10, s34, -v47
	v_add_co_u32 v47, vcc_lo, v54, s14
	s_delay_alu instid0(VALU_DEP_3)
	v_fmac_f32_e32 v11, s35, v10
	s_wait_alu 0xfffd
	v_add_co_ci_u32_e64 v48, null, s15, v55, vcc_lo
	v_add_f32_e32 v10, v14, v46
	v_add_co_u32 v14, vcc_lo, v47, v8
	v_add_f32_e32 v11, v15, v11
	s_wait_alu 0xfffd
	v_add_co_ci_u32_e64 v15, null, v48, v9, vcc_lo
	v_add_co_u32 v46, vcc_lo, v58, s16
	global_store_b64 v[12:13], v[10:11], off offset:384
	global_load_b64 v[10:11], v[14:15], off
	v_mul_f32_e32 v12, s23, v45
	v_mul_f32_e32 v13, s22, v45
	s_wait_alu 0xfffd
	v_add_co_ci_u32_e64 v49, null, s17, v59, vcc_lo
	s_delay_alu instid0(VALU_DEP_3) | instskip(SKIP_3) | instid1(VALU_DEP_2)
	v_fma_f32 v12, v44, s22, -v12
	s_wait_loadcnt 0x0
	v_dual_fmac_f32 v13, s23, v44 :: v_dual_mul_f32 v44, s35, v11
	v_mul_f32_e32 v45, s34, v11
	v_fma_f32 v44, v10, s34, -v44
	s_delay_alu instid0(VALU_DEP_2) | instskip(SKIP_3) | instid1(VALU_DEP_3)
	v_fmac_f32_e32 v45, s35, v10
	v_add_co_u32 v10, vcc_lo, v46, v8
	s_wait_alu 0xfffd
	v_add_co_ci_u32_e64 v11, null, v49, v9, vcc_lo
	v_dual_add_f32 v12, v12, v44 :: v_dual_add_f32 v13, v13, v45
	v_mul_f32_e32 v44, s23, v43
	v_mul_f32_e32 v43, s22, v43
	global_store_b64 v[10:11], v[12:13], off
	global_load_b64 v[12:13], v[14:15], off offset:128
	v_fma_f32 v44, v42, s22, -v44
	v_fmac_f32_e32 v43, s23, v42
	s_wait_loadcnt 0x0
	v_mul_f32_e32 v45, s35, v13
	v_mul_f32_e32 v13, s34, v13
	s_delay_alu instid0(VALU_DEP_2) | instskip(NEXT) | instid1(VALU_DEP_1)
	v_fma_f32 v42, v12, s34, -v45
	v_dual_fmac_f32 v13, s35, v12 :: v_dual_add_f32 v12, v44, v42
	s_delay_alu instid0(VALU_DEP_1)
	v_add_f32_e32 v13, v43, v13
	v_mul_f32_e32 v42, s23, v41
	v_mul_f32_e32 v41, s22, v41
	global_store_b64 v[10:11], v[12:13], off offset:128
	global_load_b64 v[12:13], v[14:15], off offset:256
	v_fma_f32 v42, v40, s22, -v42
	v_fmac_f32_e32 v41, s23, v40
	s_wait_loadcnt 0x0
	v_mul_f32_e32 v43, s35, v13
	v_mul_f32_e32 v13, s34, v13
	s_delay_alu instid0(VALU_DEP_2) | instskip(NEXT) | instid1(VALU_DEP_2)
	v_fma_f32 v40, v12, s34, -v43
	v_fmac_f32_e32 v13, s35, v12
	s_delay_alu instid0(VALU_DEP_1) | instskip(SKIP_4) | instid1(VALU_DEP_2)
	v_dual_add_f32 v12, v42, v40 :: v_dual_add_f32 v13, v41, v13
	global_store_b64 v[10:11], v[12:13], off offset:256
	global_load_b64 v[12:13], v[14:15], off offset:384
	v_mul_f32_e32 v14, s23, v39
	v_mul_f32_e32 v15, s22, v39
	v_fma_f32 v14, v38, s22, -v14
	s_delay_alu instid0(VALU_DEP_2) | instskip(SKIP_3) | instid1(VALU_DEP_2)
	v_fmac_f32_e32 v15, s23, v38
	s_wait_loadcnt 0x0
	v_mul_f32_e32 v39, s35, v13
	v_mul_f32_e32 v13, s34, v13
	v_fma_f32 v38, v12, s34, -v39
	v_add_co_u32 v39, vcc_lo, v47, s14
	s_delay_alu instid0(VALU_DEP_3)
	v_fmac_f32_e32 v13, s35, v12
	s_wait_alu 0xfffd
	v_add_co_ci_u32_e64 v40, null, s15, v48, vcc_lo
	v_add_f32_e32 v12, v14, v38
	v_add_co_u32 v14, vcc_lo, v39, v8
	v_add_f32_e32 v13, v15, v13
	s_wait_alu 0xfffd
	v_add_co_ci_u32_e64 v15, null, v40, v9, vcc_lo
	v_add_co_u32 v38, vcc_lo, v46, s16
	global_store_b64 v[10:11], v[12:13], off offset:384
	global_load_b64 v[10:11], v[14:15], off
	v_mul_f32_e32 v12, s23, v37
	v_mul_f32_e32 v13, s22, v37
	s_wait_alu 0xfffd
	v_add_co_ci_u32_e64 v41, null, s17, v49, vcc_lo
	s_delay_alu instid0(VALU_DEP_3) | instskip(SKIP_3) | instid1(VALU_DEP_2)
	v_fma_f32 v12, v36, s22, -v12
	s_wait_loadcnt 0x0
	v_dual_fmac_f32 v13, s23, v36 :: v_dual_mul_f32 v36, s35, v11
	v_mul_f32_e32 v37, s34, v11
	v_fma_f32 v36, v10, s34, -v36
	s_delay_alu instid0(VALU_DEP_2) | instskip(SKIP_3) | instid1(VALU_DEP_3)
	v_fmac_f32_e32 v37, s35, v10
	v_add_co_u32 v10, vcc_lo, v38, v8
	s_wait_alu 0xfffd
	v_add_co_ci_u32_e64 v11, null, v41, v9, vcc_lo
	v_dual_add_f32 v12, v12, v36 :: v_dual_add_f32 v13, v13, v37
	v_mul_f32_e32 v36, s23, v35
	v_mul_f32_e32 v35, s22, v35
	global_store_b64 v[10:11], v[12:13], off
	global_load_b64 v[12:13], v[14:15], off offset:128
	v_fma_f32 v36, v34, s22, -v36
	v_fmac_f32_e32 v35, s23, v34
	s_wait_loadcnt 0x0
	v_mul_f32_e32 v37, s35, v13
	v_mul_f32_e32 v13, s34, v13
	s_delay_alu instid0(VALU_DEP_2) | instskip(NEXT) | instid1(VALU_DEP_1)
	v_fma_f32 v34, v12, s34, -v37
	v_dual_fmac_f32 v13, s35, v12 :: v_dual_add_f32 v12, v36, v34
	s_delay_alu instid0(VALU_DEP_1)
	v_add_f32_e32 v13, v35, v13
	v_mul_f32_e32 v34, s23, v33
	v_mul_f32_e32 v33, s22, v33
	global_store_b64 v[10:11], v[12:13], off offset:128
	global_load_b64 v[12:13], v[14:15], off offset:256
	v_fma_f32 v34, v32, s22, -v34
	v_fmac_f32_e32 v33, s23, v32
	s_wait_loadcnt 0x0
	v_mul_f32_e32 v35, s35, v13
	v_mul_f32_e32 v13, s34, v13
	s_delay_alu instid0(VALU_DEP_2) | instskip(NEXT) | instid1(VALU_DEP_2)
	v_fma_f32 v32, v12, s34, -v35
	v_fmac_f32_e32 v13, s35, v12
	s_delay_alu instid0(VALU_DEP_1) | instskip(SKIP_4) | instid1(VALU_DEP_2)
	v_dual_add_f32 v12, v34, v32 :: v_dual_add_f32 v13, v33, v13
	global_store_b64 v[10:11], v[12:13], off offset:256
	global_load_b64 v[12:13], v[14:15], off offset:384
	v_mul_f32_e32 v14, s23, v31
	v_mul_f32_e32 v15, s22, v31
	v_fma_f32 v14, v30, s22, -v14
	s_delay_alu instid0(VALU_DEP_2) | instskip(SKIP_3) | instid1(VALU_DEP_2)
	v_fmac_f32_e32 v15, s23, v30
	s_wait_loadcnt 0x0
	v_mul_f32_e32 v31, s35, v13
	v_mul_f32_e32 v13, s34, v13
	v_fma_f32 v30, v12, s34, -v31
	v_add_co_u32 v31, vcc_lo, v39, s14
	s_delay_alu instid0(VALU_DEP_3)
	v_fmac_f32_e32 v13, s35, v12
	s_wait_alu 0xfffd
	v_add_co_ci_u32_e64 v32, null, s15, v40, vcc_lo
	v_add_f32_e32 v12, v14, v30
	v_add_co_u32 v14, vcc_lo, v31, v8
	v_add_f32_e32 v13, v15, v13
	s_wait_alu 0xfffd
	v_add_co_ci_u32_e64 v15, null, v32, v9, vcc_lo
	global_store_b64 v[10:11], v[12:13], off offset:384
	global_load_b64 v[10:11], v[14:15], off
	v_mul_f32_e32 v12, s23, v29
	v_mul_f32_e32 v13, s22, v29
	s_delay_alu instid0(VALU_DEP_2) | instskip(SKIP_1) | instid1(VALU_DEP_2)
	v_fma_f32 v29, v28, s22, -v12
	s_wait_loadcnt 0x0
	v_dual_fmac_f32 v13, s23, v28 :: v_dual_mul_f32 v12, s35, v11
	v_mul_f32_e32 v28, s34, v11
	v_add_co_u32 v11, vcc_lo, v38, s16
	s_wait_alu 0xfffd
	v_add_co_ci_u32_e64 v30, null, s17, v41, vcc_lo
	v_fma_f32 v31, v10, s34, -v12
	v_fmac_f32_e32 v28, s35, v10
	v_add_co_u32 v11, vcc_lo, v11, v8
	s_wait_alu 0xfffd
	v_add_co_ci_u32_e64 v12, null, v30, v9, vcc_lo
	v_add_f32_e32 v8, v29, v31
	v_dual_add_f32 v9, v13, v28 :: v_dual_mul_f32 v10, s23, v27
	v_mul_f32_e32 v13, s22, v27
	global_store_b64 v[11:12], v[8:9], off
	global_load_b64 v[8:9], v[14:15], off offset:128
	v_fma_f32 v10, v26, s22, -v10
	v_fmac_f32_e32 v13, s23, v26
	s_wait_loadcnt 0x0
	v_mul_f32_e32 v27, s35, v9
	v_mul_f32_e32 v9, s34, v9
	s_delay_alu instid0(VALU_DEP_2) | instskip(NEXT) | instid1(VALU_DEP_1)
	v_fma_f32 v26, v8, s34, -v27
	v_dual_fmac_f32 v9, s35, v8 :: v_dual_add_f32 v8, v10, v26
	s_delay_alu instid0(VALU_DEP_1)
	v_add_f32_e32 v9, v13, v9
	v_mul_f32_e32 v10, s23, v25
	v_mul_f32_e32 v13, s22, v25
	global_store_b64 v[11:12], v[8:9], off offset:128
	global_load_b64 v[8:9], v[14:15], off offset:256
	v_fma_f32 v10, v24, s22, -v10
	v_fmac_f32_e32 v13, s23, v24
	s_wait_loadcnt 0x0
	v_mul_f32_e32 v25, s35, v9
	v_mul_f32_e32 v9, s34, v9
	s_delay_alu instid0(VALU_DEP_2) | instskip(NEXT) | instid1(VALU_DEP_2)
	v_fma_f32 v24, v8, s34, -v25
	v_fmac_f32_e32 v9, s35, v8
	s_delay_alu instid0(VALU_DEP_1)
	v_dual_add_f32 v8, v10, v24 :: v_dual_add_f32 v9, v13, v9
	v_mul_f32_e32 v10, s23, v23
	v_mul_f32_e32 v13, s22, v23
	global_store_b64 v[11:12], v[8:9], off offset:256
	global_load_b64 v[8:9], v[14:15], off offset:384
	v_fma_f32 v10, v22, s22, -v10
	s_wait_loadcnt 0x0
	v_dual_fmac_f32 v13, s23, v22 :: v_dual_mul_f32 v14, s35, v9
	v_mul_f32_e32 v9, s34, v9
	s_delay_alu instid0(VALU_DEP_2) | instskip(NEXT) | instid1(VALU_DEP_2)
	v_fma_f32 v14, v8, s34, -v14
	v_fmac_f32_e32 v9, s35, v8
	v_add_co_u32 v8, vcc_lo, 0x180, v11
	s_delay_alu instid0(VALU_DEP_3) | instskip(NEXT) | instid1(VALU_DEP_3)
	v_add_f32_e32 v14, v10, v14
	v_add_f32_e32 v10, v13, v9
	s_wait_alu 0xfffd
	v_add_co_ci_u32_e64 v9, null, 0, v12, vcc_lo
	global_store_b32 v[11:12], v14, off offset:384
	s_branch .LBB92_2
.LBB92_10:
	s_nop 0
	s_sendmsg sendmsg(MSG_DEALLOC_VGPRS)
	s_endpgm
	.section	.rodata,"a",@progbits
	.p2align	6, 0x0
	.amdhsa_kernel _ZN12_GLOBAL__N_127rocblas_gemm_batched_kernelI19rocblas_complex_numIfELi16ELi16ELi64ELi64ELi4ELi64ELi4ELi4ELi64ELc84ELc84EKS2_S3_S2_EEvlllT_PT11_llS6_llS4_PT12_llPT13_lli
		.amdhsa_group_segment_fixed_size 4096
		.amdhsa_private_segment_fixed_size 0
		.amdhsa_kernarg_size 140
		.amdhsa_user_sgpr_count 2
		.amdhsa_user_sgpr_dispatch_ptr 0
		.amdhsa_user_sgpr_queue_ptr 0
		.amdhsa_user_sgpr_kernarg_segment_ptr 1
		.amdhsa_user_sgpr_dispatch_id 0
		.amdhsa_user_sgpr_private_segment_size 0
		.amdhsa_wavefront_size32 1
		.amdhsa_uses_dynamic_stack 0
		.amdhsa_enable_private_segment 0
		.amdhsa_system_sgpr_workgroup_id_x 1
		.amdhsa_system_sgpr_workgroup_id_y 1
		.amdhsa_system_sgpr_workgroup_id_z 1
		.amdhsa_system_sgpr_workgroup_info 0
		.amdhsa_system_vgpr_workitem_id 1
		.amdhsa_next_free_vgpr 196
		.amdhsa_next_free_sgpr 39
		.amdhsa_reserve_vcc 1
		.amdhsa_float_round_mode_32 0
		.amdhsa_float_round_mode_16_64 0
		.amdhsa_float_denorm_mode_32 3
		.amdhsa_float_denorm_mode_16_64 3
		.amdhsa_fp16_overflow 0
		.amdhsa_workgroup_processor_mode 1
		.amdhsa_memory_ordered 1
		.amdhsa_forward_progress 1
		.amdhsa_inst_pref_size 43
		.amdhsa_round_robin_scheduling 0
		.amdhsa_exception_fp_ieee_invalid_op 0
		.amdhsa_exception_fp_denorm_src 0
		.amdhsa_exception_fp_ieee_div_zero 0
		.amdhsa_exception_fp_ieee_overflow 0
		.amdhsa_exception_fp_ieee_underflow 0
		.amdhsa_exception_fp_ieee_inexact 0
		.amdhsa_exception_int_div_zero 0
	.end_amdhsa_kernel
	.section	.text._ZN12_GLOBAL__N_127rocblas_gemm_batched_kernelI19rocblas_complex_numIfELi16ELi16ELi64ELi64ELi4ELi64ELi4ELi4ELi64ELc84ELc84EKS2_S3_S2_EEvlllT_PT11_llS6_llS4_PT12_llPT13_lli,"axG",@progbits,_ZN12_GLOBAL__N_127rocblas_gemm_batched_kernelI19rocblas_complex_numIfELi16ELi16ELi64ELi64ELi4ELi64ELi4ELi4ELi64ELc84ELc84EKS2_S3_S2_EEvlllT_PT11_llS6_llS4_PT12_llPT13_lli,comdat
.Lfunc_end92:
	.size	_ZN12_GLOBAL__N_127rocblas_gemm_batched_kernelI19rocblas_complex_numIfELi16ELi16ELi64ELi64ELi4ELi64ELi4ELi4ELi64ELc84ELc84EKS2_S3_S2_EEvlllT_PT11_llS6_llS4_PT12_llPT13_lli, .Lfunc_end92-_ZN12_GLOBAL__N_127rocblas_gemm_batched_kernelI19rocblas_complex_numIfELi16ELi16ELi64ELi64ELi4ELi64ELi4ELi4ELi64ELc84ELc84EKS2_S3_S2_EEvlllT_PT11_llS6_llS4_PT12_llPT13_lli
                                        ; -- End function
	.set _ZN12_GLOBAL__N_127rocblas_gemm_batched_kernelI19rocblas_complex_numIfELi16ELi16ELi64ELi64ELi4ELi64ELi4ELi4ELi64ELc84ELc84EKS2_S3_S2_EEvlllT_PT11_llS6_llS4_PT12_llPT13_lli.num_vgpr, 196
	.set _ZN12_GLOBAL__N_127rocblas_gemm_batched_kernelI19rocblas_complex_numIfELi16ELi16ELi64ELi64ELi4ELi64ELi4ELi4ELi64ELc84ELc84EKS2_S3_S2_EEvlllT_PT11_llS6_llS4_PT12_llPT13_lli.num_agpr, 0
	.set _ZN12_GLOBAL__N_127rocblas_gemm_batched_kernelI19rocblas_complex_numIfELi16ELi16ELi64ELi64ELi4ELi64ELi4ELi4ELi64ELc84ELc84EKS2_S3_S2_EEvlllT_PT11_llS6_llS4_PT12_llPT13_lli.numbered_sgpr, 39
	.set _ZN12_GLOBAL__N_127rocblas_gemm_batched_kernelI19rocblas_complex_numIfELi16ELi16ELi64ELi64ELi4ELi64ELi4ELi4ELi64ELc84ELc84EKS2_S3_S2_EEvlllT_PT11_llS6_llS4_PT12_llPT13_lli.num_named_barrier, 0
	.set _ZN12_GLOBAL__N_127rocblas_gemm_batched_kernelI19rocblas_complex_numIfELi16ELi16ELi64ELi64ELi4ELi64ELi4ELi4ELi64ELc84ELc84EKS2_S3_S2_EEvlllT_PT11_llS6_llS4_PT12_llPT13_lli.private_seg_size, 0
	.set _ZN12_GLOBAL__N_127rocblas_gemm_batched_kernelI19rocblas_complex_numIfELi16ELi16ELi64ELi64ELi4ELi64ELi4ELi4ELi64ELc84ELc84EKS2_S3_S2_EEvlllT_PT11_llS6_llS4_PT12_llPT13_lli.uses_vcc, 1
	.set _ZN12_GLOBAL__N_127rocblas_gemm_batched_kernelI19rocblas_complex_numIfELi16ELi16ELi64ELi64ELi4ELi64ELi4ELi4ELi64ELc84ELc84EKS2_S3_S2_EEvlllT_PT11_llS6_llS4_PT12_llPT13_lli.uses_flat_scratch, 0
	.set _ZN12_GLOBAL__N_127rocblas_gemm_batched_kernelI19rocblas_complex_numIfELi16ELi16ELi64ELi64ELi4ELi64ELi4ELi4ELi64ELc84ELc84EKS2_S3_S2_EEvlllT_PT11_llS6_llS4_PT12_llPT13_lli.has_dyn_sized_stack, 0
	.set _ZN12_GLOBAL__N_127rocblas_gemm_batched_kernelI19rocblas_complex_numIfELi16ELi16ELi64ELi64ELi4ELi64ELi4ELi4ELi64ELc84ELc84EKS2_S3_S2_EEvlllT_PT11_llS6_llS4_PT12_llPT13_lli.has_recursion, 0
	.set _ZN12_GLOBAL__N_127rocblas_gemm_batched_kernelI19rocblas_complex_numIfELi16ELi16ELi64ELi64ELi4ELi64ELi4ELi4ELi64ELc84ELc84EKS2_S3_S2_EEvlllT_PT11_llS6_llS4_PT12_llPT13_lli.has_indirect_call, 0
	.section	.AMDGPU.csdata,"",@progbits
; Kernel info:
; codeLenInByte = 5500
; TotalNumSgprs: 41
; NumVgprs: 196
; ScratchSize: 0
; MemoryBound: 0
; FloatMode: 240
; IeeeMode: 1
; LDSByteSize: 4096 bytes/workgroup (compile time only)
; SGPRBlocks: 0
; VGPRBlocks: 24
; NumSGPRsForWavesPerEU: 41
; NumVGPRsForWavesPerEU: 196
; Occupancy: 7
; WaveLimiterHint : 1
; COMPUTE_PGM_RSRC2:SCRATCH_EN: 0
; COMPUTE_PGM_RSRC2:USER_SGPR: 2
; COMPUTE_PGM_RSRC2:TRAP_HANDLER: 0
; COMPUTE_PGM_RSRC2:TGID_X_EN: 1
; COMPUTE_PGM_RSRC2:TGID_Y_EN: 1
; COMPUTE_PGM_RSRC2:TGID_Z_EN: 1
; COMPUTE_PGM_RSRC2:TIDIG_COMP_CNT: 1
	.section	.text._ZN12_GLOBAL__N_127rocblas_gemm_batched_kernelI19rocblas_complex_numIfELi16ELi16ELi64ELi64ELi4ELi64ELi4ELi4ELi64ELc67ELc67EKS2_S3_S2_EEvlllT_PT11_llS6_llS4_PT12_llPT13_lli,"axG",@progbits,_ZN12_GLOBAL__N_127rocblas_gemm_batched_kernelI19rocblas_complex_numIfELi16ELi16ELi64ELi64ELi4ELi64ELi4ELi4ELi64ELc67ELc67EKS2_S3_S2_EEvlllT_PT11_llS6_llS4_PT12_llPT13_lli,comdat
	.globl	_ZN12_GLOBAL__N_127rocblas_gemm_batched_kernelI19rocblas_complex_numIfELi16ELi16ELi64ELi64ELi4ELi64ELi4ELi4ELi64ELc67ELc67EKS2_S3_S2_EEvlllT_PT11_llS6_llS4_PT12_llPT13_lli ; -- Begin function _ZN12_GLOBAL__N_127rocblas_gemm_batched_kernelI19rocblas_complex_numIfELi16ELi16ELi64ELi64ELi4ELi64ELi4ELi4ELi64ELc67ELc67EKS2_S3_S2_EEvlllT_PT11_llS6_llS4_PT12_llPT13_lli
	.p2align	8
	.type	_ZN12_GLOBAL__N_127rocblas_gemm_batched_kernelI19rocblas_complex_numIfELi16ELi16ELi64ELi64ELi4ELi64ELi4ELi4ELi64ELc67ELc67EKS2_S3_S2_EEvlllT_PT11_llS6_llS4_PT12_llPT13_lli,@function
_ZN12_GLOBAL__N_127rocblas_gemm_batched_kernelI19rocblas_complex_numIfELi16ELi16ELi64ELi64ELi4ELi64ELi4ELi4ELi64ELc67ELc67EKS2_S3_S2_EEvlllT_PT11_llS6_llS4_PT12_llPT13_lli: ; @_ZN12_GLOBAL__N_127rocblas_gemm_batched_kernelI19rocblas_complex_numIfELi16ELi16ELi64ELi64ELi4ELi64ELi4ELi4ELi64ELc67ELc67EKS2_S3_S2_EEvlllT_PT11_llS6_llS4_PT12_llPT13_lli
; %bb.0:
	s_load_b32 s33, s[0:1], 0x88
	s_lshr_b32 s2, ttmp7, 16
	s_wait_kmcnt 0x0
	s_cmp_ge_i32 s2, s33
	s_cbranch_scc1 .LBB93_10
; %bb.1:
	v_and_b32_e32 v12, 0x3ff, v0
	v_bfe_u32 v8, v0, 10, 10
	s_load_b128 s[28:31], s[0:1], 0x40
	s_lshl_b32 s3, ttmp7, 6
	s_clause 0x1
	s_load_b128 s[20:23], s[0:1], 0x10
	s_load_b256 s[4:11], s[0:1], 0x58
	s_and_b32 s38, s3, 0x3fffc0
	v_lshl_add_u32 v2, v8, 4, v12
	v_and_b32_e32 v6, 3, v0
	s_clause 0x2
	s_load_b256 s[12:19], s[0:1], 0x20
	s_load_b128 s[24:27], s[0:1], 0x78
	s_load_b64 s[34:35], s[0:1], 0x50
	v_add_nc_u32_e32 v10, s38, v8
	s_mov_b32 s36, ttmp9
	v_lshrrev_b32_e32 v3, 2, v2
	v_and_b32_e32 v9, 63, v2
	v_lshrrev_b32_e32 v13, 6, v2
	s_ashr_i32 s37, ttmp9, 31
	v_lshl_add_u32 v19, v8, 5, 0x800
	v_add_co_u32 v0, s3, v3, s38
	s_delay_alu instid0(VALU_DEP_1)
	v_add_co_ci_u32_e64 v1, null, 0, 0, s3
	s_lshl_b64 s[36:37], s[36:37], 6
	s_mov_b32 s3, 0
	s_wait_kmcnt 0x0
	v_mad_co_u64_u32 v[4:5], null, s28, v6, v[0:1]
	v_lshlrev_b32_e32 v1, 3, v6
	s_or_b32 s0, s34, s35
	s_delay_alu instid0(SALU_CYCLE_1) | instskip(NEXT) | instid1(VALU_DEP_2)
	s_bitset0_b32 s0, 31
	v_mov_b32_e32 v0, v5
	s_delay_alu instid0(VALU_DEP_2)
	v_lshl_or_b32 v1, v3, 5, v1
	v_lshlrev_b32_e32 v5, 3, v9
	s_cmp_eq_u32 s0, 0
	s_mul_i32 s0, s14, s37
	s_cselect_b32 s1, -1, 0
	v_mad_co_u64_u32 v[2:3], null, s29, v6, v[0:1]
	v_mad_co_u64_u32 v[6:7], null, v10, s6, 0
	v_lshl_or_b32 v17, v13, 9, v5
	v_add_nc_u32_e32 v18, 0x800, v1
	v_mad_co_u64_u32 v[0:1], null, v10, s24, 0
	s_delay_alu instid0(VALU_DEP_4) | instskip(SKIP_1) | instid1(VALU_DEP_2)
	v_dual_mov_b32 v5, v2 :: v_dual_mov_b32 v2, v7
	v_or_b32_e32 v7, s36, v9
	v_mad_co_u64_u32 v[2:3], null, v10, s7, v[2:3]
	s_delay_alu instid0(VALU_DEP_2) | instskip(SKIP_1) | instid1(VALU_DEP_3)
	v_mul_lo_u32 v14, s15, v7
	v_mad_co_u64_u32 v[8:9], null, s14, v7, 0
	v_mad_co_u64_u32 v[10:11], null, v10, s25, v[1:2]
	v_mov_b32_e32 v7, v2
	s_delay_alu instid0(VALU_DEP_3)
	v_add3_u32 v9, v9, s0, v14
	v_lshlrev_b32_e32 v16, 3, v12
	v_cmp_gt_i64_e64 s0, s[20:21], 0
	v_add_co_u32 v2, s14, s36, v12
	v_lshlrev_b64_e32 v[6:7], 3, v[6:7]
	v_lshlrev_b64_e32 v[8:9], 3, v[8:9]
	v_dual_mov_b32 v1, v10 :: v_dual_lshlrev_b32 v10, 3, v13
	s_wait_alu 0xf1ff
	v_add_co_ci_u32_e64 v3, null, s37, 0, s14
	s_delay_alu instid0(VALU_DEP_4) | instskip(NEXT) | instid1(VALU_DEP_1)
	v_add_co_u32 v20, vcc_lo, s4, v6
	v_add_co_ci_u32_e64 v21, null, s5, v7, vcc_lo
	v_add_co_u32 v8, vcc_lo, v8, v10
	v_lshlrev_b64_e32 v[6:7], 3, v[4:5]
	s_wait_alu 0xfffd
	v_add_co_ci_u32_e64 v9, null, 0, v9, vcc_lo
	s_delay_alu instid0(VALU_DEP_3) | instskip(SKIP_2) | instid1(VALU_DEP_3)
	v_add_co_u32 v4, vcc_lo, s12, v8
	v_cndmask_b32_e64 v8, 0, 1, s0
	s_wait_alu 0xfffd
	v_add_co_ci_u32_e64 v5, null, s13, v9, vcc_lo
	v_add_co_u32 v6, vcc_lo, s18, v6
	s_wait_alu 0xfffd
	v_add_co_ci_u32_e64 v7, null, s19, v7, vcc_lo
	v_cmp_ne_u32_e64 s0, 1, v8
	s_delay_alu instid0(VALU_DEP_3) | instskip(SKIP_1) | instid1(VALU_DEP_3)
	v_add_co_u32 v6, vcc_lo, v6, 4
	s_wait_alu 0xfffd
	v_add_co_ci_u32_e64 v7, null, 0, v7, vcc_lo
	s_lshl_b64 s[24:25], s[24:25], 4
	s_lshl_b64 s[14:15], s[6:7], 4
	;; [unrolled: 1-line block ×5, first 2 shown]
	s_wait_alu 0xfffe
	s_lshl_b64 s[14:15], s[14:15], 3
	s_lshl_b64 s[16:17], s[24:25], 3
	s_branch .LBB93_3
.LBB93_2:                               ;   in Loop: Header=BB93_3 Depth=1
	s_add_co_i32 s2, s2, 0x10000
	global_store_b32 v[8:9], v10, off offset:4
	s_wait_alu 0xfffe
	s_cmp_lt_i32 s2, s33
	s_cbranch_scc0 .LBB93_10
.LBB93_3:                               ; =>This Loop Header: Depth=1
                                        ;     Child Loop BB93_5 Depth 2
	v_dual_mov_b32 v52, 0 :: v_dual_mov_b32 v53, 0
	v_dual_mov_b32 v50, 0 :: v_dual_mov_b32 v51, 0
	;; [unrolled: 1-line block ×16, first 2 shown]
	s_and_b32 vcc_lo, exec_lo, s0
	s_wait_alu 0xfffe
	s_cbranch_vccnz .LBB93_6
; %bb.4:                                ;   in Loop: Header=BB93_3 Depth=1
	v_mad_co_u64_u32 v[8:9], null, s4, s2, v[4:5]
	v_mad_co_u64_u32 v[10:11], null, s6, s2, v[6:7]
	v_dual_mov_b32 v23, 0 :: v_dual_mov_b32 v22, 0
	v_dual_mov_b32 v25, 0 :: v_dual_mov_b32 v24, 0
	;; [unrolled: 1-line block ×3, first 2 shown]
	s_delay_alu instid0(VALU_DEP_4) | instskip(SKIP_3) | instid1(VALU_DEP_4)
	v_mad_co_u64_u32 v[12:13], null, s5, s2, v[9:10]
	v_dual_mov_b32 v29, 0 :: v_dual_mov_b32 v28, 0
	v_dual_mov_b32 v31, 0 :: v_dual_mov_b32 v30, 0
	;; [unrolled: 1-line block ×3, first 2 shown]
	v_mad_co_u64_u32 v[13:14], null, s7, s2, v[11:12]
	v_dual_mov_b32 v9, v12 :: v_dual_mov_b32 v32, 0
	v_dual_mov_b32 v35, 0 :: v_dual_mov_b32 v38, 0
	;; [unrolled: 1-line block ×3, first 2 shown]
	s_delay_alu instid0(VALU_DEP_4)
	v_dual_mov_b32 v40, 0 :: v_dual_mov_b32 v11, v13
	v_dual_mov_b32 v39, 0 :: v_dual_mov_b32 v42, 0
	;; [unrolled: 1-line block ×7, first 2 shown]
	v_mov_b32_e32 v51, 0
	v_mov_b32_e32 v53, 0
	s_mov_b64 s[18:19], 0
.LBB93_5:                               ;   Parent Loop BB93_3 Depth=1
                                        ; =>  This Inner Loop Header: Depth=2
	global_load_b64 v[12:13], v[8:9], off
	global_load_b64 v[14:15], v[10:11], off offset:-4
	s_wait_alu 0xfffe
	s_add_nc_u64 s[18:19], s[18:19], 4
	v_add_co_u32 v8, vcc_lo, v8, 32
	s_wait_alu 0xfffe
	v_cmp_lt_i64_e64 s24, s[18:19], s[20:21]
	s_wait_alu 0xfffd
	v_add_co_ci_u32_e64 v9, null, 0, v9, vcc_lo
	v_add_co_u32 v10, vcc_lo, v10, s12
	s_wait_alu 0xfffd
	v_add_co_ci_u32_e64 v11, null, s13, v11, vcc_lo
	s_and_b32 vcc_lo, exec_lo, s24
	s_wait_loadcnt 0x1
	v_xor_b32_e32 v13, 0x80000000, v13
	s_wait_loadcnt 0x0
	v_xor_b32_e32 v15, 0x80000000, v15
	ds_store_b64 v17, v[12:13]
	ds_store_b64 v18, v[14:15]
	s_wait_dscnt 0x0
	s_barrier_signal -1
	s_barrier_wait -1
	global_inv scope:SCOPE_SE
	ds_load_2addr_b64 v[12:15], v16 offset1:16
	ds_load_b128 v[54:57], v19
	ds_load_b128 v[58:61], v19 offset:16
	ds_load_b128 v[62:65], v19 offset:512
	;; [unrolled: 1-line block ×7, first 2 shown]
	ds_load_2addr_b64 v[86:89], v16 offset0:32 offset1:48
	ds_load_2addr_b64 v[90:93], v16 offset0:64 offset1:80
	;; [unrolled: 1-line block ×7, first 2 shown]
	s_wait_loadcnt_dscnt 0x0
	s_barrier_signal -1
	s_barrier_wait -1
	global_inv scope:SCOPE_SE
	v_dual_mul_f32 v114, v55, v13 :: v_dual_mul_f32 v117, v54, v15
	v_dual_mul_f32 v115, v54, v13 :: v_dual_mul_f32 v116, v55, v15
	;; [unrolled: 1-line block ×6, first 2 shown]
	v_mul_f32_e32 v126, v79, v13
	v_dual_mul_f32 v13, v78, v13 :: v_dual_mul_f32 v128, v55, v87
	v_dual_mul_f32 v127, v79, v15 :: v_dual_mul_f32 v144, v57, v93
	;; [unrolled: 1-line block ×9, first 2 shown]
	v_mul_f32_e32 v15, v78, v15
	v_dual_mul_f32 v87, v78, v87 :: v_dual_mul_f32 v148, v57, v97
	v_dual_mul_f32 v89, v78, v89 :: v_dual_mul_f32 v146, v57, v95
	;; [unrolled: 1-line block ×19, first 2 shown]
	v_mul_f32_e32 v181, v74, v101
	v_fma_f32 v114, v54, v12, -v114
	v_fmac_f32_e32 v115, v55, v12
	v_fma_f32 v116, v54, v14, -v116
	v_fmac_f32_e32 v117, v55, v14
	;; [unrolled: 2-line block ×7, first 2 shown]
	v_fma_f32 v12, v78, v14, -v127
	v_fma_f32 v128, v54, v86, -v128
	v_dual_fmac_f32 v129, v55, v86 :: v_dual_mul_f32 v194, v77, v113
	v_fma_f32 v54, v54, v88, -v130
	v_fmac_f32_e32 v131, v55, v88
	v_fma_f32 v55, v62, v86, -v132
	v_fmac_f32_e32 v133, v63, v86
	;; [unrolled: 2-line block ×3, first 2 shown]
	v_fmac_f32_e32 v139, v71, v88
	v_fma_f32 v71, v78, v86, -v140
	v_fma_f32 v78, v78, v88, -v141
	;; [unrolled: 1-line block ×3, first 2 shown]
	v_dual_mul_f32 v144, v60, v107 :: v_dual_fmac_f32 v135, v63, v88
	v_fma_f32 v63, v70, v86, -v136
	v_fma_f32 v70, v70, v88, -v138
	v_dual_mul_f32 v97, v80, v97 :: v_dual_mul_f32 v182, v83, v99
	v_dual_mul_f32 v171, v58, v99 :: v_dual_mul_f32 v188, v67, v105
	;; [unrolled: 1-line block ×3, first 2 shown]
	v_mul_f32_e32 v175, v66, v99
	v_mul_f32_e32 v177, v66, v101
	v_dual_mul_f32 v179, v74, v99 :: v_dual_mul_f32 v138, v83, v105
	v_mul_f32_e32 v99, v82, v99
	v_mul_f32_e32 v183, v83, v101
	v_mul_f32_e32 v101, v82, v101
	v_mul_f32_e32 v185, v58, v103
	v_mul_f32_e32 v187, v58, v105
	v_dual_fmac_f32 v15, v79, v14 :: v_dual_mul_f32 v190, v77, v107
	v_mul_f32_e32 v14, v67, v103
	v_dual_mul_f32 v127, v66, v103 :: v_dual_mul_f32 v192, v77, v109
	v_mul_f32_e32 v189, v66, v105
	v_fmac_f32_e32 v87, v79, v86
	v_dual_fmac_f32 v89, v79, v88 :: v_dual_mul_f32 v86, v74, v103
	v_mul_f32_e32 v88, v75, v105
	v_mul_f32_e32 v130, v74, v105
	v_fma_f32 v132, v56, v90, -v142
	v_fmac_f32_e32 v143, v57, v90
	v_dual_fmac_f32 v145, v57, v92 :: v_dual_fmac_f32 v86, v75, v102
	v_fma_f32 v136, v56, v94, -v146
	v_dual_fmac_f32 v147, v57, v94 :: v_dual_add_f32 v50, v50, v116
	v_fma_f32 v56, v56, v96, -v148
	v_dual_fmac_f32 v149, v57, v96 :: v_dual_add_f32 v52, v52, v114
	v_dual_mul_f32 v105, v82, v105 :: v_dual_add_f32 v48, v48, v128
	v_fma_f32 v140, v64, v90, -v150
	v_dual_fmac_f32 v151, v65, v90 :: v_dual_add_f32 v42, v42, v120
	v_fma_f32 v141, v64, v92, -v152
	v_dual_fmac_f32 v153, v65, v92 :: v_dual_add_f32 v46, v46, v54
	;; [unrolled: 2-line block ×4, first 2 shown]
	v_dual_mul_f32 v65, v61, v107 :: v_dual_add_f32 v38, v38, v62
	v_mul_f32_e32 v146, v61, v109
	v_mul_f32_e32 v148, v60, v109
	v_fma_f32 v150, v72, v90, -v158
	v_dual_fmac_f32 v159, v73, v90 :: v_dual_add_f32 v34, v34, v124
	v_fma_f32 v152, v72, v92, -v160
	v_dual_fmac_f32 v161, v73, v92 :: v_dual_add_f32 v36, v36, v122
	;; [unrolled: 2-line block ×4, first 2 shown]
	v_dual_mul_f32 v73, v61, v111 :: v_dual_add_f32 v28, v28, v126
	v_mul_f32_e32 v156, v60, v111
	v_mul_f32_e32 v160, v60, v113
	v_fma_f32 v162, v80, v90, -v166
	v_dual_fmac_f32 v91, v81, v90 :: v_dual_add_f32 v12, v26, v12
	v_fma_f32 v90, v80, v92, -v167
	v_dual_fmac_f32 v93, v81, v92 :: v_dual_add_f32 v24, v24, v71
	v_mul_f32_e32 v164, v68, v107
	v_mul_f32_e32 v79, v75, v103
	v_dual_mul_f32 v167, v68, v109 :: v_dual_add_f32 v22, v22, v78
	v_fma_f32 v168, v80, v94, -v168
	v_dual_fmac_f32 v95, v81, v94 :: v_dual_add_f32 v26, v52, v132
	v_fma_f32 v80, v80, v96, -v169
	v_mul_f32_e32 v94, v68, v111
	v_mul_f32_e32 v57, v83, v103
	v_dual_mul_f32 v103, v82, v103 :: v_dual_mul_f32 v158, v61, v113
	v_mul_f32_e32 v92, v69, v107
	v_mul_f32_e32 v166, v69, v109
	v_dual_mul_f32 v169, v68, v113 :: v_dual_add_f32 v46, v46, v56
	v_dual_mul_f32 v191, v76, v107 :: v_dual_add_f32 v42, v42, v141
	;; [unrolled: 1-line block ×3, first 2 shown]
	v_fma_f32 v170, v58, v98, -v170
	v_dual_fmac_f32 v171, v59, v98 :: v_dual_add_f32 v44, v44, v140
	v_fma_f32 v172, v58, v100, -v172
	v_dual_fmac_f32 v173, v59, v100 :: v_dual_add_f32 v40, v40, v142
	;; [unrolled: 2-line block ×8, first 2 shown]
	v_mul_f32_e32 v100, v77, v111
	v_dual_mul_f32 v183, v76, v111 :: v_dual_add_f32 v22, v22, v80
	v_dual_mul_f32 v195, v76, v113 :: v_dual_add_f32 v26, v26, v170
	v_fma_f32 v184, v58, v102, -v184
	v_fma_f32 v58, v58, v104, -v186
	v_dual_fmac_f32 v187, v59, v104 :: v_dual_add_f32 v12, v12, v90
	v_fma_f32 v14, v66, v102, -v14
	v_dual_fmac_f32 v127, v67, v102 :: v_dual_add_f32 v42, v42, v176
	s_delay_alu instid0(VALU_DEP_4)
	v_dual_fmac_f32 v189, v67, v104 :: v_dual_add_f32 v46, v46, v58
	v_fma_f32 v67, v74, v104, -v88
	v_fmac_f32_e32 v130, v75, v104
	v_dual_fmac_f32 v105, v83, v104 :: v_dual_add_f32 v44, v44, v174
	v_dual_mul_f32 v75, v85, v107 :: v_dual_add_f32 v14, v40, v14
	v_fmac_f32_e32 v144, v61, v106
	v_fma_f32 v88, v60, v108, -v146
	v_fmac_f32_e32 v148, v61, v108
	v_fmac_f32_e32 v156, v61, v110
	;; [unrolled: 1-line block ×3, first 2 shown]
	v_dual_mul_f32 v61, v85, v111 :: v_dual_add_f32 v36, v36, v178
	v_fmac_f32_e32 v164, v69, v106
	v_fmac_f32_e32 v94, v69, v110
	v_fma_f32 v57, v82, v102, -v57
	v_add_f32_e32 v51, v51, v117
	v_fmac_f32_e32 v97, v81, v96
	v_dual_mul_f32 v81, v69, v111 :: v_dual_add_f32 v48, v48, v136
	v_dual_mul_f32 v96, v69, v113 :: v_dual_fmac_f32 v185, v59, v102
	v_fma_f32 v59, v66, v104, -v188
	v_fma_f32 v66, v74, v102, -v79
	;; [unrolled: 1-line block ×3, first 2 shown]
	v_mul_f32_e32 v82, v85, v109
	v_dual_mul_f32 v104, v85, v113 :: v_dual_fmac_f32 v103, v83, v102
	v_add_f32_e32 v38, v38, v59
	v_dual_mul_f32 v79, v84, v107 :: v_dual_add_f32 v34, v34, v180
	v_dual_mul_f32 v83, v84, v109 :: v_dual_add_f32 v30, v30, v67
	v_fma_f32 v65, v60, v106, -v65
	v_fma_f32 v73, v60, v110, -v73
	v_mul_f32_e32 v102, v84, v111
	v_dual_mul_f32 v107, v84, v113 :: v_dual_add_f32 v22, v22, v74
	v_fma_f32 v92, v68, v106, -v92
	v_fma_f32 v109, v68, v108, -v166
	v_dual_fmac_f32 v167, v69, v108 :: v_dual_add_f32 v32, v32, v66
	v_fma_f32 v81, v68, v110, -v81
	v_fma_f32 v68, v68, v112, -v96
	v_dual_fmac_f32 v169, v69, v112 :: v_dual_add_f32 v28, v28, v182
	v_fma_f32 v69, v76, v106, -v190
	v_dual_fmac_f32 v191, v77, v106 :: v_dual_add_f32 v24, v24, v57
	;; [unrolled: 2-line block ×4, first 2 shown]
	v_fma_f32 v76, v76, v112, -v194
	v_fma_f32 v75, v84, v106, -v75
	;; [unrolled: 1-line block ×3, first 2 shown]
	v_dual_add_f32 v53, v53, v115 :: v_dual_add_f32 v44, v44, v92
	v_dual_add_f32 v49, v49, v129 :: v_dual_add_f32 v38, v38, v68
	v_dual_add_f32 v47, v47, v131 :: v_dual_add_f32 v36, v36, v69
	v_dual_add_f32 v45, v45, v119 :: v_dual_add_f32 v34, v34, v96
	v_dual_add_f32 v43, v43, v121 :: v_dual_add_f32 v32, v32, v100
	v_dual_add_f32 v41, v41, v133 :: v_dual_add_f32 v30, v30, v76
	v_dual_add_f32 v37, v37, v123 :: v_dual_add_f32 v24, v24, v61
	v_dual_add_f32 v35, v35, v125 :: v_dual_add_f32 v28, v28, v75
	v_add_f32_e32 v31, v31, v139
	v_add_f32_e32 v13, v29, v13
	;; [unrolled: 1-line block ×4, first 2 shown]
	v_dual_add_f32 v23, v23, v89 :: v_dual_add_f32 v48, v48, v184
	v_fmac_f32_e32 v195, v77, v112
	v_fma_f32 v77, v84, v108, -v82
	v_fma_f32 v82, v84, v112, -v104
	v_add_f32_e32 v39, v39, v135
	v_add_f32_e32 v33, v33, v137
	;; [unrolled: 1-line block ×3, first 2 shown]
	v_dual_add_f32 v29, v50, v134 :: v_dual_add_f32 v50, v51, v145
	v_add_f32_e32 v49, v49, v147
	v_add_f32_e32 v47, v47, v149
	;; [unrolled: 1-line block ×13, first 2 shown]
	v_dual_add_f32 v39, v39, v157 :: v_dual_add_f32 v22, v22, v82
	v_add_f32_e32 v33, v33, v163
	v_fma_f32 v60, v60, v112, -v158
	v_fmac_f32_e32 v79, v85, v106
	v_dual_fmac_f32 v83, v85, v108 :: v_dual_add_f32 v42, v42, v109
	v_fmac_f32_e32 v102, v85, v110
	v_dual_fmac_f32 v107, v85, v112 :: v_dual_add_f32 v40, v14, v81
	v_add_f32_e32 v27, v27, v171
	v_add_f32_e32 v29, v29, v172
	;; [unrolled: 1-line block ×19, first 2 shown]
	v_dual_add_f32 v51, v51, v148 :: v_dual_add_f32 v48, v48, v73
	v_add_f32_e32 v49, v49, v156
	v_add_f32_e32 v46, v46, v60
	;; [unrolled: 1-line block ×15, first 2 shown]
	s_wait_alu 0xfffe
	s_cbranch_vccnz .LBB93_5
.LBB93_6:                               ;   in Loop: Header=BB93_3 Depth=1
	s_mul_u64 s[18:19], s[26:27], s[2:3]
	s_and_not1_b32 vcc_lo, exec_lo, s1
	s_wait_alu 0xfffe
	s_lshl_b64 s[18:19], s[18:19], 3
	s_mov_b32 s24, -1
	s_wait_alu 0xfffe
	s_add_nc_u64 s[18:19], s[10:11], s[18:19]
                                        ; implicit-def: $vgpr10
                                        ; implicit-def: $vgpr8_vgpr9
	s_cbranch_vccz .LBB93_8
; %bb.7:                                ;   in Loop: Header=BB93_3 Depth=1
	s_and_not1_b32 vcc_lo, exec_lo, s24
	s_wait_alu 0xfffe
	s_cbranch_vccnz .LBB93_2
	s_branch .LBB93_9
.LBB93_8:                               ;   in Loop: Header=BB93_3 Depth=1
	v_lshlrev_b64_e32 v[8:9], 3, v[0:1]
	v_lshlrev_b64_e32 v[11:12], 3, v[2:3]
	v_dual_mul_f32 v10, s22, v53 :: v_dual_mul_f32 v55, s22, v51
	v_dual_mul_f32 v13, s23, v53 :: v_dual_mul_f32 v54, s23, v51
	v_mul_f32_e32 v57, s22, v49
	s_wait_alu 0xfffe
	v_add_co_u32 v8, vcc_lo, s18, v8
	s_wait_alu 0xfffd
	v_add_co_ci_u32_e64 v15, null, s19, v9, vcc_lo
	v_dual_mul_f32 v56, s23, v49 :: v_dual_mul_f32 v59, s22, v47
	v_fmac_f32_e32 v10, s23, v52
	v_fma_f32 v9, v52, s22, -v13
	v_add_co_u32 v13, vcc_lo, v8, v11
	v_dual_mul_f32 v58, s23, v47 :: v_dual_fmac_f32 v55, s23, v50
	s_wait_alu 0xfffd
	v_add_co_ci_u32_e64 v14, null, v15, v12, vcc_lo
	v_fma_f32 v54, v50, s22, -v54
	v_fma_f32 v56, v48, s22, -v56
	v_fmac_f32_e32 v57, s23, v48
	v_fma_f32 v58, v46, s22, -v58
	v_fmac_f32_e32 v59, s23, v46
	s_clause 0x3
	global_store_b64 v[13:14], v[9:10], off
	global_store_b64 v[13:14], v[54:55], off offset:128
	global_store_b64 v[13:14], v[56:57], off offset:256
	;; [unrolled: 1-line block ×3, first 2 shown]
	v_mul_f32_e32 v10, s23, v45
	v_dual_mul_f32 v9, s22, v45 :: v_dual_mul_f32 v58, s23, v39
	v_add_co_u32 v60, vcc_lo, v8, s16
	s_delay_alu instid0(VALU_DEP_3) | instskip(NEXT) | instid1(VALU_DEP_3)
	v_fma_f32 v8, v44, s22, -v10
	v_dual_mul_f32 v10, s23, v43 :: v_dual_fmac_f32 v9, s23, v44
	s_wait_alu 0xfffd
	v_add_co_ci_u32_e64 v15, null, s17, v15, vcc_lo
	v_mul_f32_e32 v55, s22, v43
	s_delay_alu instid0(VALU_DEP_3) | instskip(SKIP_4) | instid1(VALU_DEP_3)
	v_fma_f32 v54, v42, s22, -v10
	v_mul_f32_e32 v10, s23, v41
	v_add_co_u32 v13, vcc_lo, v60, v11
	s_wait_alu 0xfffd
	v_add_co_ci_u32_e64 v14, null, v15, v12, vcc_lo
	v_fma_f32 v56, v40, s22, -v10
	v_mul_f32_e32 v10, s23, v37
	v_mul_f32_e32 v57, s22, v41
	v_add_co_u32 v70, vcc_lo, v60, s16
	v_mul_f32_e32 v59, s22, v39
	s_delay_alu instid0(VALU_DEP_4) | instskip(SKIP_4) | instid1(VALU_DEP_3)
	v_fma_f32 v60, v36, s22, -v10
	v_dual_mul_f32 v10, s23, v35 :: v_dual_mul_f32 v61, s22, v37
	s_wait_alu 0xfffd
	v_add_co_ci_u32_e64 v15, null, s17, v15, vcc_lo
	v_dual_fmac_f32 v55, s23, v42 :: v_dual_mul_f32 v68, s23, v31
	v_fma_f32 v64, v34, s22, -v10
	v_dual_mul_f32 v65, s22, v35 :: v_dual_mul_f32 v10, s23, v33
	v_mul_f32_e32 v67, s22, v33
	v_mul_f32_e32 v69, s22, v31
	v_fmac_f32_e32 v57, s23, v40
	v_add_co_u32 v62, vcc_lo, v70, v11
	v_fma_f32 v58, v38, s22, -v58
	v_fmac_f32_e32 v59, s23, v38
	v_fmac_f32_e32 v61, s23, v36
	s_wait_alu 0xfffd
	v_add_co_ci_u32_e64 v63, null, v15, v12, vcc_lo
	v_fmac_f32_e32 v65, s23, v34
	v_fma_f32 v66, v32, s22, -v10
	v_fmac_f32_e32 v67, s23, v32
	v_fma_f32 v68, v30, s22, -v68
	v_fmac_f32_e32 v69, s23, v30
	s_clause 0x7
	global_store_b64 v[13:14], v[8:9], off
	global_store_b64 v[13:14], v[54:55], off offset:128
	global_store_b64 v[13:14], v[56:57], off offset:256
	;; [unrolled: 1-line block ×3, first 2 shown]
	global_store_b64 v[62:63], v[60:61], off
	global_store_b64 v[62:63], v[64:65], off offset:128
	global_store_b64 v[62:63], v[66:67], off offset:256
	;; [unrolled: 1-line block ×3, first 2 shown]
	v_mul_f32_e32 v8, s23, v29
	v_add_co_u32 v9, vcc_lo, v70, s16
	s_wait_alu 0xfffd
	v_add_co_ci_u32_e64 v10, null, s17, v15, vcc_lo
	s_delay_alu instid0(VALU_DEP_3)
	v_fma_f32 v13, v28, s22, -v8
	v_mul_f32_e32 v8, s23, v27
	v_add_co_u32 v11, vcc_lo, v9, v11
	v_mul_f32_e32 v14, s22, v29
	s_wait_alu 0xfffd
	v_add_co_ci_u32_e64 v12, null, v10, v12, vcc_lo
	v_fma_f32 v54, v26, s22, -v8
	v_dual_mul_f32 v8, s23, v25 :: v_dual_mul_f32 v9, s23, v23
	v_mul_f32_e32 v10, s22, v23
	v_mul_f32_e32 v55, s22, v27
	;; [unrolled: 1-line block ×3, first 2 shown]
	s_delay_alu instid0(VALU_DEP_4)
	v_fma_f32 v56, v24, s22, -v8
	v_add_co_u32 v8, vcc_lo, 0x180, v11
	v_fmac_f32_e32 v14, s23, v28
	v_fma_f32 v15, v22, s22, -v9
	v_fmac_f32_e32 v10, s23, v22
	s_wait_alu 0xfffd
	v_add_co_ci_u32_e64 v9, null, 0, v12, vcc_lo
	v_fmac_f32_e32 v55, s23, v26
	v_fmac_f32_e32 v57, s23, v24
	s_clause 0x3
	global_store_b64 v[11:12], v[13:14], off
	global_store_b64 v[11:12], v[54:55], off offset:128
	global_store_b64 v[11:12], v[56:57], off offset:256
	global_store_b32 v[11:12], v15, off offset:384
	s_cbranch_execnz .LBB93_2
.LBB93_9:                               ;   in Loop: Header=BB93_3 Depth=1
	s_mul_u64 s[24:25], s[8:9], s[2:3]
	v_lshlrev_b64_e32 v[8:9], 3, v[2:3]
	s_wait_alu 0xfffe
	s_lshl_b64 s[24:25], s[24:25], 3
	v_mul_f32_e32 v56, s23, v53
	s_wait_alu 0xfffe
	v_add_co_u32 v54, vcc_lo, v20, s24
	s_wait_alu 0xfffd
	v_add_co_ci_u32_e64 v55, null, s25, v21, vcc_lo
	v_mul_f32_e32 v53, s22, v53
	s_delay_alu instid0(VALU_DEP_3) | instskip(SKIP_1) | instid1(VALU_DEP_3)
	v_add_co_u32 v10, vcc_lo, v54, v8
	s_wait_alu 0xfffd
	v_add_co_ci_u32_e64 v11, null, v55, v9, vcc_lo
	v_lshlrev_b64_e32 v[14:15], 3, v[0:1]
	v_fmac_f32_e32 v53, s23, v52
	v_fma_f32 v56, v52, s22, -v56
	global_load_b64 v[12:13], v[10:11], off
	v_add_co_u32 v58, vcc_lo, s18, v14
	s_wait_alu 0xfffd
	v_add_co_ci_u32_e64 v59, null, s19, v15, vcc_lo
	s_wait_loadcnt 0x0
	v_mul_f32_e32 v57, s34, v13
	s_delay_alu instid0(VALU_DEP_1) | instskip(NEXT) | instid1(VALU_DEP_1)
	v_dual_mul_f32 v52, s35, v13 :: v_dual_fmac_f32 v57, s35, v12
	v_fma_f32 v14, v12, s34, -v52
	v_mul_f32_e32 v52, s23, v51
	v_add_co_u32 v12, vcc_lo, v58, v8
	s_wait_alu 0xfffd
	v_add_co_ci_u32_e64 v13, null, v59, v9, vcc_lo
	v_add_f32_e32 v14, v56, v14
	v_fma_f32 v52, v50, s22, -v52
	v_add_f32_e32 v15, v53, v57
	v_mul_f32_e32 v51, s22, v51
	global_store_b64 v[12:13], v[14:15], off
	global_load_b64 v[14:15], v[10:11], off offset:128
	v_fmac_f32_e32 v51, s23, v50
	s_wait_loadcnt 0x0
	v_mul_f32_e32 v53, s35, v15
	v_mul_f32_e32 v15, s34, v15
	s_delay_alu instid0(VALU_DEP_2) | instskip(NEXT) | instid1(VALU_DEP_2)
	v_fma_f32 v50, v14, s34, -v53
	v_fmac_f32_e32 v15, s35, v14
	s_delay_alu instid0(VALU_DEP_1)
	v_dual_add_f32 v14, v52, v50 :: v_dual_add_f32 v15, v51, v15
	v_mul_f32_e32 v50, s23, v49
	v_mul_f32_e32 v49, s22, v49
	global_store_b64 v[12:13], v[14:15], off offset:128
	global_load_b64 v[14:15], v[10:11], off offset:256
	v_fma_f32 v50, v48, s22, -v50
	v_fmac_f32_e32 v49, s23, v48
	s_wait_loadcnt 0x0
	v_mul_f32_e32 v51, s35, v15
	v_mul_f32_e32 v15, s34, v15
	s_delay_alu instid0(VALU_DEP_2) | instskip(NEXT) | instid1(VALU_DEP_1)
	v_fma_f32 v48, v14, s34, -v51
	v_dual_fmac_f32 v15, s35, v14 :: v_dual_add_f32 v14, v50, v48
	s_delay_alu instid0(VALU_DEP_1) | instskip(SKIP_4) | instid1(VALU_DEP_2)
	v_add_f32_e32 v15, v49, v15
	global_store_b64 v[12:13], v[14:15], off offset:256
	global_load_b64 v[10:11], v[10:11], off offset:384
	v_mul_f32_e32 v14, s23, v47
	v_mul_f32_e32 v15, s22, v47
	v_fma_f32 v14, v46, s22, -v14
	s_delay_alu instid0(VALU_DEP_2) | instskip(SKIP_3) | instid1(VALU_DEP_2)
	v_fmac_f32_e32 v15, s23, v46
	s_wait_loadcnt 0x0
	v_mul_f32_e32 v47, s35, v11
	v_mul_f32_e32 v11, s34, v11
	v_fma_f32 v46, v10, s34, -v47
	v_add_co_u32 v47, vcc_lo, v54, s14
	s_delay_alu instid0(VALU_DEP_3)
	v_fmac_f32_e32 v11, s35, v10
	s_wait_alu 0xfffd
	v_add_co_ci_u32_e64 v48, null, s15, v55, vcc_lo
	v_add_f32_e32 v10, v14, v46
	v_add_co_u32 v14, vcc_lo, v47, v8
	v_add_f32_e32 v11, v15, v11
	s_wait_alu 0xfffd
	v_add_co_ci_u32_e64 v15, null, v48, v9, vcc_lo
	v_add_co_u32 v46, vcc_lo, v58, s16
	global_store_b64 v[12:13], v[10:11], off offset:384
	global_load_b64 v[10:11], v[14:15], off
	v_mul_f32_e32 v12, s23, v45
	v_mul_f32_e32 v13, s22, v45
	s_wait_alu 0xfffd
	v_add_co_ci_u32_e64 v49, null, s17, v59, vcc_lo
	s_delay_alu instid0(VALU_DEP_3) | instskip(SKIP_3) | instid1(VALU_DEP_2)
	v_fma_f32 v12, v44, s22, -v12
	s_wait_loadcnt 0x0
	v_dual_fmac_f32 v13, s23, v44 :: v_dual_mul_f32 v44, s35, v11
	v_mul_f32_e32 v45, s34, v11
	v_fma_f32 v44, v10, s34, -v44
	s_delay_alu instid0(VALU_DEP_2) | instskip(SKIP_3) | instid1(VALU_DEP_3)
	v_fmac_f32_e32 v45, s35, v10
	v_add_co_u32 v10, vcc_lo, v46, v8
	s_wait_alu 0xfffd
	v_add_co_ci_u32_e64 v11, null, v49, v9, vcc_lo
	v_dual_add_f32 v12, v12, v44 :: v_dual_add_f32 v13, v13, v45
	v_mul_f32_e32 v44, s23, v43
	v_mul_f32_e32 v43, s22, v43
	global_store_b64 v[10:11], v[12:13], off
	global_load_b64 v[12:13], v[14:15], off offset:128
	v_fma_f32 v44, v42, s22, -v44
	v_fmac_f32_e32 v43, s23, v42
	s_wait_loadcnt 0x0
	v_mul_f32_e32 v45, s35, v13
	v_mul_f32_e32 v13, s34, v13
	s_delay_alu instid0(VALU_DEP_2) | instskip(NEXT) | instid1(VALU_DEP_1)
	v_fma_f32 v42, v12, s34, -v45
	v_dual_fmac_f32 v13, s35, v12 :: v_dual_add_f32 v12, v44, v42
	s_delay_alu instid0(VALU_DEP_1)
	v_add_f32_e32 v13, v43, v13
	v_mul_f32_e32 v42, s23, v41
	v_mul_f32_e32 v41, s22, v41
	global_store_b64 v[10:11], v[12:13], off offset:128
	global_load_b64 v[12:13], v[14:15], off offset:256
	v_fma_f32 v42, v40, s22, -v42
	v_fmac_f32_e32 v41, s23, v40
	s_wait_loadcnt 0x0
	v_mul_f32_e32 v43, s35, v13
	v_mul_f32_e32 v13, s34, v13
	s_delay_alu instid0(VALU_DEP_2) | instskip(NEXT) | instid1(VALU_DEP_2)
	v_fma_f32 v40, v12, s34, -v43
	v_fmac_f32_e32 v13, s35, v12
	s_delay_alu instid0(VALU_DEP_1) | instskip(SKIP_4) | instid1(VALU_DEP_2)
	v_dual_add_f32 v12, v42, v40 :: v_dual_add_f32 v13, v41, v13
	global_store_b64 v[10:11], v[12:13], off offset:256
	global_load_b64 v[12:13], v[14:15], off offset:384
	v_mul_f32_e32 v14, s23, v39
	v_mul_f32_e32 v15, s22, v39
	v_fma_f32 v14, v38, s22, -v14
	s_delay_alu instid0(VALU_DEP_2) | instskip(SKIP_3) | instid1(VALU_DEP_2)
	v_fmac_f32_e32 v15, s23, v38
	s_wait_loadcnt 0x0
	v_mul_f32_e32 v39, s35, v13
	v_mul_f32_e32 v13, s34, v13
	v_fma_f32 v38, v12, s34, -v39
	v_add_co_u32 v39, vcc_lo, v47, s14
	s_delay_alu instid0(VALU_DEP_3)
	v_fmac_f32_e32 v13, s35, v12
	s_wait_alu 0xfffd
	v_add_co_ci_u32_e64 v40, null, s15, v48, vcc_lo
	v_add_f32_e32 v12, v14, v38
	v_add_co_u32 v14, vcc_lo, v39, v8
	v_add_f32_e32 v13, v15, v13
	s_wait_alu 0xfffd
	v_add_co_ci_u32_e64 v15, null, v40, v9, vcc_lo
	v_add_co_u32 v38, vcc_lo, v46, s16
	global_store_b64 v[10:11], v[12:13], off offset:384
	global_load_b64 v[10:11], v[14:15], off
	v_mul_f32_e32 v12, s23, v37
	v_mul_f32_e32 v13, s22, v37
	s_wait_alu 0xfffd
	v_add_co_ci_u32_e64 v41, null, s17, v49, vcc_lo
	s_delay_alu instid0(VALU_DEP_3) | instskip(SKIP_3) | instid1(VALU_DEP_2)
	v_fma_f32 v12, v36, s22, -v12
	s_wait_loadcnt 0x0
	v_dual_fmac_f32 v13, s23, v36 :: v_dual_mul_f32 v36, s35, v11
	v_mul_f32_e32 v37, s34, v11
	v_fma_f32 v36, v10, s34, -v36
	s_delay_alu instid0(VALU_DEP_2) | instskip(SKIP_3) | instid1(VALU_DEP_3)
	v_fmac_f32_e32 v37, s35, v10
	v_add_co_u32 v10, vcc_lo, v38, v8
	s_wait_alu 0xfffd
	v_add_co_ci_u32_e64 v11, null, v41, v9, vcc_lo
	v_dual_add_f32 v12, v12, v36 :: v_dual_add_f32 v13, v13, v37
	v_mul_f32_e32 v36, s23, v35
	v_mul_f32_e32 v35, s22, v35
	global_store_b64 v[10:11], v[12:13], off
	global_load_b64 v[12:13], v[14:15], off offset:128
	v_fma_f32 v36, v34, s22, -v36
	v_fmac_f32_e32 v35, s23, v34
	s_wait_loadcnt 0x0
	v_mul_f32_e32 v37, s35, v13
	v_mul_f32_e32 v13, s34, v13
	s_delay_alu instid0(VALU_DEP_2) | instskip(NEXT) | instid1(VALU_DEP_1)
	v_fma_f32 v34, v12, s34, -v37
	v_dual_fmac_f32 v13, s35, v12 :: v_dual_add_f32 v12, v36, v34
	s_delay_alu instid0(VALU_DEP_1)
	v_add_f32_e32 v13, v35, v13
	v_mul_f32_e32 v34, s23, v33
	v_mul_f32_e32 v33, s22, v33
	global_store_b64 v[10:11], v[12:13], off offset:128
	global_load_b64 v[12:13], v[14:15], off offset:256
	v_fma_f32 v34, v32, s22, -v34
	v_fmac_f32_e32 v33, s23, v32
	s_wait_loadcnt 0x0
	v_mul_f32_e32 v35, s35, v13
	v_mul_f32_e32 v13, s34, v13
	s_delay_alu instid0(VALU_DEP_2) | instskip(NEXT) | instid1(VALU_DEP_2)
	v_fma_f32 v32, v12, s34, -v35
	v_fmac_f32_e32 v13, s35, v12
	s_delay_alu instid0(VALU_DEP_1) | instskip(SKIP_4) | instid1(VALU_DEP_2)
	v_dual_add_f32 v12, v34, v32 :: v_dual_add_f32 v13, v33, v13
	global_store_b64 v[10:11], v[12:13], off offset:256
	global_load_b64 v[12:13], v[14:15], off offset:384
	v_mul_f32_e32 v14, s23, v31
	v_mul_f32_e32 v15, s22, v31
	v_fma_f32 v14, v30, s22, -v14
	s_delay_alu instid0(VALU_DEP_2) | instskip(SKIP_3) | instid1(VALU_DEP_2)
	v_fmac_f32_e32 v15, s23, v30
	s_wait_loadcnt 0x0
	v_mul_f32_e32 v31, s35, v13
	v_mul_f32_e32 v13, s34, v13
	v_fma_f32 v30, v12, s34, -v31
	v_add_co_u32 v31, vcc_lo, v39, s14
	s_delay_alu instid0(VALU_DEP_3)
	v_fmac_f32_e32 v13, s35, v12
	s_wait_alu 0xfffd
	v_add_co_ci_u32_e64 v32, null, s15, v40, vcc_lo
	v_add_f32_e32 v12, v14, v30
	v_add_co_u32 v14, vcc_lo, v31, v8
	v_add_f32_e32 v13, v15, v13
	s_wait_alu 0xfffd
	v_add_co_ci_u32_e64 v15, null, v32, v9, vcc_lo
	global_store_b64 v[10:11], v[12:13], off offset:384
	global_load_b64 v[10:11], v[14:15], off
	v_mul_f32_e32 v12, s23, v29
	v_mul_f32_e32 v13, s22, v29
	s_delay_alu instid0(VALU_DEP_2) | instskip(SKIP_1) | instid1(VALU_DEP_2)
	v_fma_f32 v29, v28, s22, -v12
	s_wait_loadcnt 0x0
	v_dual_fmac_f32 v13, s23, v28 :: v_dual_mul_f32 v12, s35, v11
	v_mul_f32_e32 v28, s34, v11
	v_add_co_u32 v11, vcc_lo, v38, s16
	s_wait_alu 0xfffd
	v_add_co_ci_u32_e64 v30, null, s17, v41, vcc_lo
	v_fma_f32 v31, v10, s34, -v12
	v_fmac_f32_e32 v28, s35, v10
	v_add_co_u32 v11, vcc_lo, v11, v8
	s_wait_alu 0xfffd
	v_add_co_ci_u32_e64 v12, null, v30, v9, vcc_lo
	v_add_f32_e32 v8, v29, v31
	v_dual_add_f32 v9, v13, v28 :: v_dual_mul_f32 v10, s23, v27
	v_mul_f32_e32 v13, s22, v27
	global_store_b64 v[11:12], v[8:9], off
	global_load_b64 v[8:9], v[14:15], off offset:128
	v_fma_f32 v10, v26, s22, -v10
	v_fmac_f32_e32 v13, s23, v26
	s_wait_loadcnt 0x0
	v_mul_f32_e32 v27, s35, v9
	v_mul_f32_e32 v9, s34, v9
	s_delay_alu instid0(VALU_DEP_2) | instskip(NEXT) | instid1(VALU_DEP_1)
	v_fma_f32 v26, v8, s34, -v27
	v_dual_fmac_f32 v9, s35, v8 :: v_dual_add_f32 v8, v10, v26
	s_delay_alu instid0(VALU_DEP_1)
	v_add_f32_e32 v9, v13, v9
	v_mul_f32_e32 v10, s23, v25
	v_mul_f32_e32 v13, s22, v25
	global_store_b64 v[11:12], v[8:9], off offset:128
	global_load_b64 v[8:9], v[14:15], off offset:256
	v_fma_f32 v10, v24, s22, -v10
	v_fmac_f32_e32 v13, s23, v24
	s_wait_loadcnt 0x0
	v_mul_f32_e32 v25, s35, v9
	v_mul_f32_e32 v9, s34, v9
	s_delay_alu instid0(VALU_DEP_2) | instskip(NEXT) | instid1(VALU_DEP_2)
	v_fma_f32 v24, v8, s34, -v25
	v_fmac_f32_e32 v9, s35, v8
	s_delay_alu instid0(VALU_DEP_1)
	v_dual_add_f32 v8, v10, v24 :: v_dual_add_f32 v9, v13, v9
	v_mul_f32_e32 v10, s23, v23
	v_mul_f32_e32 v13, s22, v23
	global_store_b64 v[11:12], v[8:9], off offset:256
	global_load_b64 v[8:9], v[14:15], off offset:384
	v_fma_f32 v10, v22, s22, -v10
	s_wait_loadcnt 0x0
	v_dual_fmac_f32 v13, s23, v22 :: v_dual_mul_f32 v14, s35, v9
	v_mul_f32_e32 v9, s34, v9
	s_delay_alu instid0(VALU_DEP_2) | instskip(NEXT) | instid1(VALU_DEP_2)
	v_fma_f32 v14, v8, s34, -v14
	v_fmac_f32_e32 v9, s35, v8
	v_add_co_u32 v8, vcc_lo, 0x180, v11
	s_delay_alu instid0(VALU_DEP_3) | instskip(NEXT) | instid1(VALU_DEP_3)
	v_add_f32_e32 v14, v10, v14
	v_add_f32_e32 v10, v13, v9
	s_wait_alu 0xfffd
	v_add_co_ci_u32_e64 v9, null, 0, v12, vcc_lo
	global_store_b32 v[11:12], v14, off offset:384
	s_branch .LBB93_2
.LBB93_10:
	s_nop 0
	s_sendmsg sendmsg(MSG_DEALLOC_VGPRS)
	s_endpgm
	.section	.rodata,"a",@progbits
	.p2align	6, 0x0
	.amdhsa_kernel _ZN12_GLOBAL__N_127rocblas_gemm_batched_kernelI19rocblas_complex_numIfELi16ELi16ELi64ELi64ELi4ELi64ELi4ELi4ELi64ELc67ELc67EKS2_S3_S2_EEvlllT_PT11_llS6_llS4_PT12_llPT13_lli
		.amdhsa_group_segment_fixed_size 4096
		.amdhsa_private_segment_fixed_size 0
		.amdhsa_kernarg_size 140
		.amdhsa_user_sgpr_count 2
		.amdhsa_user_sgpr_dispatch_ptr 0
		.amdhsa_user_sgpr_queue_ptr 0
		.amdhsa_user_sgpr_kernarg_segment_ptr 1
		.amdhsa_user_sgpr_dispatch_id 0
		.amdhsa_user_sgpr_private_segment_size 0
		.amdhsa_wavefront_size32 1
		.amdhsa_uses_dynamic_stack 0
		.amdhsa_enable_private_segment 0
		.amdhsa_system_sgpr_workgroup_id_x 1
		.amdhsa_system_sgpr_workgroup_id_y 1
		.amdhsa_system_sgpr_workgroup_id_z 1
		.amdhsa_system_sgpr_workgroup_info 0
		.amdhsa_system_vgpr_workitem_id 1
		.amdhsa_next_free_vgpr 196
		.amdhsa_next_free_sgpr 39
		.amdhsa_reserve_vcc 1
		.amdhsa_float_round_mode_32 0
		.amdhsa_float_round_mode_16_64 0
		.amdhsa_float_denorm_mode_32 3
		.amdhsa_float_denorm_mode_16_64 3
		.amdhsa_fp16_overflow 0
		.amdhsa_workgroup_processor_mode 1
		.amdhsa_memory_ordered 1
		.amdhsa_forward_progress 1
		.amdhsa_inst_pref_size 44
		.amdhsa_round_robin_scheduling 0
		.amdhsa_exception_fp_ieee_invalid_op 0
		.amdhsa_exception_fp_denorm_src 0
		.amdhsa_exception_fp_ieee_div_zero 0
		.amdhsa_exception_fp_ieee_overflow 0
		.amdhsa_exception_fp_ieee_underflow 0
		.amdhsa_exception_fp_ieee_inexact 0
		.amdhsa_exception_int_div_zero 0
	.end_amdhsa_kernel
	.section	.text._ZN12_GLOBAL__N_127rocblas_gemm_batched_kernelI19rocblas_complex_numIfELi16ELi16ELi64ELi64ELi4ELi64ELi4ELi4ELi64ELc67ELc67EKS2_S3_S2_EEvlllT_PT11_llS6_llS4_PT12_llPT13_lli,"axG",@progbits,_ZN12_GLOBAL__N_127rocblas_gemm_batched_kernelI19rocblas_complex_numIfELi16ELi16ELi64ELi64ELi4ELi64ELi4ELi4ELi64ELc67ELc67EKS2_S3_S2_EEvlllT_PT11_llS6_llS4_PT12_llPT13_lli,comdat
.Lfunc_end93:
	.size	_ZN12_GLOBAL__N_127rocblas_gemm_batched_kernelI19rocblas_complex_numIfELi16ELi16ELi64ELi64ELi4ELi64ELi4ELi4ELi64ELc67ELc67EKS2_S3_S2_EEvlllT_PT11_llS6_llS4_PT12_llPT13_lli, .Lfunc_end93-_ZN12_GLOBAL__N_127rocblas_gemm_batched_kernelI19rocblas_complex_numIfELi16ELi16ELi64ELi64ELi4ELi64ELi4ELi4ELi64ELc67ELc67EKS2_S3_S2_EEvlllT_PT11_llS6_llS4_PT12_llPT13_lli
                                        ; -- End function
	.set _ZN12_GLOBAL__N_127rocblas_gemm_batched_kernelI19rocblas_complex_numIfELi16ELi16ELi64ELi64ELi4ELi64ELi4ELi4ELi64ELc67ELc67EKS2_S3_S2_EEvlllT_PT11_llS6_llS4_PT12_llPT13_lli.num_vgpr, 196
	.set _ZN12_GLOBAL__N_127rocblas_gemm_batched_kernelI19rocblas_complex_numIfELi16ELi16ELi64ELi64ELi4ELi64ELi4ELi4ELi64ELc67ELc67EKS2_S3_S2_EEvlllT_PT11_llS6_llS4_PT12_llPT13_lli.num_agpr, 0
	.set _ZN12_GLOBAL__N_127rocblas_gemm_batched_kernelI19rocblas_complex_numIfELi16ELi16ELi64ELi64ELi4ELi64ELi4ELi4ELi64ELc67ELc67EKS2_S3_S2_EEvlllT_PT11_llS6_llS4_PT12_llPT13_lli.numbered_sgpr, 39
	.set _ZN12_GLOBAL__N_127rocblas_gemm_batched_kernelI19rocblas_complex_numIfELi16ELi16ELi64ELi64ELi4ELi64ELi4ELi4ELi64ELc67ELc67EKS2_S3_S2_EEvlllT_PT11_llS6_llS4_PT12_llPT13_lli.num_named_barrier, 0
	.set _ZN12_GLOBAL__N_127rocblas_gemm_batched_kernelI19rocblas_complex_numIfELi16ELi16ELi64ELi64ELi4ELi64ELi4ELi4ELi64ELc67ELc67EKS2_S3_S2_EEvlllT_PT11_llS6_llS4_PT12_llPT13_lli.private_seg_size, 0
	.set _ZN12_GLOBAL__N_127rocblas_gemm_batched_kernelI19rocblas_complex_numIfELi16ELi16ELi64ELi64ELi4ELi64ELi4ELi4ELi64ELc67ELc67EKS2_S3_S2_EEvlllT_PT11_llS6_llS4_PT12_llPT13_lli.uses_vcc, 1
	.set _ZN12_GLOBAL__N_127rocblas_gemm_batched_kernelI19rocblas_complex_numIfELi16ELi16ELi64ELi64ELi4ELi64ELi4ELi4ELi64ELc67ELc67EKS2_S3_S2_EEvlllT_PT11_llS6_llS4_PT12_llPT13_lli.uses_flat_scratch, 0
	.set _ZN12_GLOBAL__N_127rocblas_gemm_batched_kernelI19rocblas_complex_numIfELi16ELi16ELi64ELi64ELi4ELi64ELi4ELi4ELi64ELc67ELc67EKS2_S3_S2_EEvlllT_PT11_llS6_llS4_PT12_llPT13_lli.has_dyn_sized_stack, 0
	.set _ZN12_GLOBAL__N_127rocblas_gemm_batched_kernelI19rocblas_complex_numIfELi16ELi16ELi64ELi64ELi4ELi64ELi4ELi4ELi64ELc67ELc67EKS2_S3_S2_EEvlllT_PT11_llS6_llS4_PT12_llPT13_lli.has_recursion, 0
	.set _ZN12_GLOBAL__N_127rocblas_gemm_batched_kernelI19rocblas_complex_numIfELi16ELi16ELi64ELi64ELi4ELi64ELi4ELi4ELi64ELc67ELc67EKS2_S3_S2_EEvlllT_PT11_llS6_llS4_PT12_llPT13_lli.has_indirect_call, 0
	.section	.AMDGPU.csdata,"",@progbits
; Kernel info:
; codeLenInByte = 5540
; TotalNumSgprs: 41
; NumVgprs: 196
; ScratchSize: 0
; MemoryBound: 0
; FloatMode: 240
; IeeeMode: 1
; LDSByteSize: 4096 bytes/workgroup (compile time only)
; SGPRBlocks: 0
; VGPRBlocks: 24
; NumSGPRsForWavesPerEU: 41
; NumVGPRsForWavesPerEU: 196
; Occupancy: 7
; WaveLimiterHint : 1
; COMPUTE_PGM_RSRC2:SCRATCH_EN: 0
; COMPUTE_PGM_RSRC2:USER_SGPR: 2
; COMPUTE_PGM_RSRC2:TRAP_HANDLER: 0
; COMPUTE_PGM_RSRC2:TGID_X_EN: 1
; COMPUTE_PGM_RSRC2:TGID_Y_EN: 1
; COMPUTE_PGM_RSRC2:TGID_Z_EN: 1
; COMPUTE_PGM_RSRC2:TIDIG_COMP_CNT: 1
	.section	.text._ZN12_GLOBAL__N_127rocblas_gemm_batched_kernelI19rocblas_complex_numIfELi16ELi16ELi64ELi64ELi4ELi64ELi4ELi4ELi64ELc67ELc78EKS2_S3_S2_EEvlllT_PT11_llS6_llS4_PT12_llPT13_lli,"axG",@progbits,_ZN12_GLOBAL__N_127rocblas_gemm_batched_kernelI19rocblas_complex_numIfELi16ELi16ELi64ELi64ELi4ELi64ELi4ELi4ELi64ELc67ELc78EKS2_S3_S2_EEvlllT_PT11_llS6_llS4_PT12_llPT13_lli,comdat
	.globl	_ZN12_GLOBAL__N_127rocblas_gemm_batched_kernelI19rocblas_complex_numIfELi16ELi16ELi64ELi64ELi4ELi64ELi4ELi4ELi64ELc67ELc78EKS2_S3_S2_EEvlllT_PT11_llS6_llS4_PT12_llPT13_lli ; -- Begin function _ZN12_GLOBAL__N_127rocblas_gemm_batched_kernelI19rocblas_complex_numIfELi16ELi16ELi64ELi64ELi4ELi64ELi4ELi4ELi64ELc67ELc78EKS2_S3_S2_EEvlllT_PT11_llS6_llS4_PT12_llPT13_lli
	.p2align	8
	.type	_ZN12_GLOBAL__N_127rocblas_gemm_batched_kernelI19rocblas_complex_numIfELi16ELi16ELi64ELi64ELi4ELi64ELi4ELi4ELi64ELc67ELc78EKS2_S3_S2_EEvlllT_PT11_llS6_llS4_PT12_llPT13_lli,@function
_ZN12_GLOBAL__N_127rocblas_gemm_batched_kernelI19rocblas_complex_numIfELi16ELi16ELi64ELi64ELi4ELi64ELi4ELi4ELi64ELc67ELc78EKS2_S3_S2_EEvlllT_PT11_llS6_llS4_PT12_llPT13_lli: ; @_ZN12_GLOBAL__N_127rocblas_gemm_batched_kernelI19rocblas_complex_numIfELi16ELi16ELi64ELi64ELi4ELi64ELi4ELi4ELi64ELc67ELc78EKS2_S3_S2_EEvlllT_PT11_llS6_llS4_PT12_llPT13_lli
; %bb.0:
	s_load_b32 s33, s[0:1], 0x88
	s_lshr_b32 s2, ttmp7, 16
	s_wait_kmcnt 0x0
	s_cmp_ge_i32 s2, s33
	s_cbranch_scc1 .LBB94_10
; %bb.1:
	v_and_b32_e32 v3, 0x3ff, v0
	v_bfe_u32 v2, v0, 10, 10
	s_clause 0x3
	s_load_b256 s[4:11], s[0:1], 0x58
	s_load_b128 s[20:23], s[0:1], 0x10
	s_load_b256 s[12:19], s[0:1], 0x20
	s_load_b128 s[24:27], s[0:1], 0x78
	v_lshlrev_b32_e32 v0, 3, v0
	s_clause 0x1
	s_load_b128 s[28:31], s[0:1], 0x40
	s_load_b64 s[34:35], s[0:1], 0x50
	v_lshl_add_u32 v1, v2, 4, v3
	s_lshl_b32 s0, ttmp7, 6
	s_mov_b32 s36, ttmp9
	v_and_b32_e32 v12, 24, v0
	s_and_b32 s0, s0, 0x3fffc0
	v_and_b32_e32 v6, 63, v1
	v_lshrrev_b32_e32 v11, 6, v1
	v_lshrrev_b32_e32 v1, 2, v1
	v_add_nc_u32_e32 v7, s0, v2
	s_ashr_i32 s37, ttmp9, 31
	v_lshlrev_b32_e32 v0, 3, v6
	s_lshl_b64 s[36:37], s[36:37], 6
	v_lshl_or_b32 v4, v1, 5, v12
	v_add_nc_u32_e32 v13, s0, v1
	v_lshl_add_u32 v19, v2, 5, 0x800
	v_lshl_or_b32 v16, v11, 9, v0
	v_or_b32_e32 v8, s36, v6
	v_add_nc_u32_e32 v17, 0x800, v4
	s_wait_kmcnt 0x0
	v_mad_co_u64_u32 v[4:5], null, v7, s6, 0
	v_mad_co_u64_u32 v[0:1], null, v7, s24, 0
	s_or_b32 s0, s34, s35
	v_mul_lo_u32 v14, s15, v8
	s_wait_alu 0xfffe
	s_bitset0_b32 s0, 31
	v_mad_co_u64_u32 v[9:10], null, s28, v13, 0
	v_mov_b32_e32 v2, v5
	s_wait_alu 0xfffe
	s_cmp_eq_u32 s0, 0
	v_lshlrev_b32_e32 v18, 3, v3
	s_cselect_b32 s1, -1, 0
	s_mov_b32 s3, 0
	v_mad_co_u64_u32 v[5:6], null, v7, s25, v[1:2]
	v_mad_co_u64_u32 v[6:7], null, v7, s7, v[2:3]
	;; [unrolled: 1-line block ×3, first 2 shown]
	v_add_co_u32 v2, s0, s36, v3
	s_wait_alu 0xf1ff
	v_add_co_ci_u32_e64 v3, null, s37, 0, s0
	s_mul_i32 s0, s14, s37
	v_mov_b32_e32 v1, v5
	v_mov_b32_e32 v5, v6
	s_wait_alu 0xfffe
	v_add3_u32 v8, v8, s0, v14
	v_mov_b32_e32 v6, v10
	v_lshlrev_b32_e32 v14, 3, v11
	v_cmp_gt_i64_e64 s0, s[20:21], 0
	v_lshlrev_b64_e32 v[4:5], 3, v[4:5]
	v_lshlrev_b64_e32 v[7:8], 3, v[7:8]
	s_lshl_b64 s[14:15], s[24:25], 4
	s_lshl_b64 s[24:25], s[6:7], 4
	;; [unrolled: 1-line block ×3, first 2 shown]
	s_wait_alu 0xfffe
	s_lshl_b64 s[14:15], s[14:15], 3
	v_add_co_u32 v20, vcc_lo, s4, v4
	v_mad_co_u64_u32 v[10:11], null, s29, v13, v[6:7]
	v_add_co_ci_u32_e64 v21, null, s5, v5, vcc_lo
	v_add_co_u32 v4, vcc_lo, v7, v14
	s_wait_alu 0xfffd
	v_add_co_ci_u32_e64 v5, null, 0, v8, vcc_lo
	s_delay_alu instid0(VALU_DEP_4) | instskip(NEXT) | instid1(VALU_DEP_3)
	v_lshlrev_b64_e32 v[6:7], 3, v[9:10]
	v_add_co_u32 v4, vcc_lo, s12, v4
	s_wait_alu 0xfffd
	s_delay_alu instid0(VALU_DEP_3) | instskip(SKIP_1) | instid1(VALU_DEP_3)
	v_add_co_ci_u32_e64 v5, null, s13, v5, vcc_lo
	v_cndmask_b32_e64 v8, 0, 1, s0
	v_add_co_u32 v4, vcc_lo, v4, 4
	s_wait_alu 0xfffd
	s_delay_alu instid0(VALU_DEP_3) | instskip(SKIP_4) | instid1(VALU_DEP_3)
	v_add_co_ci_u32_e64 v5, null, 0, v5, vcc_lo
	v_add_co_u32 v6, vcc_lo, v6, v12
	s_wait_alu 0xfffd
	v_add_co_ci_u32_e64 v7, null, 0, v7, vcc_lo
	v_cmp_ne_u32_e64 s0, 1, v8
	v_add_co_u32 v6, vcc_lo, s18, v6
	s_wait_alu 0xfffd
	s_delay_alu instid0(VALU_DEP_3)
	v_add_co_ci_u32_e64 v7, null, s19, v7, vcc_lo
	s_lshl_b64 s[4:5], s[16:17], 3
	s_lshl_b64 s[12:13], s[24:25], 3
	s_branch .LBB94_3
.LBB94_2:                               ;   in Loop: Header=BB94_3 Depth=1
	s_add_co_i32 s2, s2, 0x10000
	global_store_b32 v[8:9], v10, off offset:4
	s_wait_alu 0xfffe
	s_cmp_lt_i32 s2, s33
	s_cbranch_scc0 .LBB94_10
.LBB94_3:                               ; =>This Loop Header: Depth=1
                                        ;     Child Loop BB94_5 Depth 2
	v_dual_mov_b32 v52, 0 :: v_dual_mov_b32 v53, 0
	v_dual_mov_b32 v50, 0 :: v_dual_mov_b32 v51, 0
	;; [unrolled: 1-line block ×16, first 2 shown]
	s_and_b32 vcc_lo, exec_lo, s0
	s_wait_alu 0xfffe
	s_cbranch_vccnz .LBB94_6
; %bb.4:                                ;   in Loop: Header=BB94_3 Depth=1
	v_mad_co_u64_u32 v[8:9], null, s4, s2, v[4:5]
	v_mad_co_u64_u32 v[10:11], null, s6, s2, v[6:7]
	v_dual_mov_b32 v23, 0 :: v_dual_mov_b32 v22, 0
	v_dual_mov_b32 v25, 0 :: v_dual_mov_b32 v24, 0
	;; [unrolled: 1-line block ×3, first 2 shown]
	s_delay_alu instid0(VALU_DEP_4) | instskip(SKIP_3) | instid1(VALU_DEP_4)
	v_mad_co_u64_u32 v[12:13], null, s5, s2, v[9:10]
	v_dual_mov_b32 v29, 0 :: v_dual_mov_b32 v28, 0
	v_dual_mov_b32 v31, 0 :: v_dual_mov_b32 v30, 0
	;; [unrolled: 1-line block ×3, first 2 shown]
	v_mad_co_u64_u32 v[13:14], null, s7, s2, v[11:12]
	v_dual_mov_b32 v9, v12 :: v_dual_mov_b32 v32, 0
	v_dual_mov_b32 v35, 0 :: v_dual_mov_b32 v38, 0
	;; [unrolled: 1-line block ×3, first 2 shown]
	s_delay_alu instid0(VALU_DEP_4)
	v_dual_mov_b32 v40, 0 :: v_dual_mov_b32 v11, v13
	v_dual_mov_b32 v39, 0 :: v_dual_mov_b32 v42, 0
	;; [unrolled: 1-line block ×7, first 2 shown]
	v_mov_b32_e32 v51, 0
	v_mov_b32_e32 v53, 0
	s_mov_b64 s[16:17], 0
.LBB94_5:                               ;   Parent Loop BB94_3 Depth=1
                                        ; =>  This Inner Loop Header: Depth=2
	global_load_b64 v[12:13], v[8:9], off offset:-4
	global_load_b64 v[14:15], v[10:11], off
	s_wait_alu 0xfffe
	s_add_nc_u64 s[16:17], s[16:17], 4
	v_add_co_u32 v8, vcc_lo, v8, 32
	s_wait_alu 0xfffe
	v_cmp_lt_i64_e64 s18, s[16:17], s[20:21]
	s_wait_alu 0xfffd
	v_add_co_ci_u32_e64 v9, null, 0, v9, vcc_lo
	v_add_co_u32 v10, vcc_lo, v10, 32
	s_wait_alu 0xfffd
	v_add_co_ci_u32_e64 v11, null, 0, v11, vcc_lo
	s_and_b32 vcc_lo, exec_lo, s18
	s_wait_loadcnt 0x1
	v_xor_b32_e32 v13, 0x80000000, v13
	s_wait_loadcnt 0x0
	ds_store_b64 v17, v[14:15]
	ds_store_b64 v16, v[12:13]
	s_wait_dscnt 0x0
	s_barrier_signal -1
	s_barrier_wait -1
	global_inv scope:SCOPE_SE
	ds_load_2addr_b64 v[12:15], v18 offset1:16
	ds_load_b128 v[54:57], v19
	ds_load_b128 v[58:61], v19 offset:16
	ds_load_b128 v[62:65], v19 offset:512
	;; [unrolled: 1-line block ×7, first 2 shown]
	ds_load_2addr_b64 v[86:89], v18 offset0:32 offset1:48
	ds_load_2addr_b64 v[90:93], v18 offset0:64 offset1:80
	;; [unrolled: 1-line block ×7, first 2 shown]
	s_wait_loadcnt_dscnt 0x0
	s_barrier_signal -1
	s_barrier_wait -1
	global_inv scope:SCOPE_SE
	v_dual_mul_f32 v114, v55, v13 :: v_dual_mul_f32 v117, v54, v15
	v_dual_mul_f32 v115, v54, v13 :: v_dual_mul_f32 v116, v55, v15
	;; [unrolled: 1-line block ×6, first 2 shown]
	v_mul_f32_e32 v126, v79, v13
	v_dual_mul_f32 v13, v78, v13 :: v_dual_mul_f32 v128, v55, v87
	v_dual_mul_f32 v127, v79, v15 :: v_dual_mul_f32 v144, v57, v93
	;; [unrolled: 1-line block ×9, first 2 shown]
	v_mul_f32_e32 v15, v78, v15
	v_dual_mul_f32 v87, v78, v87 :: v_dual_mul_f32 v148, v57, v97
	v_dual_mul_f32 v89, v78, v89 :: v_dual_mul_f32 v146, v57, v95
	;; [unrolled: 1-line block ×19, first 2 shown]
	v_mul_f32_e32 v181, v74, v101
	v_fma_f32 v114, v54, v12, -v114
	v_fmac_f32_e32 v115, v55, v12
	v_fma_f32 v116, v54, v14, -v116
	v_fmac_f32_e32 v117, v55, v14
	;; [unrolled: 2-line block ×7, first 2 shown]
	v_fma_f32 v12, v78, v14, -v127
	v_fma_f32 v128, v54, v86, -v128
	v_dual_fmac_f32 v129, v55, v86 :: v_dual_mul_f32 v194, v77, v113
	v_fma_f32 v54, v54, v88, -v130
	v_fmac_f32_e32 v131, v55, v88
	v_fma_f32 v55, v62, v86, -v132
	v_fmac_f32_e32 v133, v63, v86
	;; [unrolled: 2-line block ×3, first 2 shown]
	v_fmac_f32_e32 v139, v71, v88
	v_fma_f32 v71, v78, v86, -v140
	v_fma_f32 v78, v78, v88, -v141
	;; [unrolled: 1-line block ×3, first 2 shown]
	v_dual_mul_f32 v144, v60, v107 :: v_dual_fmac_f32 v135, v63, v88
	v_fma_f32 v63, v70, v86, -v136
	v_fma_f32 v70, v70, v88, -v138
	v_dual_mul_f32 v97, v80, v97 :: v_dual_mul_f32 v182, v83, v99
	v_dual_mul_f32 v171, v58, v99 :: v_dual_mul_f32 v188, v67, v105
	;; [unrolled: 1-line block ×3, first 2 shown]
	v_mul_f32_e32 v175, v66, v99
	v_mul_f32_e32 v177, v66, v101
	v_dual_mul_f32 v179, v74, v99 :: v_dual_mul_f32 v138, v83, v105
	v_mul_f32_e32 v99, v82, v99
	v_mul_f32_e32 v183, v83, v101
	;; [unrolled: 1-line block ×5, first 2 shown]
	v_dual_fmac_f32 v15, v79, v14 :: v_dual_mul_f32 v190, v77, v107
	v_mul_f32_e32 v14, v67, v103
	v_dual_mul_f32 v127, v66, v103 :: v_dual_mul_f32 v192, v77, v109
	v_mul_f32_e32 v189, v66, v105
	v_fmac_f32_e32 v87, v79, v86
	v_dual_fmac_f32 v89, v79, v88 :: v_dual_mul_f32 v86, v74, v103
	v_mul_f32_e32 v88, v75, v105
	v_mul_f32_e32 v130, v74, v105
	v_fma_f32 v132, v56, v90, -v142
	v_fmac_f32_e32 v143, v57, v90
	v_dual_fmac_f32 v145, v57, v92 :: v_dual_fmac_f32 v86, v75, v102
	v_fma_f32 v136, v56, v94, -v146
	v_dual_fmac_f32 v147, v57, v94 :: v_dual_add_f32 v50, v50, v116
	v_fma_f32 v56, v56, v96, -v148
	v_dual_fmac_f32 v149, v57, v96 :: v_dual_add_f32 v52, v52, v114
	v_dual_mul_f32 v105, v82, v105 :: v_dual_add_f32 v48, v48, v128
	v_fma_f32 v140, v64, v90, -v150
	v_dual_fmac_f32 v151, v65, v90 :: v_dual_add_f32 v42, v42, v120
	v_fma_f32 v141, v64, v92, -v152
	v_dual_fmac_f32 v153, v65, v92 :: v_dual_add_f32 v46, v46, v54
	;; [unrolled: 2-line block ×4, first 2 shown]
	v_dual_mul_f32 v65, v61, v107 :: v_dual_add_f32 v38, v38, v62
	v_mul_f32_e32 v146, v61, v109
	v_mul_f32_e32 v148, v60, v109
	v_fma_f32 v150, v72, v90, -v158
	v_dual_fmac_f32 v159, v73, v90 :: v_dual_add_f32 v34, v34, v124
	v_fma_f32 v152, v72, v92, -v160
	v_dual_fmac_f32 v161, v73, v92 :: v_dual_add_f32 v36, v36, v122
	;; [unrolled: 2-line block ×4, first 2 shown]
	v_dual_mul_f32 v73, v61, v111 :: v_dual_add_f32 v28, v28, v126
	v_mul_f32_e32 v156, v60, v111
	v_mul_f32_e32 v160, v60, v113
	v_fma_f32 v162, v80, v90, -v166
	v_dual_fmac_f32 v91, v81, v90 :: v_dual_add_f32 v12, v26, v12
	v_fma_f32 v90, v80, v92, -v167
	v_dual_fmac_f32 v93, v81, v92 :: v_dual_add_f32 v24, v24, v71
	v_mul_f32_e32 v164, v68, v107
	v_mul_f32_e32 v79, v75, v103
	v_dual_mul_f32 v167, v68, v109 :: v_dual_add_f32 v22, v22, v78
	v_fma_f32 v168, v80, v94, -v168
	v_dual_fmac_f32 v95, v81, v94 :: v_dual_add_f32 v26, v52, v132
	v_fma_f32 v80, v80, v96, -v169
	v_mul_f32_e32 v94, v68, v111
	v_mul_f32_e32 v57, v83, v103
	v_dual_mul_f32 v103, v82, v103 :: v_dual_mul_f32 v158, v61, v113
	v_mul_f32_e32 v92, v69, v107
	v_mul_f32_e32 v166, v69, v109
	v_dual_mul_f32 v169, v68, v113 :: v_dual_add_f32 v46, v46, v56
	v_dual_mul_f32 v191, v76, v107 :: v_dual_add_f32 v42, v42, v141
	;; [unrolled: 1-line block ×3, first 2 shown]
	v_fma_f32 v170, v58, v98, -v170
	v_dual_fmac_f32 v171, v59, v98 :: v_dual_add_f32 v44, v44, v140
	v_fma_f32 v172, v58, v100, -v172
	v_dual_fmac_f32 v173, v59, v100 :: v_dual_add_f32 v40, v40, v142
	;; [unrolled: 2-line block ×8, first 2 shown]
	v_mul_f32_e32 v100, v77, v111
	v_dual_mul_f32 v183, v76, v111 :: v_dual_add_f32 v22, v22, v80
	v_dual_mul_f32 v195, v76, v113 :: v_dual_add_f32 v26, v26, v170
	v_fma_f32 v184, v58, v102, -v184
	v_fma_f32 v58, v58, v104, -v186
	v_dual_fmac_f32 v187, v59, v104 :: v_dual_add_f32 v12, v12, v90
	v_fma_f32 v14, v66, v102, -v14
	v_dual_fmac_f32 v127, v67, v102 :: v_dual_add_f32 v42, v42, v176
	s_delay_alu instid0(VALU_DEP_4)
	v_dual_fmac_f32 v189, v67, v104 :: v_dual_add_f32 v46, v46, v58
	v_fma_f32 v67, v74, v104, -v88
	v_fmac_f32_e32 v130, v75, v104
	v_dual_fmac_f32 v105, v83, v104 :: v_dual_add_f32 v44, v44, v174
	v_dual_mul_f32 v75, v85, v107 :: v_dual_add_f32 v14, v40, v14
	v_fmac_f32_e32 v144, v61, v106
	v_fma_f32 v88, v60, v108, -v146
	v_fmac_f32_e32 v148, v61, v108
	v_fmac_f32_e32 v156, v61, v110
	;; [unrolled: 1-line block ×3, first 2 shown]
	v_dual_mul_f32 v61, v85, v111 :: v_dual_add_f32 v36, v36, v178
	v_fmac_f32_e32 v164, v69, v106
	v_fmac_f32_e32 v94, v69, v110
	v_fma_f32 v57, v82, v102, -v57
	v_add_f32_e32 v51, v51, v117
	v_fmac_f32_e32 v97, v81, v96
	v_dual_mul_f32 v81, v69, v111 :: v_dual_add_f32 v48, v48, v136
	v_dual_mul_f32 v96, v69, v113 :: v_dual_fmac_f32 v185, v59, v102
	v_fma_f32 v59, v66, v104, -v188
	v_fma_f32 v66, v74, v102, -v79
	;; [unrolled: 1-line block ×3, first 2 shown]
	v_mul_f32_e32 v82, v85, v109
	v_dual_mul_f32 v104, v85, v113 :: v_dual_fmac_f32 v103, v83, v102
	v_add_f32_e32 v38, v38, v59
	v_dual_mul_f32 v79, v84, v107 :: v_dual_add_f32 v34, v34, v180
	v_dual_mul_f32 v83, v84, v109 :: v_dual_add_f32 v30, v30, v67
	v_fma_f32 v65, v60, v106, -v65
	v_fma_f32 v73, v60, v110, -v73
	v_mul_f32_e32 v102, v84, v111
	v_dual_mul_f32 v107, v84, v113 :: v_dual_add_f32 v22, v22, v74
	v_fma_f32 v92, v68, v106, -v92
	v_fma_f32 v109, v68, v108, -v166
	v_dual_fmac_f32 v167, v69, v108 :: v_dual_add_f32 v32, v32, v66
	v_fma_f32 v81, v68, v110, -v81
	v_fma_f32 v68, v68, v112, -v96
	v_dual_fmac_f32 v169, v69, v112 :: v_dual_add_f32 v28, v28, v182
	v_fma_f32 v69, v76, v106, -v190
	v_dual_fmac_f32 v191, v77, v106 :: v_dual_add_f32 v24, v24, v57
	;; [unrolled: 2-line block ×4, first 2 shown]
	v_fma_f32 v76, v76, v112, -v194
	v_fma_f32 v75, v84, v106, -v75
	v_fma_f32 v61, v84, v110, -v61
	v_dual_add_f32 v53, v53, v115 :: v_dual_add_f32 v44, v44, v92
	v_dual_add_f32 v49, v49, v129 :: v_dual_add_f32 v38, v38, v68
	v_dual_add_f32 v47, v47, v131 :: v_dual_add_f32 v36, v36, v69
	v_dual_add_f32 v45, v45, v119 :: v_dual_add_f32 v34, v34, v96
	v_dual_add_f32 v43, v43, v121 :: v_dual_add_f32 v32, v32, v100
	v_dual_add_f32 v41, v41, v133 :: v_dual_add_f32 v30, v30, v76
	v_dual_add_f32 v37, v37, v123 :: v_dual_add_f32 v24, v24, v61
	v_dual_add_f32 v35, v35, v125 :: v_dual_add_f32 v28, v28, v75
	v_add_f32_e32 v31, v31, v139
	v_add_f32_e32 v13, v29, v13
	;; [unrolled: 1-line block ×4, first 2 shown]
	v_dual_add_f32 v23, v23, v89 :: v_dual_add_f32 v48, v48, v184
	v_fmac_f32_e32 v195, v77, v112
	v_fma_f32 v77, v84, v108, -v82
	v_fma_f32 v82, v84, v112, -v104
	v_add_f32_e32 v39, v39, v135
	v_add_f32_e32 v33, v33, v137
	;; [unrolled: 1-line block ×3, first 2 shown]
	v_dual_add_f32 v29, v50, v134 :: v_dual_add_f32 v50, v51, v145
	v_add_f32_e32 v49, v49, v147
	v_add_f32_e32 v47, v47, v149
	;; [unrolled: 1-line block ×13, first 2 shown]
	v_dual_add_f32 v39, v39, v157 :: v_dual_add_f32 v22, v22, v82
	v_add_f32_e32 v33, v33, v163
	v_fma_f32 v60, v60, v112, -v158
	v_fmac_f32_e32 v79, v85, v106
	v_dual_fmac_f32 v83, v85, v108 :: v_dual_add_f32 v42, v42, v109
	v_fmac_f32_e32 v102, v85, v110
	v_dual_fmac_f32 v107, v85, v112 :: v_dual_add_f32 v40, v14, v81
	v_add_f32_e32 v27, v27, v171
	v_add_f32_e32 v29, v29, v172
	v_add_f32_e32 v51, v50, v173
	v_add_f32_e32 v49, v49, v185
	v_add_f32_e32 v47, v47, v187
	v_add_f32_e32 v45, v45, v175
	v_add_f32_e32 v43, v43, v177
	v_add_f32_e32 v41, v41, v127
	v_add_f32_e32 v39, v39, v189
	v_add_f32_e32 v37, v37, v179
	v_add_f32_e32 v35, v35, v181
	v_add_f32_e32 v33, v33, v86
	v_add_f32_e32 v31, v31, v130
	v_add_f32_e32 v13, v13, v99
	v_add_f32_e32 v15, v15, v101
	v_add_f32_e32 v25, v25, v103
	v_add_f32_e32 v23, v23, v105
	v_add_f32_e32 v53, v27, v144
	v_add_f32_e32 v50, v29, v88
	v_dual_add_f32 v51, v51, v148 :: v_dual_add_f32 v48, v48, v73
	v_add_f32_e32 v49, v49, v156
	v_add_f32_e32 v46, v46, v60
	;; [unrolled: 1-line block ×15, first 2 shown]
	s_wait_alu 0xfffe
	s_cbranch_vccnz .LBB94_5
.LBB94_6:                               ;   in Loop: Header=BB94_3 Depth=1
	s_mul_u64 s[16:17], s[26:27], s[2:3]
	s_and_not1_b32 vcc_lo, exec_lo, s1
	s_wait_alu 0xfffe
	s_lshl_b64 s[16:17], s[16:17], 3
	s_mov_b32 s18, -1
	s_wait_alu 0xfffe
	s_add_nc_u64 s[16:17], s[10:11], s[16:17]
                                        ; implicit-def: $vgpr10
                                        ; implicit-def: $vgpr8_vgpr9
	s_cbranch_vccz .LBB94_8
; %bb.7:                                ;   in Loop: Header=BB94_3 Depth=1
	s_and_not1_b32 vcc_lo, exec_lo, s18
	s_wait_alu 0xfffe
	s_cbranch_vccnz .LBB94_2
	s_branch .LBB94_9
.LBB94_8:                               ;   in Loop: Header=BB94_3 Depth=1
	v_lshlrev_b64_e32 v[8:9], 3, v[0:1]
	v_lshlrev_b64_e32 v[11:12], 3, v[2:3]
	v_dual_mul_f32 v10, s22, v53 :: v_dual_mul_f32 v55, s22, v51
	v_dual_mul_f32 v13, s23, v53 :: v_dual_mul_f32 v54, s23, v51
	v_mul_f32_e32 v57, s22, v49
	s_wait_alu 0xfffe
	v_add_co_u32 v8, vcc_lo, s16, v8
	s_wait_alu 0xfffd
	v_add_co_ci_u32_e64 v15, null, s17, v9, vcc_lo
	v_dual_mul_f32 v56, s23, v49 :: v_dual_mul_f32 v59, s22, v47
	v_fmac_f32_e32 v10, s23, v52
	v_fma_f32 v9, v52, s22, -v13
	v_add_co_u32 v13, vcc_lo, v8, v11
	v_dual_mul_f32 v58, s23, v47 :: v_dual_fmac_f32 v55, s23, v50
	s_wait_alu 0xfffd
	v_add_co_ci_u32_e64 v14, null, v15, v12, vcc_lo
	v_fma_f32 v54, v50, s22, -v54
	v_fma_f32 v56, v48, s22, -v56
	v_fmac_f32_e32 v57, s23, v48
	v_fma_f32 v58, v46, s22, -v58
	v_fmac_f32_e32 v59, s23, v46
	s_clause 0x3
	global_store_b64 v[13:14], v[9:10], off
	global_store_b64 v[13:14], v[54:55], off offset:128
	global_store_b64 v[13:14], v[56:57], off offset:256
	;; [unrolled: 1-line block ×3, first 2 shown]
	v_mul_f32_e32 v10, s23, v45
	v_dual_mul_f32 v9, s22, v45 :: v_dual_mul_f32 v58, s23, v39
	v_add_co_u32 v60, vcc_lo, v8, s14
	s_delay_alu instid0(VALU_DEP_3) | instskip(NEXT) | instid1(VALU_DEP_3)
	v_fma_f32 v8, v44, s22, -v10
	v_dual_mul_f32 v10, s23, v43 :: v_dual_fmac_f32 v9, s23, v44
	s_wait_alu 0xfffd
	v_add_co_ci_u32_e64 v15, null, s15, v15, vcc_lo
	v_mul_f32_e32 v55, s22, v43
	s_delay_alu instid0(VALU_DEP_3) | instskip(SKIP_4) | instid1(VALU_DEP_3)
	v_fma_f32 v54, v42, s22, -v10
	v_mul_f32_e32 v10, s23, v41
	v_add_co_u32 v13, vcc_lo, v60, v11
	s_wait_alu 0xfffd
	v_add_co_ci_u32_e64 v14, null, v15, v12, vcc_lo
	v_fma_f32 v56, v40, s22, -v10
	v_mul_f32_e32 v10, s23, v37
	v_mul_f32_e32 v57, s22, v41
	v_add_co_u32 v70, vcc_lo, v60, s14
	v_mul_f32_e32 v59, s22, v39
	s_delay_alu instid0(VALU_DEP_4) | instskip(SKIP_4) | instid1(VALU_DEP_3)
	v_fma_f32 v60, v36, s22, -v10
	v_dual_mul_f32 v10, s23, v35 :: v_dual_mul_f32 v61, s22, v37
	s_wait_alu 0xfffd
	v_add_co_ci_u32_e64 v15, null, s15, v15, vcc_lo
	v_dual_fmac_f32 v55, s23, v42 :: v_dual_mul_f32 v68, s23, v31
	v_fma_f32 v64, v34, s22, -v10
	v_dual_mul_f32 v65, s22, v35 :: v_dual_mul_f32 v10, s23, v33
	v_mul_f32_e32 v67, s22, v33
	v_mul_f32_e32 v69, s22, v31
	v_fmac_f32_e32 v57, s23, v40
	v_add_co_u32 v62, vcc_lo, v70, v11
	v_fma_f32 v58, v38, s22, -v58
	v_fmac_f32_e32 v59, s23, v38
	v_fmac_f32_e32 v61, s23, v36
	s_wait_alu 0xfffd
	v_add_co_ci_u32_e64 v63, null, v15, v12, vcc_lo
	v_fmac_f32_e32 v65, s23, v34
	v_fma_f32 v66, v32, s22, -v10
	v_fmac_f32_e32 v67, s23, v32
	v_fma_f32 v68, v30, s22, -v68
	v_fmac_f32_e32 v69, s23, v30
	s_clause 0x7
	global_store_b64 v[13:14], v[8:9], off
	global_store_b64 v[13:14], v[54:55], off offset:128
	global_store_b64 v[13:14], v[56:57], off offset:256
	;; [unrolled: 1-line block ×3, first 2 shown]
	global_store_b64 v[62:63], v[60:61], off
	global_store_b64 v[62:63], v[64:65], off offset:128
	global_store_b64 v[62:63], v[66:67], off offset:256
	;; [unrolled: 1-line block ×3, first 2 shown]
	v_mul_f32_e32 v8, s23, v29
	v_add_co_u32 v9, vcc_lo, v70, s14
	s_wait_alu 0xfffd
	v_add_co_ci_u32_e64 v10, null, s15, v15, vcc_lo
	s_delay_alu instid0(VALU_DEP_3)
	v_fma_f32 v13, v28, s22, -v8
	v_mul_f32_e32 v8, s23, v27
	v_add_co_u32 v11, vcc_lo, v9, v11
	v_mul_f32_e32 v14, s22, v29
	s_wait_alu 0xfffd
	v_add_co_ci_u32_e64 v12, null, v10, v12, vcc_lo
	v_fma_f32 v54, v26, s22, -v8
	v_dual_mul_f32 v8, s23, v25 :: v_dual_mul_f32 v9, s23, v23
	v_mul_f32_e32 v10, s22, v23
	v_mul_f32_e32 v55, s22, v27
	;; [unrolled: 1-line block ×3, first 2 shown]
	s_delay_alu instid0(VALU_DEP_4)
	v_fma_f32 v56, v24, s22, -v8
	v_add_co_u32 v8, vcc_lo, 0x180, v11
	v_fmac_f32_e32 v14, s23, v28
	v_fma_f32 v15, v22, s22, -v9
	v_fmac_f32_e32 v10, s23, v22
	s_wait_alu 0xfffd
	v_add_co_ci_u32_e64 v9, null, 0, v12, vcc_lo
	v_fmac_f32_e32 v55, s23, v26
	v_fmac_f32_e32 v57, s23, v24
	s_clause 0x3
	global_store_b64 v[11:12], v[13:14], off
	global_store_b64 v[11:12], v[54:55], off offset:128
	global_store_b64 v[11:12], v[56:57], off offset:256
	global_store_b32 v[11:12], v15, off offset:384
	s_cbranch_execnz .LBB94_2
.LBB94_9:                               ;   in Loop: Header=BB94_3 Depth=1
	s_mul_u64 s[18:19], s[8:9], s[2:3]
	v_lshlrev_b64_e32 v[8:9], 3, v[2:3]
	s_wait_alu 0xfffe
	s_lshl_b64 s[18:19], s[18:19], 3
	v_mul_f32_e32 v56, s23, v53
	s_wait_alu 0xfffe
	v_add_co_u32 v54, vcc_lo, v20, s18
	s_wait_alu 0xfffd
	v_add_co_ci_u32_e64 v55, null, s19, v21, vcc_lo
	v_mul_f32_e32 v53, s22, v53
	s_delay_alu instid0(VALU_DEP_3) | instskip(SKIP_1) | instid1(VALU_DEP_3)
	v_add_co_u32 v10, vcc_lo, v54, v8
	s_wait_alu 0xfffd
	v_add_co_ci_u32_e64 v11, null, v55, v9, vcc_lo
	v_lshlrev_b64_e32 v[14:15], 3, v[0:1]
	v_fmac_f32_e32 v53, s23, v52
	v_fma_f32 v56, v52, s22, -v56
	global_load_b64 v[12:13], v[10:11], off
	v_add_co_u32 v58, vcc_lo, s16, v14
	s_wait_alu 0xfffd
	v_add_co_ci_u32_e64 v59, null, s17, v15, vcc_lo
	s_wait_loadcnt 0x0
	v_mul_f32_e32 v57, s34, v13
	s_delay_alu instid0(VALU_DEP_1) | instskip(NEXT) | instid1(VALU_DEP_1)
	v_dual_mul_f32 v52, s35, v13 :: v_dual_fmac_f32 v57, s35, v12
	v_fma_f32 v14, v12, s34, -v52
	v_mul_f32_e32 v52, s23, v51
	v_add_co_u32 v12, vcc_lo, v58, v8
	s_wait_alu 0xfffd
	v_add_co_ci_u32_e64 v13, null, v59, v9, vcc_lo
	v_add_f32_e32 v14, v56, v14
	v_fma_f32 v52, v50, s22, -v52
	v_add_f32_e32 v15, v53, v57
	v_mul_f32_e32 v51, s22, v51
	global_store_b64 v[12:13], v[14:15], off
	global_load_b64 v[14:15], v[10:11], off offset:128
	v_fmac_f32_e32 v51, s23, v50
	s_wait_loadcnt 0x0
	v_mul_f32_e32 v53, s35, v15
	v_mul_f32_e32 v15, s34, v15
	s_delay_alu instid0(VALU_DEP_2) | instskip(NEXT) | instid1(VALU_DEP_2)
	v_fma_f32 v50, v14, s34, -v53
	v_fmac_f32_e32 v15, s35, v14
	s_delay_alu instid0(VALU_DEP_1)
	v_dual_add_f32 v14, v52, v50 :: v_dual_add_f32 v15, v51, v15
	v_mul_f32_e32 v50, s23, v49
	v_mul_f32_e32 v49, s22, v49
	global_store_b64 v[12:13], v[14:15], off offset:128
	global_load_b64 v[14:15], v[10:11], off offset:256
	v_fma_f32 v50, v48, s22, -v50
	v_fmac_f32_e32 v49, s23, v48
	s_wait_loadcnt 0x0
	v_mul_f32_e32 v51, s35, v15
	v_mul_f32_e32 v15, s34, v15
	s_delay_alu instid0(VALU_DEP_2) | instskip(NEXT) | instid1(VALU_DEP_1)
	v_fma_f32 v48, v14, s34, -v51
	v_dual_fmac_f32 v15, s35, v14 :: v_dual_add_f32 v14, v50, v48
	s_delay_alu instid0(VALU_DEP_1) | instskip(SKIP_4) | instid1(VALU_DEP_2)
	v_add_f32_e32 v15, v49, v15
	global_store_b64 v[12:13], v[14:15], off offset:256
	global_load_b64 v[10:11], v[10:11], off offset:384
	v_mul_f32_e32 v14, s23, v47
	v_mul_f32_e32 v15, s22, v47
	v_fma_f32 v14, v46, s22, -v14
	s_delay_alu instid0(VALU_DEP_2) | instskip(SKIP_3) | instid1(VALU_DEP_2)
	v_fmac_f32_e32 v15, s23, v46
	s_wait_loadcnt 0x0
	v_mul_f32_e32 v47, s35, v11
	v_mul_f32_e32 v11, s34, v11
	v_fma_f32 v46, v10, s34, -v47
	v_add_co_u32 v47, vcc_lo, v54, s12
	s_delay_alu instid0(VALU_DEP_3)
	v_fmac_f32_e32 v11, s35, v10
	s_wait_alu 0xfffd
	v_add_co_ci_u32_e64 v48, null, s13, v55, vcc_lo
	v_add_f32_e32 v10, v14, v46
	v_add_co_u32 v14, vcc_lo, v47, v8
	v_add_f32_e32 v11, v15, v11
	s_wait_alu 0xfffd
	v_add_co_ci_u32_e64 v15, null, v48, v9, vcc_lo
	v_add_co_u32 v46, vcc_lo, v58, s14
	global_store_b64 v[12:13], v[10:11], off offset:384
	global_load_b64 v[10:11], v[14:15], off
	v_mul_f32_e32 v12, s23, v45
	v_mul_f32_e32 v13, s22, v45
	s_wait_alu 0xfffd
	v_add_co_ci_u32_e64 v49, null, s15, v59, vcc_lo
	s_delay_alu instid0(VALU_DEP_3) | instskip(SKIP_3) | instid1(VALU_DEP_2)
	v_fma_f32 v12, v44, s22, -v12
	s_wait_loadcnt 0x0
	v_dual_fmac_f32 v13, s23, v44 :: v_dual_mul_f32 v44, s35, v11
	v_mul_f32_e32 v45, s34, v11
	v_fma_f32 v44, v10, s34, -v44
	s_delay_alu instid0(VALU_DEP_2) | instskip(SKIP_3) | instid1(VALU_DEP_3)
	v_fmac_f32_e32 v45, s35, v10
	v_add_co_u32 v10, vcc_lo, v46, v8
	s_wait_alu 0xfffd
	v_add_co_ci_u32_e64 v11, null, v49, v9, vcc_lo
	v_dual_add_f32 v12, v12, v44 :: v_dual_add_f32 v13, v13, v45
	v_mul_f32_e32 v44, s23, v43
	v_mul_f32_e32 v43, s22, v43
	global_store_b64 v[10:11], v[12:13], off
	global_load_b64 v[12:13], v[14:15], off offset:128
	v_fma_f32 v44, v42, s22, -v44
	v_fmac_f32_e32 v43, s23, v42
	s_wait_loadcnt 0x0
	v_mul_f32_e32 v45, s35, v13
	v_mul_f32_e32 v13, s34, v13
	s_delay_alu instid0(VALU_DEP_2) | instskip(NEXT) | instid1(VALU_DEP_1)
	v_fma_f32 v42, v12, s34, -v45
	v_dual_fmac_f32 v13, s35, v12 :: v_dual_add_f32 v12, v44, v42
	s_delay_alu instid0(VALU_DEP_1)
	v_add_f32_e32 v13, v43, v13
	v_mul_f32_e32 v42, s23, v41
	v_mul_f32_e32 v41, s22, v41
	global_store_b64 v[10:11], v[12:13], off offset:128
	global_load_b64 v[12:13], v[14:15], off offset:256
	v_fma_f32 v42, v40, s22, -v42
	v_fmac_f32_e32 v41, s23, v40
	s_wait_loadcnt 0x0
	v_mul_f32_e32 v43, s35, v13
	v_mul_f32_e32 v13, s34, v13
	s_delay_alu instid0(VALU_DEP_2) | instskip(NEXT) | instid1(VALU_DEP_2)
	v_fma_f32 v40, v12, s34, -v43
	v_fmac_f32_e32 v13, s35, v12
	s_delay_alu instid0(VALU_DEP_1) | instskip(SKIP_4) | instid1(VALU_DEP_2)
	v_dual_add_f32 v12, v42, v40 :: v_dual_add_f32 v13, v41, v13
	global_store_b64 v[10:11], v[12:13], off offset:256
	global_load_b64 v[12:13], v[14:15], off offset:384
	v_mul_f32_e32 v14, s23, v39
	v_mul_f32_e32 v15, s22, v39
	v_fma_f32 v14, v38, s22, -v14
	s_delay_alu instid0(VALU_DEP_2) | instskip(SKIP_3) | instid1(VALU_DEP_2)
	v_fmac_f32_e32 v15, s23, v38
	s_wait_loadcnt 0x0
	v_mul_f32_e32 v39, s35, v13
	v_mul_f32_e32 v13, s34, v13
	v_fma_f32 v38, v12, s34, -v39
	v_add_co_u32 v39, vcc_lo, v47, s12
	s_delay_alu instid0(VALU_DEP_3)
	v_fmac_f32_e32 v13, s35, v12
	s_wait_alu 0xfffd
	v_add_co_ci_u32_e64 v40, null, s13, v48, vcc_lo
	v_add_f32_e32 v12, v14, v38
	v_add_co_u32 v14, vcc_lo, v39, v8
	v_add_f32_e32 v13, v15, v13
	s_wait_alu 0xfffd
	v_add_co_ci_u32_e64 v15, null, v40, v9, vcc_lo
	v_add_co_u32 v38, vcc_lo, v46, s14
	global_store_b64 v[10:11], v[12:13], off offset:384
	global_load_b64 v[10:11], v[14:15], off
	v_mul_f32_e32 v12, s23, v37
	v_mul_f32_e32 v13, s22, v37
	s_wait_alu 0xfffd
	v_add_co_ci_u32_e64 v41, null, s15, v49, vcc_lo
	s_delay_alu instid0(VALU_DEP_3) | instskip(SKIP_3) | instid1(VALU_DEP_2)
	v_fma_f32 v12, v36, s22, -v12
	s_wait_loadcnt 0x0
	v_dual_fmac_f32 v13, s23, v36 :: v_dual_mul_f32 v36, s35, v11
	v_mul_f32_e32 v37, s34, v11
	v_fma_f32 v36, v10, s34, -v36
	s_delay_alu instid0(VALU_DEP_2) | instskip(SKIP_3) | instid1(VALU_DEP_3)
	v_fmac_f32_e32 v37, s35, v10
	v_add_co_u32 v10, vcc_lo, v38, v8
	s_wait_alu 0xfffd
	v_add_co_ci_u32_e64 v11, null, v41, v9, vcc_lo
	v_dual_add_f32 v12, v12, v36 :: v_dual_add_f32 v13, v13, v37
	v_mul_f32_e32 v36, s23, v35
	v_mul_f32_e32 v35, s22, v35
	global_store_b64 v[10:11], v[12:13], off
	global_load_b64 v[12:13], v[14:15], off offset:128
	v_fma_f32 v36, v34, s22, -v36
	v_fmac_f32_e32 v35, s23, v34
	s_wait_loadcnt 0x0
	v_mul_f32_e32 v37, s35, v13
	v_mul_f32_e32 v13, s34, v13
	s_delay_alu instid0(VALU_DEP_2) | instskip(NEXT) | instid1(VALU_DEP_1)
	v_fma_f32 v34, v12, s34, -v37
	v_dual_fmac_f32 v13, s35, v12 :: v_dual_add_f32 v12, v36, v34
	s_delay_alu instid0(VALU_DEP_1)
	v_add_f32_e32 v13, v35, v13
	v_mul_f32_e32 v34, s23, v33
	v_mul_f32_e32 v33, s22, v33
	global_store_b64 v[10:11], v[12:13], off offset:128
	global_load_b64 v[12:13], v[14:15], off offset:256
	v_fma_f32 v34, v32, s22, -v34
	v_fmac_f32_e32 v33, s23, v32
	s_wait_loadcnt 0x0
	v_mul_f32_e32 v35, s35, v13
	v_mul_f32_e32 v13, s34, v13
	s_delay_alu instid0(VALU_DEP_2) | instskip(NEXT) | instid1(VALU_DEP_2)
	v_fma_f32 v32, v12, s34, -v35
	v_fmac_f32_e32 v13, s35, v12
	s_delay_alu instid0(VALU_DEP_1) | instskip(SKIP_4) | instid1(VALU_DEP_2)
	v_dual_add_f32 v12, v34, v32 :: v_dual_add_f32 v13, v33, v13
	global_store_b64 v[10:11], v[12:13], off offset:256
	global_load_b64 v[12:13], v[14:15], off offset:384
	v_mul_f32_e32 v14, s23, v31
	v_mul_f32_e32 v15, s22, v31
	v_fma_f32 v14, v30, s22, -v14
	s_delay_alu instid0(VALU_DEP_2) | instskip(SKIP_3) | instid1(VALU_DEP_2)
	v_fmac_f32_e32 v15, s23, v30
	s_wait_loadcnt 0x0
	v_mul_f32_e32 v31, s35, v13
	v_mul_f32_e32 v13, s34, v13
	v_fma_f32 v30, v12, s34, -v31
	v_add_co_u32 v31, vcc_lo, v39, s12
	s_delay_alu instid0(VALU_DEP_3)
	v_fmac_f32_e32 v13, s35, v12
	s_wait_alu 0xfffd
	v_add_co_ci_u32_e64 v32, null, s13, v40, vcc_lo
	v_add_f32_e32 v12, v14, v30
	v_add_co_u32 v14, vcc_lo, v31, v8
	v_add_f32_e32 v13, v15, v13
	s_wait_alu 0xfffd
	v_add_co_ci_u32_e64 v15, null, v32, v9, vcc_lo
	global_store_b64 v[10:11], v[12:13], off offset:384
	global_load_b64 v[10:11], v[14:15], off
	v_mul_f32_e32 v12, s23, v29
	v_mul_f32_e32 v13, s22, v29
	s_delay_alu instid0(VALU_DEP_2) | instskip(SKIP_1) | instid1(VALU_DEP_2)
	v_fma_f32 v29, v28, s22, -v12
	s_wait_loadcnt 0x0
	v_dual_fmac_f32 v13, s23, v28 :: v_dual_mul_f32 v12, s35, v11
	v_mul_f32_e32 v28, s34, v11
	v_add_co_u32 v11, vcc_lo, v38, s14
	s_wait_alu 0xfffd
	v_add_co_ci_u32_e64 v30, null, s15, v41, vcc_lo
	v_fma_f32 v31, v10, s34, -v12
	v_fmac_f32_e32 v28, s35, v10
	v_add_co_u32 v11, vcc_lo, v11, v8
	s_wait_alu 0xfffd
	v_add_co_ci_u32_e64 v12, null, v30, v9, vcc_lo
	v_add_f32_e32 v8, v29, v31
	v_dual_add_f32 v9, v13, v28 :: v_dual_mul_f32 v10, s23, v27
	v_mul_f32_e32 v13, s22, v27
	global_store_b64 v[11:12], v[8:9], off
	global_load_b64 v[8:9], v[14:15], off offset:128
	v_fma_f32 v10, v26, s22, -v10
	v_fmac_f32_e32 v13, s23, v26
	s_wait_loadcnt 0x0
	v_mul_f32_e32 v27, s35, v9
	v_mul_f32_e32 v9, s34, v9
	s_delay_alu instid0(VALU_DEP_2) | instskip(NEXT) | instid1(VALU_DEP_1)
	v_fma_f32 v26, v8, s34, -v27
	v_dual_fmac_f32 v9, s35, v8 :: v_dual_add_f32 v8, v10, v26
	s_delay_alu instid0(VALU_DEP_1)
	v_add_f32_e32 v9, v13, v9
	v_mul_f32_e32 v10, s23, v25
	v_mul_f32_e32 v13, s22, v25
	global_store_b64 v[11:12], v[8:9], off offset:128
	global_load_b64 v[8:9], v[14:15], off offset:256
	v_fma_f32 v10, v24, s22, -v10
	v_fmac_f32_e32 v13, s23, v24
	s_wait_loadcnt 0x0
	v_mul_f32_e32 v25, s35, v9
	v_mul_f32_e32 v9, s34, v9
	s_delay_alu instid0(VALU_DEP_2) | instskip(NEXT) | instid1(VALU_DEP_2)
	v_fma_f32 v24, v8, s34, -v25
	v_fmac_f32_e32 v9, s35, v8
	s_delay_alu instid0(VALU_DEP_1)
	v_dual_add_f32 v8, v10, v24 :: v_dual_add_f32 v9, v13, v9
	v_mul_f32_e32 v10, s23, v23
	v_mul_f32_e32 v13, s22, v23
	global_store_b64 v[11:12], v[8:9], off offset:256
	global_load_b64 v[8:9], v[14:15], off offset:384
	v_fma_f32 v10, v22, s22, -v10
	s_wait_loadcnt 0x0
	v_dual_fmac_f32 v13, s23, v22 :: v_dual_mul_f32 v14, s35, v9
	v_mul_f32_e32 v9, s34, v9
	s_delay_alu instid0(VALU_DEP_2) | instskip(NEXT) | instid1(VALU_DEP_2)
	v_fma_f32 v14, v8, s34, -v14
	v_fmac_f32_e32 v9, s35, v8
	v_add_co_u32 v8, vcc_lo, 0x180, v11
	s_delay_alu instid0(VALU_DEP_3) | instskip(NEXT) | instid1(VALU_DEP_3)
	v_add_f32_e32 v14, v10, v14
	v_add_f32_e32 v10, v13, v9
	s_wait_alu 0xfffd
	v_add_co_ci_u32_e64 v9, null, 0, v12, vcc_lo
	global_store_b32 v[11:12], v14, off offset:384
	s_branch .LBB94_2
.LBB94_10:
	s_nop 0
	s_sendmsg sendmsg(MSG_DEALLOC_VGPRS)
	s_endpgm
	.section	.rodata,"a",@progbits
	.p2align	6, 0x0
	.amdhsa_kernel _ZN12_GLOBAL__N_127rocblas_gemm_batched_kernelI19rocblas_complex_numIfELi16ELi16ELi64ELi64ELi4ELi64ELi4ELi4ELi64ELc67ELc78EKS2_S3_S2_EEvlllT_PT11_llS6_llS4_PT12_llPT13_lli
		.amdhsa_group_segment_fixed_size 4096
		.amdhsa_private_segment_fixed_size 0
		.amdhsa_kernarg_size 140
		.amdhsa_user_sgpr_count 2
		.amdhsa_user_sgpr_dispatch_ptr 0
		.amdhsa_user_sgpr_queue_ptr 0
		.amdhsa_user_sgpr_kernarg_segment_ptr 1
		.amdhsa_user_sgpr_dispatch_id 0
		.amdhsa_user_sgpr_private_segment_size 0
		.amdhsa_wavefront_size32 1
		.amdhsa_uses_dynamic_stack 0
		.amdhsa_enable_private_segment 0
		.amdhsa_system_sgpr_workgroup_id_x 1
		.amdhsa_system_sgpr_workgroup_id_y 1
		.amdhsa_system_sgpr_workgroup_id_z 1
		.amdhsa_system_sgpr_workgroup_info 0
		.amdhsa_system_vgpr_workitem_id 1
		.amdhsa_next_free_vgpr 196
		.amdhsa_next_free_sgpr 38
		.amdhsa_reserve_vcc 1
		.amdhsa_float_round_mode_32 0
		.amdhsa_float_round_mode_16_64 0
		.amdhsa_float_denorm_mode_32 3
		.amdhsa_float_denorm_mode_16_64 3
		.amdhsa_fp16_overflow 0
		.amdhsa_workgroup_processor_mode 1
		.amdhsa_memory_ordered 1
		.amdhsa_forward_progress 1
		.amdhsa_inst_pref_size 44
		.amdhsa_round_robin_scheduling 0
		.amdhsa_exception_fp_ieee_invalid_op 0
		.amdhsa_exception_fp_denorm_src 0
		.amdhsa_exception_fp_ieee_div_zero 0
		.amdhsa_exception_fp_ieee_overflow 0
		.amdhsa_exception_fp_ieee_underflow 0
		.amdhsa_exception_fp_ieee_inexact 0
		.amdhsa_exception_int_div_zero 0
	.end_amdhsa_kernel
	.section	.text._ZN12_GLOBAL__N_127rocblas_gemm_batched_kernelI19rocblas_complex_numIfELi16ELi16ELi64ELi64ELi4ELi64ELi4ELi4ELi64ELc67ELc78EKS2_S3_S2_EEvlllT_PT11_llS6_llS4_PT12_llPT13_lli,"axG",@progbits,_ZN12_GLOBAL__N_127rocblas_gemm_batched_kernelI19rocblas_complex_numIfELi16ELi16ELi64ELi64ELi4ELi64ELi4ELi4ELi64ELc67ELc78EKS2_S3_S2_EEvlllT_PT11_llS6_llS4_PT12_llPT13_lli,comdat
.Lfunc_end94:
	.size	_ZN12_GLOBAL__N_127rocblas_gemm_batched_kernelI19rocblas_complex_numIfELi16ELi16ELi64ELi64ELi4ELi64ELi4ELi4ELi64ELc67ELc78EKS2_S3_S2_EEvlllT_PT11_llS6_llS4_PT12_llPT13_lli, .Lfunc_end94-_ZN12_GLOBAL__N_127rocblas_gemm_batched_kernelI19rocblas_complex_numIfELi16ELi16ELi64ELi64ELi4ELi64ELi4ELi4ELi64ELc67ELc78EKS2_S3_S2_EEvlllT_PT11_llS6_llS4_PT12_llPT13_lli
                                        ; -- End function
	.set _ZN12_GLOBAL__N_127rocblas_gemm_batched_kernelI19rocblas_complex_numIfELi16ELi16ELi64ELi64ELi4ELi64ELi4ELi4ELi64ELc67ELc78EKS2_S3_S2_EEvlllT_PT11_llS6_llS4_PT12_llPT13_lli.num_vgpr, 196
	.set _ZN12_GLOBAL__N_127rocblas_gemm_batched_kernelI19rocblas_complex_numIfELi16ELi16ELi64ELi64ELi4ELi64ELi4ELi4ELi64ELc67ELc78EKS2_S3_S2_EEvlllT_PT11_llS6_llS4_PT12_llPT13_lli.num_agpr, 0
	.set _ZN12_GLOBAL__N_127rocblas_gemm_batched_kernelI19rocblas_complex_numIfELi16ELi16ELi64ELi64ELi4ELi64ELi4ELi4ELi64ELc67ELc78EKS2_S3_S2_EEvlllT_PT11_llS6_llS4_PT12_llPT13_lli.numbered_sgpr, 38
	.set _ZN12_GLOBAL__N_127rocblas_gemm_batched_kernelI19rocblas_complex_numIfELi16ELi16ELi64ELi64ELi4ELi64ELi4ELi4ELi64ELc67ELc78EKS2_S3_S2_EEvlllT_PT11_llS6_llS4_PT12_llPT13_lli.num_named_barrier, 0
	.set _ZN12_GLOBAL__N_127rocblas_gemm_batched_kernelI19rocblas_complex_numIfELi16ELi16ELi64ELi64ELi4ELi64ELi4ELi4ELi64ELc67ELc78EKS2_S3_S2_EEvlllT_PT11_llS6_llS4_PT12_llPT13_lli.private_seg_size, 0
	.set _ZN12_GLOBAL__N_127rocblas_gemm_batched_kernelI19rocblas_complex_numIfELi16ELi16ELi64ELi64ELi4ELi64ELi4ELi4ELi64ELc67ELc78EKS2_S3_S2_EEvlllT_PT11_llS6_llS4_PT12_llPT13_lli.uses_vcc, 1
	.set _ZN12_GLOBAL__N_127rocblas_gemm_batched_kernelI19rocblas_complex_numIfELi16ELi16ELi64ELi64ELi4ELi64ELi4ELi4ELi64ELc67ELc78EKS2_S3_S2_EEvlllT_PT11_llS6_llS4_PT12_llPT13_lli.uses_flat_scratch, 0
	.set _ZN12_GLOBAL__N_127rocblas_gemm_batched_kernelI19rocblas_complex_numIfELi16ELi16ELi64ELi64ELi4ELi64ELi4ELi4ELi64ELc67ELc78EKS2_S3_S2_EEvlllT_PT11_llS6_llS4_PT12_llPT13_lli.has_dyn_sized_stack, 0
	.set _ZN12_GLOBAL__N_127rocblas_gemm_batched_kernelI19rocblas_complex_numIfELi16ELi16ELi64ELi64ELi4ELi64ELi4ELi4ELi64ELc67ELc78EKS2_S3_S2_EEvlllT_PT11_llS6_llS4_PT12_llPT13_lli.has_recursion, 0
	.set _ZN12_GLOBAL__N_127rocblas_gemm_batched_kernelI19rocblas_complex_numIfELi16ELi16ELi64ELi64ELi4ELi64ELi4ELi4ELi64ELc67ELc78EKS2_S3_S2_EEvlllT_PT11_llS6_llS4_PT12_llPT13_lli.has_indirect_call, 0
	.section	.AMDGPU.csdata,"",@progbits
; Kernel info:
; codeLenInByte = 5524
; TotalNumSgprs: 40
; NumVgprs: 196
; ScratchSize: 0
; MemoryBound: 0
; FloatMode: 240
; IeeeMode: 1
; LDSByteSize: 4096 bytes/workgroup (compile time only)
; SGPRBlocks: 0
; VGPRBlocks: 24
; NumSGPRsForWavesPerEU: 40
; NumVGPRsForWavesPerEU: 196
; Occupancy: 7
; WaveLimiterHint : 1
; COMPUTE_PGM_RSRC2:SCRATCH_EN: 0
; COMPUTE_PGM_RSRC2:USER_SGPR: 2
; COMPUTE_PGM_RSRC2:TRAP_HANDLER: 0
; COMPUTE_PGM_RSRC2:TGID_X_EN: 1
; COMPUTE_PGM_RSRC2:TGID_Y_EN: 1
; COMPUTE_PGM_RSRC2:TGID_Z_EN: 1
; COMPUTE_PGM_RSRC2:TIDIG_COMP_CNT: 1
	.section	.text._ZN12_GLOBAL__N_127rocblas_gemm_batched_kernelI19rocblas_complex_numIfELi16ELi16ELi64ELi64ELi4ELi64ELi4ELi4ELi64ELc67ELc84EKS2_S3_S2_EEvlllT_PT11_llS6_llS4_PT12_llPT13_lli,"axG",@progbits,_ZN12_GLOBAL__N_127rocblas_gemm_batched_kernelI19rocblas_complex_numIfELi16ELi16ELi64ELi64ELi4ELi64ELi4ELi4ELi64ELc67ELc84EKS2_S3_S2_EEvlllT_PT11_llS6_llS4_PT12_llPT13_lli,comdat
	.globl	_ZN12_GLOBAL__N_127rocblas_gemm_batched_kernelI19rocblas_complex_numIfELi16ELi16ELi64ELi64ELi4ELi64ELi4ELi4ELi64ELc67ELc84EKS2_S3_S2_EEvlllT_PT11_llS6_llS4_PT12_llPT13_lli ; -- Begin function _ZN12_GLOBAL__N_127rocblas_gemm_batched_kernelI19rocblas_complex_numIfELi16ELi16ELi64ELi64ELi4ELi64ELi4ELi4ELi64ELc67ELc84EKS2_S3_S2_EEvlllT_PT11_llS6_llS4_PT12_llPT13_lli
	.p2align	8
	.type	_ZN12_GLOBAL__N_127rocblas_gemm_batched_kernelI19rocblas_complex_numIfELi16ELi16ELi64ELi64ELi4ELi64ELi4ELi4ELi64ELc67ELc84EKS2_S3_S2_EEvlllT_PT11_llS6_llS4_PT12_llPT13_lli,@function
_ZN12_GLOBAL__N_127rocblas_gemm_batched_kernelI19rocblas_complex_numIfELi16ELi16ELi64ELi64ELi4ELi64ELi4ELi4ELi64ELc67ELc84EKS2_S3_S2_EEvlllT_PT11_llS6_llS4_PT12_llPT13_lli: ; @_ZN12_GLOBAL__N_127rocblas_gemm_batched_kernelI19rocblas_complex_numIfELi16ELi16ELi64ELi64ELi4ELi64ELi4ELi4ELi64ELc67ELc84EKS2_S3_S2_EEvlllT_PT11_llS6_llS4_PT12_llPT13_lli
; %bb.0:
	s_load_b32 s33, s[0:1], 0x88
	s_lshr_b32 s2, ttmp7, 16
	s_wait_kmcnt 0x0
	s_cmp_ge_i32 s2, s33
	s_cbranch_scc1 .LBB95_10
; %bb.1:
	v_and_b32_e32 v13, 0x3ff, v0
	v_bfe_u32 v8, v0, 10, 10
	s_load_b128 s[28:31], s[0:1], 0x40
	s_lshl_b32 s3, ttmp7, 6
	v_and_b32_e32 v6, 3, v0
	s_and_b32 s38, s3, 0x3fffc0
	v_lshl_add_u32 v2, v8, 4, v13
	s_clause 0x4
	s_load_b128 s[20:23], s[0:1], 0x10
	s_load_b256 s[12:19], s[0:1], 0x20
	s_load_b128 s[24:27], s[0:1], 0x78
	s_load_b256 s[4:11], s[0:1], 0x58
	s_load_b64 s[34:35], s[0:1], 0x50
	v_add_nc_u32_e32 v12, s38, v8
	s_mov_b32 s36, ttmp9
	v_lshrrev_b32_e32 v3, 2, v2
	v_and_b32_e32 v7, 63, v2
	s_ashr_i32 s37, ttmp9, 31
	v_lshrrev_b32_e32 v14, 6, v2
	s_lshl_b64 s[36:37], s[36:37], 6
	v_add_co_u32 v0, s3, v3, s38
	s_delay_alu instid0(VALU_DEP_1)
	v_add_co_ci_u32_e64 v1, null, 0, 0, s3
	v_or_b32_e32 v10, s36, v7
	v_lshl_add_u32 v19, v8, 5, 0x800
	s_mov_b32 s3, 0
	s_wait_kmcnt 0x0
	v_mad_co_u64_u32 v[4:5], null, s28, v6, v[0:1]
	v_lshlrev_b32_e32 v1, 3, v6
	s_or_b32 s0, s34, s35
	s_delay_alu instid0(VALU_DEP_1) | instskip(NEXT) | instid1(VALU_DEP_3)
	v_lshl_or_b32 v9, v3, 5, v1
	v_dual_mov_b32 v0, v5 :: v_dual_lshlrev_b32 v5, 3, v7
	s_bitset0_b32 s0, 31
	s_delay_alu instid0(VALU_DEP_2) | instskip(NEXT) | instid1(VALU_DEP_2)
	v_add_nc_u32_e32 v18, 0x800, v9
	v_mad_co_u64_u32 v[2:3], null, s29, v6, v[0:1]
	v_mad_co_u64_u32 v[6:7], null, v12, s6, 0
	;; [unrolled: 1-line block ×3, first 2 shown]
	v_mul_lo_u32 v3, s15, v10
	v_lshl_or_b32 v17, v14, 9, v5
	v_mov_b32_e32 v5, v2
	v_mad_co_u64_u32 v[8:9], null, s14, v10, 0
	v_mov_b32_e32 v2, v7
	s_cmp_eq_u32 s0, 0
	s_mul_i32 s0, s14, s37
	s_cselect_b32 s1, -1, 0
	s_lshl_b64 s[14:15], s[6:7], 4
	v_mad_co_u64_u32 v[10:11], null, v12, s25, v[1:2]
	v_mad_co_u64_u32 v[11:12], null, v12, s7, v[2:3]
	v_add3_u32 v9, v9, s0, v3
	v_lshlrev_b32_e32 v16, 3, v13
	v_add_co_u32 v2, s0, s36, v13
	v_mov_b32_e32 v1, v10
	s_delay_alu instid0(VALU_DEP_4) | instskip(SKIP_4) | instid1(VALU_DEP_3)
	v_lshlrev_b64_e32 v[8:9], 3, v[8:9]
	v_dual_mov_b32 v7, v11 :: v_dual_lshlrev_b32 v10, 3, v14
	s_wait_alu 0xf1ff
	v_add_co_ci_u32_e64 v3, null, s37, 0, s0
	v_cmp_gt_i64_e64 s0, s[20:21], 0
	v_lshlrev_b64_e32 v[6:7], 3, v[6:7]
	v_add_co_u32 v8, vcc_lo, v8, v10
	s_delay_alu instid0(VALU_DEP_1)
	v_add_co_ci_u32_e64 v9, null, 0, v9, vcc_lo
	s_lshl_b64 s[24:25], s[24:25], 4
	v_add_co_u32 v20, vcc_lo, s4, v6
	s_wait_alu 0xfffd
	v_add_co_ci_u32_e64 v21, null, s5, v7, vcc_lo
	v_add_co_u32 v8, vcc_lo, s12, v8
	v_lshlrev_b64_e32 v[6:7], 3, v[4:5]
	s_wait_alu 0xfffd
	v_add_co_ci_u32_e64 v9, null, s13, v9, vcc_lo
	s_delay_alu instid0(VALU_DEP_3) | instskip(SKIP_2) | instid1(VALU_DEP_3)
	v_add_co_u32 v4, vcc_lo, v8, 4
	v_cndmask_b32_e64 v8, 0, 1, s0
	s_wait_alu 0xfffd
	v_add_co_ci_u32_e64 v5, null, 0, v9, vcc_lo
	v_add_co_u32 v6, vcc_lo, s18, v6
	s_wait_alu 0xfffd
	v_add_co_ci_u32_e64 v7, null, s19, v7, vcc_lo
	v_cmp_ne_u32_e64 s0, 1, v8
	s_lshl_b64 s[4:5], s[16:17], 3
	s_lshl_b64 s[6:7], s[30:31], 3
	;; [unrolled: 1-line block ×3, first 2 shown]
	s_wait_alu 0xfffe
	s_lshl_b64 s[14:15], s[14:15], 3
	s_lshl_b64 s[16:17], s[24:25], 3
	s_branch .LBB95_3
.LBB95_2:                               ;   in Loop: Header=BB95_3 Depth=1
	s_add_co_i32 s2, s2, 0x10000
	global_store_b32 v[8:9], v10, off offset:4
	s_wait_alu 0xfffe
	s_cmp_lt_i32 s2, s33
	s_cbranch_scc0 .LBB95_10
.LBB95_3:                               ; =>This Loop Header: Depth=1
                                        ;     Child Loop BB95_5 Depth 2
	v_dual_mov_b32 v52, 0 :: v_dual_mov_b32 v53, 0
	v_dual_mov_b32 v50, 0 :: v_dual_mov_b32 v51, 0
	;; [unrolled: 1-line block ×16, first 2 shown]
	s_and_b32 vcc_lo, exec_lo, s0
	s_wait_alu 0xfffe
	s_cbranch_vccnz .LBB95_6
; %bb.4:                                ;   in Loop: Header=BB95_3 Depth=1
	v_mad_co_u64_u32 v[8:9], null, s4, s2, v[4:5]
	v_mad_co_u64_u32 v[10:11], null, s6, s2, v[6:7]
	v_dual_mov_b32 v23, 0 :: v_dual_mov_b32 v22, 0
	v_dual_mov_b32 v25, 0 :: v_dual_mov_b32 v24, 0
	;; [unrolled: 1-line block ×3, first 2 shown]
	s_delay_alu instid0(VALU_DEP_4) | instskip(SKIP_3) | instid1(VALU_DEP_4)
	v_mad_co_u64_u32 v[12:13], null, s5, s2, v[9:10]
	v_dual_mov_b32 v29, 0 :: v_dual_mov_b32 v28, 0
	v_dual_mov_b32 v31, 0 :: v_dual_mov_b32 v30, 0
	;; [unrolled: 1-line block ×3, first 2 shown]
	v_mad_co_u64_u32 v[13:14], null, s7, s2, v[11:12]
	v_dual_mov_b32 v9, v12 :: v_dual_mov_b32 v32, 0
	v_dual_mov_b32 v35, 0 :: v_dual_mov_b32 v38, 0
	;; [unrolled: 1-line block ×3, first 2 shown]
	s_delay_alu instid0(VALU_DEP_4)
	v_dual_mov_b32 v40, 0 :: v_dual_mov_b32 v11, v13
	v_dual_mov_b32 v39, 0 :: v_dual_mov_b32 v42, 0
	;; [unrolled: 1-line block ×7, first 2 shown]
	v_mov_b32_e32 v51, 0
	v_mov_b32_e32 v53, 0
	s_mov_b64 s[18:19], 0
.LBB95_5:                               ;   Parent Loop BB95_3 Depth=1
                                        ; =>  This Inner Loop Header: Depth=2
	global_load_b64 v[12:13], v[8:9], off offset:-4
	global_load_b64 v[14:15], v[10:11], off
	s_wait_alu 0xfffe
	s_add_nc_u64 s[18:19], s[18:19], 4
	v_add_co_u32 v8, vcc_lo, v8, 32
	s_wait_alu 0xfffe
	v_cmp_lt_i64_e64 s24, s[18:19], s[20:21]
	s_wait_alu 0xfffd
	v_add_co_ci_u32_e64 v9, null, 0, v9, vcc_lo
	v_add_co_u32 v10, vcc_lo, v10, s12
	s_wait_alu 0xfffd
	v_add_co_ci_u32_e64 v11, null, s13, v11, vcc_lo
	s_and_b32 vcc_lo, exec_lo, s24
	s_wait_loadcnt 0x1
	v_xor_b32_e32 v13, 0x80000000, v13
	s_wait_loadcnt 0x0
	ds_store_b64 v18, v[14:15]
	ds_store_b64 v17, v[12:13]
	s_wait_dscnt 0x0
	s_barrier_signal -1
	s_barrier_wait -1
	global_inv scope:SCOPE_SE
	ds_load_2addr_b64 v[12:15], v16 offset1:16
	ds_load_b128 v[54:57], v19
	ds_load_b128 v[58:61], v19 offset:16
	ds_load_b128 v[62:65], v19 offset:512
	;; [unrolled: 1-line block ×7, first 2 shown]
	ds_load_2addr_b64 v[86:89], v16 offset0:32 offset1:48
	ds_load_2addr_b64 v[90:93], v16 offset0:64 offset1:80
	;; [unrolled: 1-line block ×7, first 2 shown]
	s_wait_loadcnt_dscnt 0x0
	s_barrier_signal -1
	s_barrier_wait -1
	global_inv scope:SCOPE_SE
	v_dual_mul_f32 v114, v55, v13 :: v_dual_mul_f32 v117, v54, v15
	v_dual_mul_f32 v115, v54, v13 :: v_dual_mul_f32 v116, v55, v15
	;; [unrolled: 1-line block ×6, first 2 shown]
	v_mul_f32_e32 v126, v79, v13
	v_dual_mul_f32 v13, v78, v13 :: v_dual_mul_f32 v128, v55, v87
	v_dual_mul_f32 v127, v79, v15 :: v_dual_mul_f32 v144, v57, v93
	;; [unrolled: 1-line block ×9, first 2 shown]
	v_mul_f32_e32 v15, v78, v15
	v_dual_mul_f32 v87, v78, v87 :: v_dual_mul_f32 v148, v57, v97
	v_dual_mul_f32 v89, v78, v89 :: v_dual_mul_f32 v146, v57, v95
	;; [unrolled: 1-line block ×19, first 2 shown]
	v_mul_f32_e32 v181, v74, v101
	v_fma_f32 v114, v54, v12, -v114
	v_fmac_f32_e32 v115, v55, v12
	v_fma_f32 v116, v54, v14, -v116
	v_fmac_f32_e32 v117, v55, v14
	;; [unrolled: 2-line block ×7, first 2 shown]
	v_fma_f32 v12, v78, v14, -v127
	v_fma_f32 v128, v54, v86, -v128
	v_dual_fmac_f32 v129, v55, v86 :: v_dual_mul_f32 v194, v77, v113
	v_fma_f32 v54, v54, v88, -v130
	v_fmac_f32_e32 v131, v55, v88
	v_fma_f32 v55, v62, v86, -v132
	v_fmac_f32_e32 v133, v63, v86
	;; [unrolled: 2-line block ×3, first 2 shown]
	v_fmac_f32_e32 v139, v71, v88
	v_fma_f32 v71, v78, v86, -v140
	v_fma_f32 v78, v78, v88, -v141
	;; [unrolled: 1-line block ×3, first 2 shown]
	v_dual_mul_f32 v144, v60, v107 :: v_dual_fmac_f32 v135, v63, v88
	v_fma_f32 v63, v70, v86, -v136
	v_fma_f32 v70, v70, v88, -v138
	v_dual_mul_f32 v97, v80, v97 :: v_dual_mul_f32 v182, v83, v99
	v_dual_mul_f32 v171, v58, v99 :: v_dual_mul_f32 v188, v67, v105
	;; [unrolled: 1-line block ×3, first 2 shown]
	v_mul_f32_e32 v175, v66, v99
	v_mul_f32_e32 v177, v66, v101
	v_dual_mul_f32 v179, v74, v99 :: v_dual_mul_f32 v138, v83, v105
	v_mul_f32_e32 v99, v82, v99
	v_mul_f32_e32 v183, v83, v101
	;; [unrolled: 1-line block ×5, first 2 shown]
	v_dual_fmac_f32 v15, v79, v14 :: v_dual_mul_f32 v190, v77, v107
	v_mul_f32_e32 v14, v67, v103
	v_dual_mul_f32 v127, v66, v103 :: v_dual_mul_f32 v192, v77, v109
	v_mul_f32_e32 v189, v66, v105
	v_fmac_f32_e32 v87, v79, v86
	v_dual_fmac_f32 v89, v79, v88 :: v_dual_mul_f32 v86, v74, v103
	v_mul_f32_e32 v88, v75, v105
	v_mul_f32_e32 v130, v74, v105
	v_fma_f32 v132, v56, v90, -v142
	v_fmac_f32_e32 v143, v57, v90
	v_dual_fmac_f32 v145, v57, v92 :: v_dual_fmac_f32 v86, v75, v102
	v_fma_f32 v136, v56, v94, -v146
	v_dual_fmac_f32 v147, v57, v94 :: v_dual_add_f32 v50, v50, v116
	v_fma_f32 v56, v56, v96, -v148
	v_dual_fmac_f32 v149, v57, v96 :: v_dual_add_f32 v52, v52, v114
	v_dual_mul_f32 v105, v82, v105 :: v_dual_add_f32 v48, v48, v128
	v_fma_f32 v140, v64, v90, -v150
	v_dual_fmac_f32 v151, v65, v90 :: v_dual_add_f32 v42, v42, v120
	v_fma_f32 v141, v64, v92, -v152
	v_dual_fmac_f32 v153, v65, v92 :: v_dual_add_f32 v46, v46, v54
	;; [unrolled: 2-line block ×4, first 2 shown]
	v_dual_mul_f32 v65, v61, v107 :: v_dual_add_f32 v38, v38, v62
	v_mul_f32_e32 v146, v61, v109
	v_mul_f32_e32 v148, v60, v109
	v_fma_f32 v150, v72, v90, -v158
	v_dual_fmac_f32 v159, v73, v90 :: v_dual_add_f32 v34, v34, v124
	v_fma_f32 v152, v72, v92, -v160
	v_dual_fmac_f32 v161, v73, v92 :: v_dual_add_f32 v36, v36, v122
	;; [unrolled: 2-line block ×4, first 2 shown]
	v_dual_mul_f32 v73, v61, v111 :: v_dual_add_f32 v28, v28, v126
	v_mul_f32_e32 v156, v60, v111
	v_mul_f32_e32 v160, v60, v113
	v_fma_f32 v162, v80, v90, -v166
	v_dual_fmac_f32 v91, v81, v90 :: v_dual_add_f32 v12, v26, v12
	v_fma_f32 v90, v80, v92, -v167
	v_dual_fmac_f32 v93, v81, v92 :: v_dual_add_f32 v24, v24, v71
	v_mul_f32_e32 v164, v68, v107
	v_mul_f32_e32 v79, v75, v103
	v_dual_mul_f32 v167, v68, v109 :: v_dual_add_f32 v22, v22, v78
	v_fma_f32 v168, v80, v94, -v168
	v_dual_fmac_f32 v95, v81, v94 :: v_dual_add_f32 v26, v52, v132
	v_fma_f32 v80, v80, v96, -v169
	v_mul_f32_e32 v94, v68, v111
	v_mul_f32_e32 v57, v83, v103
	v_dual_mul_f32 v103, v82, v103 :: v_dual_mul_f32 v158, v61, v113
	v_mul_f32_e32 v92, v69, v107
	v_mul_f32_e32 v166, v69, v109
	v_dual_mul_f32 v169, v68, v113 :: v_dual_add_f32 v46, v46, v56
	v_dual_mul_f32 v191, v76, v107 :: v_dual_add_f32 v42, v42, v141
	;; [unrolled: 1-line block ×3, first 2 shown]
	v_fma_f32 v170, v58, v98, -v170
	v_dual_fmac_f32 v171, v59, v98 :: v_dual_add_f32 v44, v44, v140
	v_fma_f32 v172, v58, v100, -v172
	v_dual_fmac_f32 v173, v59, v100 :: v_dual_add_f32 v40, v40, v142
	;; [unrolled: 2-line block ×8, first 2 shown]
	v_mul_f32_e32 v100, v77, v111
	v_dual_mul_f32 v183, v76, v111 :: v_dual_add_f32 v22, v22, v80
	v_dual_mul_f32 v195, v76, v113 :: v_dual_add_f32 v26, v26, v170
	v_fma_f32 v184, v58, v102, -v184
	v_fma_f32 v58, v58, v104, -v186
	v_dual_fmac_f32 v187, v59, v104 :: v_dual_add_f32 v12, v12, v90
	v_fma_f32 v14, v66, v102, -v14
	v_dual_fmac_f32 v127, v67, v102 :: v_dual_add_f32 v42, v42, v176
	s_delay_alu instid0(VALU_DEP_4)
	v_dual_fmac_f32 v189, v67, v104 :: v_dual_add_f32 v46, v46, v58
	v_fma_f32 v67, v74, v104, -v88
	v_fmac_f32_e32 v130, v75, v104
	v_dual_fmac_f32 v105, v83, v104 :: v_dual_add_f32 v44, v44, v174
	v_dual_mul_f32 v75, v85, v107 :: v_dual_add_f32 v14, v40, v14
	v_fmac_f32_e32 v144, v61, v106
	v_fma_f32 v88, v60, v108, -v146
	v_fmac_f32_e32 v148, v61, v108
	v_fmac_f32_e32 v156, v61, v110
	;; [unrolled: 1-line block ×3, first 2 shown]
	v_dual_mul_f32 v61, v85, v111 :: v_dual_add_f32 v36, v36, v178
	v_fmac_f32_e32 v164, v69, v106
	v_fmac_f32_e32 v94, v69, v110
	v_fma_f32 v57, v82, v102, -v57
	v_add_f32_e32 v51, v51, v117
	v_fmac_f32_e32 v97, v81, v96
	v_dual_mul_f32 v81, v69, v111 :: v_dual_add_f32 v48, v48, v136
	v_dual_mul_f32 v96, v69, v113 :: v_dual_fmac_f32 v185, v59, v102
	v_fma_f32 v59, v66, v104, -v188
	v_fma_f32 v66, v74, v102, -v79
	;; [unrolled: 1-line block ×3, first 2 shown]
	v_mul_f32_e32 v82, v85, v109
	v_dual_mul_f32 v104, v85, v113 :: v_dual_fmac_f32 v103, v83, v102
	v_add_f32_e32 v38, v38, v59
	v_dual_mul_f32 v79, v84, v107 :: v_dual_add_f32 v34, v34, v180
	v_dual_mul_f32 v83, v84, v109 :: v_dual_add_f32 v30, v30, v67
	v_fma_f32 v65, v60, v106, -v65
	v_fma_f32 v73, v60, v110, -v73
	v_mul_f32_e32 v102, v84, v111
	v_dual_mul_f32 v107, v84, v113 :: v_dual_add_f32 v22, v22, v74
	v_fma_f32 v92, v68, v106, -v92
	v_fma_f32 v109, v68, v108, -v166
	v_dual_fmac_f32 v167, v69, v108 :: v_dual_add_f32 v32, v32, v66
	v_fma_f32 v81, v68, v110, -v81
	v_fma_f32 v68, v68, v112, -v96
	v_dual_fmac_f32 v169, v69, v112 :: v_dual_add_f32 v28, v28, v182
	v_fma_f32 v69, v76, v106, -v190
	v_dual_fmac_f32 v191, v77, v106 :: v_dual_add_f32 v24, v24, v57
	;; [unrolled: 2-line block ×4, first 2 shown]
	v_fma_f32 v76, v76, v112, -v194
	v_fma_f32 v75, v84, v106, -v75
	;; [unrolled: 1-line block ×3, first 2 shown]
	v_dual_add_f32 v53, v53, v115 :: v_dual_add_f32 v44, v44, v92
	v_dual_add_f32 v49, v49, v129 :: v_dual_add_f32 v38, v38, v68
	;; [unrolled: 1-line block ×8, first 2 shown]
	v_add_f32_e32 v31, v31, v139
	v_add_f32_e32 v13, v29, v13
	;; [unrolled: 1-line block ×4, first 2 shown]
	v_dual_add_f32 v23, v23, v89 :: v_dual_add_f32 v48, v48, v184
	v_fmac_f32_e32 v195, v77, v112
	v_fma_f32 v77, v84, v108, -v82
	v_fma_f32 v82, v84, v112, -v104
	v_add_f32_e32 v39, v39, v135
	v_add_f32_e32 v33, v33, v137
	;; [unrolled: 1-line block ×3, first 2 shown]
	v_dual_add_f32 v29, v50, v134 :: v_dual_add_f32 v50, v51, v145
	v_add_f32_e32 v49, v49, v147
	v_add_f32_e32 v47, v47, v149
	;; [unrolled: 1-line block ×13, first 2 shown]
	v_dual_add_f32 v39, v39, v157 :: v_dual_add_f32 v22, v22, v82
	v_add_f32_e32 v33, v33, v163
	v_fma_f32 v60, v60, v112, -v158
	v_fmac_f32_e32 v79, v85, v106
	v_dual_fmac_f32 v83, v85, v108 :: v_dual_add_f32 v42, v42, v109
	v_fmac_f32_e32 v102, v85, v110
	v_dual_fmac_f32 v107, v85, v112 :: v_dual_add_f32 v40, v14, v81
	v_add_f32_e32 v27, v27, v171
	v_add_f32_e32 v29, v29, v172
	;; [unrolled: 1-line block ×19, first 2 shown]
	v_dual_add_f32 v51, v51, v148 :: v_dual_add_f32 v48, v48, v73
	v_add_f32_e32 v49, v49, v156
	v_add_f32_e32 v46, v46, v60
	;; [unrolled: 1-line block ×15, first 2 shown]
	s_wait_alu 0xfffe
	s_cbranch_vccnz .LBB95_5
.LBB95_6:                               ;   in Loop: Header=BB95_3 Depth=1
	s_mul_u64 s[18:19], s[26:27], s[2:3]
	s_and_not1_b32 vcc_lo, exec_lo, s1
	s_wait_alu 0xfffe
	s_lshl_b64 s[18:19], s[18:19], 3
	s_mov_b32 s24, -1
	s_wait_alu 0xfffe
	s_add_nc_u64 s[18:19], s[10:11], s[18:19]
                                        ; implicit-def: $vgpr10
                                        ; implicit-def: $vgpr8_vgpr9
	s_cbranch_vccz .LBB95_8
; %bb.7:                                ;   in Loop: Header=BB95_3 Depth=1
	s_and_not1_b32 vcc_lo, exec_lo, s24
	s_wait_alu 0xfffe
	s_cbranch_vccnz .LBB95_2
	s_branch .LBB95_9
.LBB95_8:                               ;   in Loop: Header=BB95_3 Depth=1
	v_lshlrev_b64_e32 v[8:9], 3, v[0:1]
	v_lshlrev_b64_e32 v[11:12], 3, v[2:3]
	v_dual_mul_f32 v10, s22, v53 :: v_dual_mul_f32 v55, s22, v51
	v_dual_mul_f32 v13, s23, v53 :: v_dual_mul_f32 v54, s23, v51
	v_mul_f32_e32 v57, s22, v49
	s_wait_alu 0xfffe
	v_add_co_u32 v8, vcc_lo, s18, v8
	s_wait_alu 0xfffd
	v_add_co_ci_u32_e64 v15, null, s19, v9, vcc_lo
	v_dual_mul_f32 v56, s23, v49 :: v_dual_mul_f32 v59, s22, v47
	v_fmac_f32_e32 v10, s23, v52
	v_fma_f32 v9, v52, s22, -v13
	v_add_co_u32 v13, vcc_lo, v8, v11
	v_dual_mul_f32 v58, s23, v47 :: v_dual_fmac_f32 v55, s23, v50
	s_wait_alu 0xfffd
	v_add_co_ci_u32_e64 v14, null, v15, v12, vcc_lo
	v_fma_f32 v54, v50, s22, -v54
	v_fma_f32 v56, v48, s22, -v56
	v_fmac_f32_e32 v57, s23, v48
	v_fma_f32 v58, v46, s22, -v58
	v_fmac_f32_e32 v59, s23, v46
	s_clause 0x3
	global_store_b64 v[13:14], v[9:10], off
	global_store_b64 v[13:14], v[54:55], off offset:128
	global_store_b64 v[13:14], v[56:57], off offset:256
	;; [unrolled: 1-line block ×3, first 2 shown]
	v_mul_f32_e32 v10, s23, v45
	v_dual_mul_f32 v9, s22, v45 :: v_dual_mul_f32 v58, s23, v39
	v_add_co_u32 v60, vcc_lo, v8, s16
	s_delay_alu instid0(VALU_DEP_3) | instskip(NEXT) | instid1(VALU_DEP_3)
	v_fma_f32 v8, v44, s22, -v10
	v_dual_mul_f32 v10, s23, v43 :: v_dual_fmac_f32 v9, s23, v44
	s_wait_alu 0xfffd
	v_add_co_ci_u32_e64 v15, null, s17, v15, vcc_lo
	v_mul_f32_e32 v55, s22, v43
	s_delay_alu instid0(VALU_DEP_3) | instskip(SKIP_4) | instid1(VALU_DEP_3)
	v_fma_f32 v54, v42, s22, -v10
	v_mul_f32_e32 v10, s23, v41
	v_add_co_u32 v13, vcc_lo, v60, v11
	s_wait_alu 0xfffd
	v_add_co_ci_u32_e64 v14, null, v15, v12, vcc_lo
	v_fma_f32 v56, v40, s22, -v10
	v_mul_f32_e32 v10, s23, v37
	v_mul_f32_e32 v57, s22, v41
	v_add_co_u32 v70, vcc_lo, v60, s16
	v_mul_f32_e32 v59, s22, v39
	s_delay_alu instid0(VALU_DEP_4) | instskip(SKIP_4) | instid1(VALU_DEP_3)
	v_fma_f32 v60, v36, s22, -v10
	v_dual_mul_f32 v10, s23, v35 :: v_dual_mul_f32 v61, s22, v37
	s_wait_alu 0xfffd
	v_add_co_ci_u32_e64 v15, null, s17, v15, vcc_lo
	v_dual_fmac_f32 v55, s23, v42 :: v_dual_mul_f32 v68, s23, v31
	v_fma_f32 v64, v34, s22, -v10
	v_dual_mul_f32 v65, s22, v35 :: v_dual_mul_f32 v10, s23, v33
	v_mul_f32_e32 v67, s22, v33
	v_mul_f32_e32 v69, s22, v31
	v_fmac_f32_e32 v57, s23, v40
	v_add_co_u32 v62, vcc_lo, v70, v11
	v_fma_f32 v58, v38, s22, -v58
	v_fmac_f32_e32 v59, s23, v38
	v_fmac_f32_e32 v61, s23, v36
	s_wait_alu 0xfffd
	v_add_co_ci_u32_e64 v63, null, v15, v12, vcc_lo
	v_fmac_f32_e32 v65, s23, v34
	v_fma_f32 v66, v32, s22, -v10
	v_fmac_f32_e32 v67, s23, v32
	v_fma_f32 v68, v30, s22, -v68
	v_fmac_f32_e32 v69, s23, v30
	s_clause 0x7
	global_store_b64 v[13:14], v[8:9], off
	global_store_b64 v[13:14], v[54:55], off offset:128
	global_store_b64 v[13:14], v[56:57], off offset:256
	;; [unrolled: 1-line block ×3, first 2 shown]
	global_store_b64 v[62:63], v[60:61], off
	global_store_b64 v[62:63], v[64:65], off offset:128
	global_store_b64 v[62:63], v[66:67], off offset:256
	;; [unrolled: 1-line block ×3, first 2 shown]
	v_mul_f32_e32 v8, s23, v29
	v_add_co_u32 v9, vcc_lo, v70, s16
	s_wait_alu 0xfffd
	v_add_co_ci_u32_e64 v10, null, s17, v15, vcc_lo
	s_delay_alu instid0(VALU_DEP_3)
	v_fma_f32 v13, v28, s22, -v8
	v_mul_f32_e32 v8, s23, v27
	v_add_co_u32 v11, vcc_lo, v9, v11
	v_mul_f32_e32 v14, s22, v29
	s_wait_alu 0xfffd
	v_add_co_ci_u32_e64 v12, null, v10, v12, vcc_lo
	v_fma_f32 v54, v26, s22, -v8
	v_dual_mul_f32 v8, s23, v25 :: v_dual_mul_f32 v9, s23, v23
	v_mul_f32_e32 v10, s22, v23
	v_mul_f32_e32 v55, s22, v27
	;; [unrolled: 1-line block ×3, first 2 shown]
	s_delay_alu instid0(VALU_DEP_4)
	v_fma_f32 v56, v24, s22, -v8
	v_add_co_u32 v8, vcc_lo, 0x180, v11
	v_fmac_f32_e32 v14, s23, v28
	v_fma_f32 v15, v22, s22, -v9
	v_fmac_f32_e32 v10, s23, v22
	s_wait_alu 0xfffd
	v_add_co_ci_u32_e64 v9, null, 0, v12, vcc_lo
	v_fmac_f32_e32 v55, s23, v26
	v_fmac_f32_e32 v57, s23, v24
	s_clause 0x3
	global_store_b64 v[11:12], v[13:14], off
	global_store_b64 v[11:12], v[54:55], off offset:128
	global_store_b64 v[11:12], v[56:57], off offset:256
	global_store_b32 v[11:12], v15, off offset:384
	s_cbranch_execnz .LBB95_2
.LBB95_9:                               ;   in Loop: Header=BB95_3 Depth=1
	s_mul_u64 s[24:25], s[8:9], s[2:3]
	v_lshlrev_b64_e32 v[8:9], 3, v[2:3]
	s_wait_alu 0xfffe
	s_lshl_b64 s[24:25], s[24:25], 3
	v_mul_f32_e32 v56, s23, v53
	s_wait_alu 0xfffe
	v_add_co_u32 v54, vcc_lo, v20, s24
	s_wait_alu 0xfffd
	v_add_co_ci_u32_e64 v55, null, s25, v21, vcc_lo
	v_mul_f32_e32 v53, s22, v53
	s_delay_alu instid0(VALU_DEP_3) | instskip(SKIP_1) | instid1(VALU_DEP_3)
	v_add_co_u32 v10, vcc_lo, v54, v8
	s_wait_alu 0xfffd
	v_add_co_ci_u32_e64 v11, null, v55, v9, vcc_lo
	v_lshlrev_b64_e32 v[14:15], 3, v[0:1]
	v_fmac_f32_e32 v53, s23, v52
	v_fma_f32 v56, v52, s22, -v56
	global_load_b64 v[12:13], v[10:11], off
	v_add_co_u32 v58, vcc_lo, s18, v14
	s_wait_alu 0xfffd
	v_add_co_ci_u32_e64 v59, null, s19, v15, vcc_lo
	s_wait_loadcnt 0x0
	v_mul_f32_e32 v57, s34, v13
	s_delay_alu instid0(VALU_DEP_1) | instskip(NEXT) | instid1(VALU_DEP_1)
	v_dual_mul_f32 v52, s35, v13 :: v_dual_fmac_f32 v57, s35, v12
	v_fma_f32 v14, v12, s34, -v52
	v_mul_f32_e32 v52, s23, v51
	v_add_co_u32 v12, vcc_lo, v58, v8
	s_wait_alu 0xfffd
	v_add_co_ci_u32_e64 v13, null, v59, v9, vcc_lo
	v_add_f32_e32 v14, v56, v14
	v_fma_f32 v52, v50, s22, -v52
	v_add_f32_e32 v15, v53, v57
	v_mul_f32_e32 v51, s22, v51
	global_store_b64 v[12:13], v[14:15], off
	global_load_b64 v[14:15], v[10:11], off offset:128
	v_fmac_f32_e32 v51, s23, v50
	s_wait_loadcnt 0x0
	v_mul_f32_e32 v53, s35, v15
	v_mul_f32_e32 v15, s34, v15
	s_delay_alu instid0(VALU_DEP_2) | instskip(NEXT) | instid1(VALU_DEP_2)
	v_fma_f32 v50, v14, s34, -v53
	v_fmac_f32_e32 v15, s35, v14
	s_delay_alu instid0(VALU_DEP_1)
	v_dual_add_f32 v14, v52, v50 :: v_dual_add_f32 v15, v51, v15
	v_mul_f32_e32 v50, s23, v49
	v_mul_f32_e32 v49, s22, v49
	global_store_b64 v[12:13], v[14:15], off offset:128
	global_load_b64 v[14:15], v[10:11], off offset:256
	v_fma_f32 v50, v48, s22, -v50
	v_fmac_f32_e32 v49, s23, v48
	s_wait_loadcnt 0x0
	v_mul_f32_e32 v51, s35, v15
	v_mul_f32_e32 v15, s34, v15
	s_delay_alu instid0(VALU_DEP_2) | instskip(NEXT) | instid1(VALU_DEP_1)
	v_fma_f32 v48, v14, s34, -v51
	v_dual_fmac_f32 v15, s35, v14 :: v_dual_add_f32 v14, v50, v48
	s_delay_alu instid0(VALU_DEP_1) | instskip(SKIP_4) | instid1(VALU_DEP_2)
	v_add_f32_e32 v15, v49, v15
	global_store_b64 v[12:13], v[14:15], off offset:256
	global_load_b64 v[10:11], v[10:11], off offset:384
	v_mul_f32_e32 v14, s23, v47
	v_mul_f32_e32 v15, s22, v47
	v_fma_f32 v14, v46, s22, -v14
	s_delay_alu instid0(VALU_DEP_2) | instskip(SKIP_3) | instid1(VALU_DEP_2)
	v_fmac_f32_e32 v15, s23, v46
	s_wait_loadcnt 0x0
	v_mul_f32_e32 v47, s35, v11
	v_mul_f32_e32 v11, s34, v11
	v_fma_f32 v46, v10, s34, -v47
	v_add_co_u32 v47, vcc_lo, v54, s14
	s_delay_alu instid0(VALU_DEP_3)
	v_fmac_f32_e32 v11, s35, v10
	s_wait_alu 0xfffd
	v_add_co_ci_u32_e64 v48, null, s15, v55, vcc_lo
	v_add_f32_e32 v10, v14, v46
	v_add_co_u32 v14, vcc_lo, v47, v8
	v_add_f32_e32 v11, v15, v11
	s_wait_alu 0xfffd
	v_add_co_ci_u32_e64 v15, null, v48, v9, vcc_lo
	v_add_co_u32 v46, vcc_lo, v58, s16
	global_store_b64 v[12:13], v[10:11], off offset:384
	global_load_b64 v[10:11], v[14:15], off
	v_mul_f32_e32 v12, s23, v45
	v_mul_f32_e32 v13, s22, v45
	s_wait_alu 0xfffd
	v_add_co_ci_u32_e64 v49, null, s17, v59, vcc_lo
	s_delay_alu instid0(VALU_DEP_3) | instskip(SKIP_3) | instid1(VALU_DEP_2)
	v_fma_f32 v12, v44, s22, -v12
	s_wait_loadcnt 0x0
	v_dual_fmac_f32 v13, s23, v44 :: v_dual_mul_f32 v44, s35, v11
	v_mul_f32_e32 v45, s34, v11
	v_fma_f32 v44, v10, s34, -v44
	s_delay_alu instid0(VALU_DEP_2) | instskip(SKIP_3) | instid1(VALU_DEP_3)
	v_fmac_f32_e32 v45, s35, v10
	v_add_co_u32 v10, vcc_lo, v46, v8
	s_wait_alu 0xfffd
	v_add_co_ci_u32_e64 v11, null, v49, v9, vcc_lo
	v_dual_add_f32 v12, v12, v44 :: v_dual_add_f32 v13, v13, v45
	v_mul_f32_e32 v44, s23, v43
	v_mul_f32_e32 v43, s22, v43
	global_store_b64 v[10:11], v[12:13], off
	global_load_b64 v[12:13], v[14:15], off offset:128
	v_fma_f32 v44, v42, s22, -v44
	v_fmac_f32_e32 v43, s23, v42
	s_wait_loadcnt 0x0
	v_mul_f32_e32 v45, s35, v13
	v_mul_f32_e32 v13, s34, v13
	s_delay_alu instid0(VALU_DEP_2) | instskip(NEXT) | instid1(VALU_DEP_1)
	v_fma_f32 v42, v12, s34, -v45
	v_dual_fmac_f32 v13, s35, v12 :: v_dual_add_f32 v12, v44, v42
	s_delay_alu instid0(VALU_DEP_1)
	v_add_f32_e32 v13, v43, v13
	v_mul_f32_e32 v42, s23, v41
	v_mul_f32_e32 v41, s22, v41
	global_store_b64 v[10:11], v[12:13], off offset:128
	global_load_b64 v[12:13], v[14:15], off offset:256
	v_fma_f32 v42, v40, s22, -v42
	v_fmac_f32_e32 v41, s23, v40
	s_wait_loadcnt 0x0
	v_mul_f32_e32 v43, s35, v13
	v_mul_f32_e32 v13, s34, v13
	s_delay_alu instid0(VALU_DEP_2) | instskip(NEXT) | instid1(VALU_DEP_2)
	v_fma_f32 v40, v12, s34, -v43
	v_fmac_f32_e32 v13, s35, v12
	s_delay_alu instid0(VALU_DEP_1) | instskip(SKIP_4) | instid1(VALU_DEP_2)
	v_dual_add_f32 v12, v42, v40 :: v_dual_add_f32 v13, v41, v13
	global_store_b64 v[10:11], v[12:13], off offset:256
	global_load_b64 v[12:13], v[14:15], off offset:384
	v_mul_f32_e32 v14, s23, v39
	v_mul_f32_e32 v15, s22, v39
	v_fma_f32 v14, v38, s22, -v14
	s_delay_alu instid0(VALU_DEP_2) | instskip(SKIP_3) | instid1(VALU_DEP_2)
	v_fmac_f32_e32 v15, s23, v38
	s_wait_loadcnt 0x0
	v_mul_f32_e32 v39, s35, v13
	v_mul_f32_e32 v13, s34, v13
	v_fma_f32 v38, v12, s34, -v39
	v_add_co_u32 v39, vcc_lo, v47, s14
	s_delay_alu instid0(VALU_DEP_3)
	v_fmac_f32_e32 v13, s35, v12
	s_wait_alu 0xfffd
	v_add_co_ci_u32_e64 v40, null, s15, v48, vcc_lo
	v_add_f32_e32 v12, v14, v38
	v_add_co_u32 v14, vcc_lo, v39, v8
	v_add_f32_e32 v13, v15, v13
	s_wait_alu 0xfffd
	v_add_co_ci_u32_e64 v15, null, v40, v9, vcc_lo
	v_add_co_u32 v38, vcc_lo, v46, s16
	global_store_b64 v[10:11], v[12:13], off offset:384
	global_load_b64 v[10:11], v[14:15], off
	v_mul_f32_e32 v12, s23, v37
	v_mul_f32_e32 v13, s22, v37
	s_wait_alu 0xfffd
	v_add_co_ci_u32_e64 v41, null, s17, v49, vcc_lo
	s_delay_alu instid0(VALU_DEP_3) | instskip(SKIP_3) | instid1(VALU_DEP_2)
	v_fma_f32 v12, v36, s22, -v12
	s_wait_loadcnt 0x0
	v_dual_fmac_f32 v13, s23, v36 :: v_dual_mul_f32 v36, s35, v11
	v_mul_f32_e32 v37, s34, v11
	v_fma_f32 v36, v10, s34, -v36
	s_delay_alu instid0(VALU_DEP_2) | instskip(SKIP_3) | instid1(VALU_DEP_3)
	v_fmac_f32_e32 v37, s35, v10
	v_add_co_u32 v10, vcc_lo, v38, v8
	s_wait_alu 0xfffd
	v_add_co_ci_u32_e64 v11, null, v41, v9, vcc_lo
	v_dual_add_f32 v12, v12, v36 :: v_dual_add_f32 v13, v13, v37
	v_mul_f32_e32 v36, s23, v35
	v_mul_f32_e32 v35, s22, v35
	global_store_b64 v[10:11], v[12:13], off
	global_load_b64 v[12:13], v[14:15], off offset:128
	v_fma_f32 v36, v34, s22, -v36
	v_fmac_f32_e32 v35, s23, v34
	s_wait_loadcnt 0x0
	v_mul_f32_e32 v37, s35, v13
	v_mul_f32_e32 v13, s34, v13
	s_delay_alu instid0(VALU_DEP_2) | instskip(NEXT) | instid1(VALU_DEP_1)
	v_fma_f32 v34, v12, s34, -v37
	v_dual_fmac_f32 v13, s35, v12 :: v_dual_add_f32 v12, v36, v34
	s_delay_alu instid0(VALU_DEP_1)
	v_add_f32_e32 v13, v35, v13
	v_mul_f32_e32 v34, s23, v33
	v_mul_f32_e32 v33, s22, v33
	global_store_b64 v[10:11], v[12:13], off offset:128
	global_load_b64 v[12:13], v[14:15], off offset:256
	v_fma_f32 v34, v32, s22, -v34
	v_fmac_f32_e32 v33, s23, v32
	s_wait_loadcnt 0x0
	v_mul_f32_e32 v35, s35, v13
	v_mul_f32_e32 v13, s34, v13
	s_delay_alu instid0(VALU_DEP_2) | instskip(NEXT) | instid1(VALU_DEP_2)
	v_fma_f32 v32, v12, s34, -v35
	v_fmac_f32_e32 v13, s35, v12
	s_delay_alu instid0(VALU_DEP_1) | instskip(SKIP_4) | instid1(VALU_DEP_2)
	v_dual_add_f32 v12, v34, v32 :: v_dual_add_f32 v13, v33, v13
	global_store_b64 v[10:11], v[12:13], off offset:256
	global_load_b64 v[12:13], v[14:15], off offset:384
	v_mul_f32_e32 v14, s23, v31
	v_mul_f32_e32 v15, s22, v31
	v_fma_f32 v14, v30, s22, -v14
	s_delay_alu instid0(VALU_DEP_2) | instskip(SKIP_3) | instid1(VALU_DEP_2)
	v_fmac_f32_e32 v15, s23, v30
	s_wait_loadcnt 0x0
	v_mul_f32_e32 v31, s35, v13
	v_mul_f32_e32 v13, s34, v13
	v_fma_f32 v30, v12, s34, -v31
	v_add_co_u32 v31, vcc_lo, v39, s14
	s_delay_alu instid0(VALU_DEP_3)
	v_fmac_f32_e32 v13, s35, v12
	s_wait_alu 0xfffd
	v_add_co_ci_u32_e64 v32, null, s15, v40, vcc_lo
	v_add_f32_e32 v12, v14, v30
	v_add_co_u32 v14, vcc_lo, v31, v8
	v_add_f32_e32 v13, v15, v13
	s_wait_alu 0xfffd
	v_add_co_ci_u32_e64 v15, null, v32, v9, vcc_lo
	global_store_b64 v[10:11], v[12:13], off offset:384
	global_load_b64 v[10:11], v[14:15], off
	v_mul_f32_e32 v12, s23, v29
	v_mul_f32_e32 v13, s22, v29
	s_delay_alu instid0(VALU_DEP_2) | instskip(SKIP_1) | instid1(VALU_DEP_2)
	v_fma_f32 v29, v28, s22, -v12
	s_wait_loadcnt 0x0
	v_dual_fmac_f32 v13, s23, v28 :: v_dual_mul_f32 v12, s35, v11
	v_mul_f32_e32 v28, s34, v11
	v_add_co_u32 v11, vcc_lo, v38, s16
	s_wait_alu 0xfffd
	v_add_co_ci_u32_e64 v30, null, s17, v41, vcc_lo
	v_fma_f32 v31, v10, s34, -v12
	v_fmac_f32_e32 v28, s35, v10
	v_add_co_u32 v11, vcc_lo, v11, v8
	s_wait_alu 0xfffd
	v_add_co_ci_u32_e64 v12, null, v30, v9, vcc_lo
	v_add_f32_e32 v8, v29, v31
	v_dual_add_f32 v9, v13, v28 :: v_dual_mul_f32 v10, s23, v27
	v_mul_f32_e32 v13, s22, v27
	global_store_b64 v[11:12], v[8:9], off
	global_load_b64 v[8:9], v[14:15], off offset:128
	v_fma_f32 v10, v26, s22, -v10
	v_fmac_f32_e32 v13, s23, v26
	s_wait_loadcnt 0x0
	v_mul_f32_e32 v27, s35, v9
	v_mul_f32_e32 v9, s34, v9
	s_delay_alu instid0(VALU_DEP_2) | instskip(NEXT) | instid1(VALU_DEP_1)
	v_fma_f32 v26, v8, s34, -v27
	v_dual_fmac_f32 v9, s35, v8 :: v_dual_add_f32 v8, v10, v26
	s_delay_alu instid0(VALU_DEP_1)
	v_add_f32_e32 v9, v13, v9
	v_mul_f32_e32 v10, s23, v25
	v_mul_f32_e32 v13, s22, v25
	global_store_b64 v[11:12], v[8:9], off offset:128
	global_load_b64 v[8:9], v[14:15], off offset:256
	v_fma_f32 v10, v24, s22, -v10
	v_fmac_f32_e32 v13, s23, v24
	s_wait_loadcnt 0x0
	v_mul_f32_e32 v25, s35, v9
	v_mul_f32_e32 v9, s34, v9
	s_delay_alu instid0(VALU_DEP_2) | instskip(NEXT) | instid1(VALU_DEP_2)
	v_fma_f32 v24, v8, s34, -v25
	v_fmac_f32_e32 v9, s35, v8
	s_delay_alu instid0(VALU_DEP_1)
	v_dual_add_f32 v8, v10, v24 :: v_dual_add_f32 v9, v13, v9
	v_mul_f32_e32 v10, s23, v23
	v_mul_f32_e32 v13, s22, v23
	global_store_b64 v[11:12], v[8:9], off offset:256
	global_load_b64 v[8:9], v[14:15], off offset:384
	v_fma_f32 v10, v22, s22, -v10
	s_wait_loadcnt 0x0
	v_dual_fmac_f32 v13, s23, v22 :: v_dual_mul_f32 v14, s35, v9
	v_mul_f32_e32 v9, s34, v9
	s_delay_alu instid0(VALU_DEP_2) | instskip(NEXT) | instid1(VALU_DEP_2)
	v_fma_f32 v14, v8, s34, -v14
	v_fmac_f32_e32 v9, s35, v8
	v_add_co_u32 v8, vcc_lo, 0x180, v11
	s_delay_alu instid0(VALU_DEP_3) | instskip(NEXT) | instid1(VALU_DEP_3)
	v_add_f32_e32 v14, v10, v14
	v_add_f32_e32 v10, v13, v9
	s_wait_alu 0xfffd
	v_add_co_ci_u32_e64 v9, null, 0, v12, vcc_lo
	global_store_b32 v[11:12], v14, off offset:384
	s_branch .LBB95_2
.LBB95_10:
	s_nop 0
	s_sendmsg sendmsg(MSG_DEALLOC_VGPRS)
	s_endpgm
	.section	.rodata,"a",@progbits
	.p2align	6, 0x0
	.amdhsa_kernel _ZN12_GLOBAL__N_127rocblas_gemm_batched_kernelI19rocblas_complex_numIfELi16ELi16ELi64ELi64ELi4ELi64ELi4ELi4ELi64ELc67ELc84EKS2_S3_S2_EEvlllT_PT11_llS6_llS4_PT12_llPT13_lli
		.amdhsa_group_segment_fixed_size 4096
		.amdhsa_private_segment_fixed_size 0
		.amdhsa_kernarg_size 140
		.amdhsa_user_sgpr_count 2
		.amdhsa_user_sgpr_dispatch_ptr 0
		.amdhsa_user_sgpr_queue_ptr 0
		.amdhsa_user_sgpr_kernarg_segment_ptr 1
		.amdhsa_user_sgpr_dispatch_id 0
		.amdhsa_user_sgpr_private_segment_size 0
		.amdhsa_wavefront_size32 1
		.amdhsa_uses_dynamic_stack 0
		.amdhsa_enable_private_segment 0
		.amdhsa_system_sgpr_workgroup_id_x 1
		.amdhsa_system_sgpr_workgroup_id_y 1
		.amdhsa_system_sgpr_workgroup_id_z 1
		.amdhsa_system_sgpr_workgroup_info 0
		.amdhsa_system_vgpr_workitem_id 1
		.amdhsa_next_free_vgpr 196
		.amdhsa_next_free_sgpr 39
		.amdhsa_reserve_vcc 1
		.amdhsa_float_round_mode_32 0
		.amdhsa_float_round_mode_16_64 0
		.amdhsa_float_denorm_mode_32 3
		.amdhsa_float_denorm_mode_16_64 3
		.amdhsa_fp16_overflow 0
		.amdhsa_workgroup_processor_mode 1
		.amdhsa_memory_ordered 1
		.amdhsa_forward_progress 1
		.amdhsa_inst_pref_size 44
		.amdhsa_round_robin_scheduling 0
		.amdhsa_exception_fp_ieee_invalid_op 0
		.amdhsa_exception_fp_denorm_src 0
		.amdhsa_exception_fp_ieee_div_zero 0
		.amdhsa_exception_fp_ieee_overflow 0
		.amdhsa_exception_fp_ieee_underflow 0
		.amdhsa_exception_fp_ieee_inexact 0
		.amdhsa_exception_int_div_zero 0
	.end_amdhsa_kernel
	.section	.text._ZN12_GLOBAL__N_127rocblas_gemm_batched_kernelI19rocblas_complex_numIfELi16ELi16ELi64ELi64ELi4ELi64ELi4ELi4ELi64ELc67ELc84EKS2_S3_S2_EEvlllT_PT11_llS6_llS4_PT12_llPT13_lli,"axG",@progbits,_ZN12_GLOBAL__N_127rocblas_gemm_batched_kernelI19rocblas_complex_numIfELi16ELi16ELi64ELi64ELi4ELi64ELi4ELi4ELi64ELc67ELc84EKS2_S3_S2_EEvlllT_PT11_llS6_llS4_PT12_llPT13_lli,comdat
.Lfunc_end95:
	.size	_ZN12_GLOBAL__N_127rocblas_gemm_batched_kernelI19rocblas_complex_numIfELi16ELi16ELi64ELi64ELi4ELi64ELi4ELi4ELi64ELc67ELc84EKS2_S3_S2_EEvlllT_PT11_llS6_llS4_PT12_llPT13_lli, .Lfunc_end95-_ZN12_GLOBAL__N_127rocblas_gemm_batched_kernelI19rocblas_complex_numIfELi16ELi16ELi64ELi64ELi4ELi64ELi4ELi4ELi64ELc67ELc84EKS2_S3_S2_EEvlllT_PT11_llS6_llS4_PT12_llPT13_lli
                                        ; -- End function
	.set _ZN12_GLOBAL__N_127rocblas_gemm_batched_kernelI19rocblas_complex_numIfELi16ELi16ELi64ELi64ELi4ELi64ELi4ELi4ELi64ELc67ELc84EKS2_S3_S2_EEvlllT_PT11_llS6_llS4_PT12_llPT13_lli.num_vgpr, 196
	.set _ZN12_GLOBAL__N_127rocblas_gemm_batched_kernelI19rocblas_complex_numIfELi16ELi16ELi64ELi64ELi4ELi64ELi4ELi4ELi64ELc67ELc84EKS2_S3_S2_EEvlllT_PT11_llS6_llS4_PT12_llPT13_lli.num_agpr, 0
	.set _ZN12_GLOBAL__N_127rocblas_gemm_batched_kernelI19rocblas_complex_numIfELi16ELi16ELi64ELi64ELi4ELi64ELi4ELi4ELi64ELc67ELc84EKS2_S3_S2_EEvlllT_PT11_llS6_llS4_PT12_llPT13_lli.numbered_sgpr, 39
	.set _ZN12_GLOBAL__N_127rocblas_gemm_batched_kernelI19rocblas_complex_numIfELi16ELi16ELi64ELi64ELi4ELi64ELi4ELi4ELi64ELc67ELc84EKS2_S3_S2_EEvlllT_PT11_llS6_llS4_PT12_llPT13_lli.num_named_barrier, 0
	.set _ZN12_GLOBAL__N_127rocblas_gemm_batched_kernelI19rocblas_complex_numIfELi16ELi16ELi64ELi64ELi4ELi64ELi4ELi4ELi64ELc67ELc84EKS2_S3_S2_EEvlllT_PT11_llS6_llS4_PT12_llPT13_lli.private_seg_size, 0
	.set _ZN12_GLOBAL__N_127rocblas_gemm_batched_kernelI19rocblas_complex_numIfELi16ELi16ELi64ELi64ELi4ELi64ELi4ELi4ELi64ELc67ELc84EKS2_S3_S2_EEvlllT_PT11_llS6_llS4_PT12_llPT13_lli.uses_vcc, 1
	.set _ZN12_GLOBAL__N_127rocblas_gemm_batched_kernelI19rocblas_complex_numIfELi16ELi16ELi64ELi64ELi4ELi64ELi4ELi4ELi64ELc67ELc84EKS2_S3_S2_EEvlllT_PT11_llS6_llS4_PT12_llPT13_lli.uses_flat_scratch, 0
	.set _ZN12_GLOBAL__N_127rocblas_gemm_batched_kernelI19rocblas_complex_numIfELi16ELi16ELi64ELi64ELi4ELi64ELi4ELi4ELi64ELc67ELc84EKS2_S3_S2_EEvlllT_PT11_llS6_llS4_PT12_llPT13_lli.has_dyn_sized_stack, 0
	.set _ZN12_GLOBAL__N_127rocblas_gemm_batched_kernelI19rocblas_complex_numIfELi16ELi16ELi64ELi64ELi4ELi64ELi4ELi4ELi64ELc67ELc84EKS2_S3_S2_EEvlllT_PT11_llS6_llS4_PT12_llPT13_lli.has_recursion, 0
	.set _ZN12_GLOBAL__N_127rocblas_gemm_batched_kernelI19rocblas_complex_numIfELi16ELi16ELi64ELi64ELi4ELi64ELi4ELi4ELi64ELc67ELc84EKS2_S3_S2_EEvlllT_PT11_llS6_llS4_PT12_llPT13_lli.has_indirect_call, 0
	.section	.AMDGPU.csdata,"",@progbits
; Kernel info:
; codeLenInByte = 5516
; TotalNumSgprs: 41
; NumVgprs: 196
; ScratchSize: 0
; MemoryBound: 0
; FloatMode: 240
; IeeeMode: 1
; LDSByteSize: 4096 bytes/workgroup (compile time only)
; SGPRBlocks: 0
; VGPRBlocks: 24
; NumSGPRsForWavesPerEU: 41
; NumVGPRsForWavesPerEU: 196
; Occupancy: 7
; WaveLimiterHint : 1
; COMPUTE_PGM_RSRC2:SCRATCH_EN: 0
; COMPUTE_PGM_RSRC2:USER_SGPR: 2
; COMPUTE_PGM_RSRC2:TRAP_HANDLER: 0
; COMPUTE_PGM_RSRC2:TGID_X_EN: 1
; COMPUTE_PGM_RSRC2:TGID_Y_EN: 1
; COMPUTE_PGM_RSRC2:TGID_Z_EN: 1
; COMPUTE_PGM_RSRC2:TIDIG_COMP_CNT: 1
	.section	.text._ZN12_GLOBAL__N_127rocblas_gemm_batched_kernelI19rocblas_complex_numIfELi16ELi16ELi64ELi64ELi4ELi64ELi4ELi4ELi64ELc78ELc67EKS2_S3_S2_EEvlllT_PT11_llS6_llS4_PT12_llPT13_lli,"axG",@progbits,_ZN12_GLOBAL__N_127rocblas_gemm_batched_kernelI19rocblas_complex_numIfELi16ELi16ELi64ELi64ELi4ELi64ELi4ELi4ELi64ELc78ELc67EKS2_S3_S2_EEvlllT_PT11_llS6_llS4_PT12_llPT13_lli,comdat
	.globl	_ZN12_GLOBAL__N_127rocblas_gemm_batched_kernelI19rocblas_complex_numIfELi16ELi16ELi64ELi64ELi4ELi64ELi4ELi4ELi64ELc78ELc67EKS2_S3_S2_EEvlllT_PT11_llS6_llS4_PT12_llPT13_lli ; -- Begin function _ZN12_GLOBAL__N_127rocblas_gemm_batched_kernelI19rocblas_complex_numIfELi16ELi16ELi64ELi64ELi4ELi64ELi4ELi4ELi64ELc78ELc67EKS2_S3_S2_EEvlllT_PT11_llS6_llS4_PT12_llPT13_lli
	.p2align	8
	.type	_ZN12_GLOBAL__N_127rocblas_gemm_batched_kernelI19rocblas_complex_numIfELi16ELi16ELi64ELi64ELi4ELi64ELi4ELi4ELi64ELc78ELc67EKS2_S3_S2_EEvlllT_PT11_llS6_llS4_PT12_llPT13_lli,@function
_ZN12_GLOBAL__N_127rocblas_gemm_batched_kernelI19rocblas_complex_numIfELi16ELi16ELi64ELi64ELi4ELi64ELi4ELi4ELi64ELc78ELc67EKS2_S3_S2_EEvlllT_PT11_llS6_llS4_PT12_llPT13_lli: ; @_ZN12_GLOBAL__N_127rocblas_gemm_batched_kernelI19rocblas_complex_numIfELi16ELi16ELi64ELi64ELi4ELi64ELi4ELi4ELi64ELc78ELc67EKS2_S3_S2_EEvlllT_PT11_llS6_llS4_PT12_llPT13_lli
; %bb.0:
	s_load_b32 s33, s[0:1], 0x88
	s_lshr_b32 s28, ttmp7, 16
	s_wait_kmcnt 0x0
	s_cmp_ge_i32 s28, s33
	s_cbranch_scc1 .LBB96_10
; %bb.1:
	s_clause 0x2
	s_load_b128 s[16:19], s[0:1], 0x10
	s_load_b256 s[8:15], s[0:1], 0x20
	s_load_b64 s[30:31], s[0:1], 0x50
	v_and_b32_e32 v12, 0x3ff, v0
	v_bfe_u32 v10, v0, 10, 10
	s_load_b128 s[24:27], s[0:1], 0x40
	s_mov_b32 s34, ttmp9
	s_lshl_b32 s2, ttmp7, 6
	s_ashr_i32 s35, ttmp9, 31
	v_lshl_add_u32 v2, v10, 4, v12
	s_and_b32 s38, s2, 0x3fffc0
	s_lshl_b64 s[36:37], s[34:35], 6
	v_add_nc_u32_e32 v14, s38, v10
	v_lshl_add_u32 v19, v10, 5, 0x800
	v_lshrrev_b32_e32 v3, 2, v2
	v_lshrrev_b32_e32 v11, 6, v2
	s_mov_b32 s29, 0
	s_wait_kmcnt 0x0
	s_delay_alu instid0(VALU_DEP_1) | instskip(SKIP_2) | instid1(VALU_DEP_1)
	v_mad_co_u64_u32 v[8:9], null, s10, v11, s[36:37]
	v_and_b32_e32 v6, 3, v0
	v_add_co_u32 v0, s2, v3, s38
	v_add_co_ci_u32_e64 v1, null, 0, 0, s2
	s_clause 0x1
	s_load_b128 s[20:23], s[0:1], 0x78
	s_load_b256 s[0:7], s[0:1], 0x58
	s_or_b32 s34, s30, s31
	v_mad_co_u64_u32 v[4:5], null, s24, v6, v[0:1]
	v_and_b32_e32 v13, 63, v2
	v_lshlrev_b32_e32 v0, 3, v6
	s_bitset0_b32 s34, 31
	s_delay_alu instid0(SALU_CYCLE_1) | instskip(NEXT) | instid1(VALU_DEP_1)
	s_cmp_eq_u32 s34, 0
	v_lshl_or_b32 v2, v3, 5, v0
	s_delay_alu instid0(VALU_DEP_4) | instskip(SKIP_1) | instid1(VALU_DEP_3)
	v_dual_mov_b32 v0, v5 :: v_dual_lshlrev_b32 v1, 3, v13
	v_add_co_u32 v8, vcc_lo, v8, v13
	v_add_nc_u32_e32 v17, 0x800, v2
	s_cselect_b32 s34, -1, 0
	s_delay_alu instid0(VALU_DEP_3) | instskip(SKIP_3) | instid1(VALU_DEP_3)
	v_mad_co_u64_u32 v[2:3], null, s25, v6, v[0:1]
	s_wait_kmcnt 0x0
	v_mad_co_u64_u32 v[6:7], null, v14, s2, 0
	v_mov_b32_e32 v3, v9
	v_dual_mov_b32 v5, v2 :: v_dual_lshlrev_b32 v18, 3, v12
	s_delay_alu instid0(VALU_DEP_3) | instskip(SKIP_2) | instid1(VALU_DEP_3)
	v_mov_b32_e32 v2, v7
	v_lshl_or_b32 v16, v11, 9, v1
	v_mad_co_u64_u32 v[0:1], null, v14, s20, 0
	v_mad_co_u64_u32 v[9:10], null, v14, s3, v[2:3]
	;; [unrolled: 1-line block ×3, first 2 shown]
	s_delay_alu instid0(VALU_DEP_3) | instskip(SKIP_1) | instid1(VALU_DEP_4)
	v_mad_co_u64_u32 v[1:2], null, v14, s21, v[1:2]
	v_add_co_u32 v2, s35, s36, v12
	v_mov_b32_e32 v7, v9
	s_delay_alu instid0(VALU_DEP_4) | instskip(SKIP_1) | instid1(VALU_DEP_3)
	v_add_co_ci_u32_e64 v9, null, 0, v10, vcc_lo
	v_add_co_ci_u32_e64 v3, null, s37, 0, s35
	v_lshlrev_b64_e32 v[6:7], 3, v[6:7]
	s_delay_alu instid0(VALU_DEP_3)
	v_lshlrev_b64_e32 v[8:9], 3, v[8:9]
	s_lshl_b64 s[20:21], s[20:21], 4
	s_lshl_b64 s[36:37], s[2:3], 4
	;; [unrolled: 1-line block ×4, first 2 shown]
	v_add_co_u32 v20, vcc_lo, s0, v6
	s_wait_alu 0xfffd
	v_add_co_ci_u32_e64 v21, null, s1, v7, vcc_lo
	v_lshlrev_b64_e32 v[6:7], 3, v[4:5]
	v_cmp_gt_i64_e64 s0, s[16:17], 0
	v_add_co_u32 v4, vcc_lo, s8, v8
	s_wait_alu 0xfffd
	v_add_co_ci_u32_e64 v5, null, s9, v9, vcc_lo
	s_delay_alu instid0(VALU_DEP_4)
	v_add_co_u32 v6, vcc_lo, s14, v6
	s_wait_alu 0xfffd
	v_add_co_ci_u32_e64 v7, null, s15, v7, vcc_lo
	s_wait_alu 0xf1ff
	v_cndmask_b32_e64 v8, 0, 1, s0
	v_add_co_u32 v6, vcc_lo, v6, 4
	s_wait_alu 0xfffd
	v_add_co_ci_u32_e64 v7, null, 0, v7, vcc_lo
	s_delay_alu instid0(VALU_DEP_3)
	v_cmp_ne_u32_e64 s0, 1, v8
	s_lshl_b64 s[8:9], s[10:11], 5
	s_lshl_b64 s[10:11], s[26:27], 3
	s_wait_alu 0xfffe
	s_lshl_b64 s[14:15], s[36:37], 3
	s_lshl_b64 s[20:21], s[20:21], 3
	s_branch .LBB96_3
.LBB96_2:                               ;   in Loop: Header=BB96_3 Depth=1
	s_add_co_i32 s28, s28, 0x10000
	global_store_b32 v[8:9], v10, off offset:4
	s_wait_alu 0xfffe
	s_cmp_lt_i32 s28, s33
	s_cbranch_scc0 .LBB96_10
.LBB96_3:                               ; =>This Loop Header: Depth=1
                                        ;     Child Loop BB96_5 Depth 2
	v_dual_mov_b32 v52, 0 :: v_dual_mov_b32 v53, 0
	v_dual_mov_b32 v50, 0 :: v_dual_mov_b32 v51, 0
	v_dual_mov_b32 v48, 0 :: v_dual_mov_b32 v49, 0
	v_dual_mov_b32 v46, 0 :: v_dual_mov_b32 v47, 0
	v_dual_mov_b32 v44, 0 :: v_dual_mov_b32 v45, 0
	v_dual_mov_b32 v42, 0 :: v_dual_mov_b32 v43, 0
	v_dual_mov_b32 v40, 0 :: v_dual_mov_b32 v41, 0
	v_dual_mov_b32 v38, 0 :: v_dual_mov_b32 v39, 0
	v_dual_mov_b32 v36, 0 :: v_dual_mov_b32 v37, 0
	v_dual_mov_b32 v34, 0 :: v_dual_mov_b32 v35, 0
	v_dual_mov_b32 v32, 0 :: v_dual_mov_b32 v33, 0
	v_dual_mov_b32 v30, 0 :: v_dual_mov_b32 v31, 0
	v_dual_mov_b32 v28, 0 :: v_dual_mov_b32 v29, 0
	v_dual_mov_b32 v26, 0 :: v_dual_mov_b32 v27, 0
	v_dual_mov_b32 v24, 0 :: v_dual_mov_b32 v25, 0
	v_dual_mov_b32 v22, 0 :: v_dual_mov_b32 v23, 0
	s_and_b32 vcc_lo, exec_lo, s0
	s_wait_alu 0xfffe
	s_cbranch_vccnz .LBB96_6
; %bb.4:                                ;   in Loop: Header=BB96_3 Depth=1
	v_mad_co_u64_u32 v[8:9], null, s2, s28, v[4:5]
	v_mad_co_u64_u32 v[10:11], null, s10, s28, v[6:7]
	v_dual_mov_b32 v23, 0 :: v_dual_mov_b32 v22, 0
	v_dual_mov_b32 v25, 0 :: v_dual_mov_b32 v24, 0
	;; [unrolled: 1-line block ×3, first 2 shown]
	s_delay_alu instid0(VALU_DEP_4) | instskip(SKIP_3) | instid1(VALU_DEP_4)
	v_mad_co_u64_u32 v[12:13], null, s3, s28, v[9:10]
	v_dual_mov_b32 v29, 0 :: v_dual_mov_b32 v28, 0
	v_dual_mov_b32 v31, 0 :: v_dual_mov_b32 v30, 0
	;; [unrolled: 1-line block ×3, first 2 shown]
	v_mad_co_u64_u32 v[13:14], null, s11, s28, v[11:12]
	v_dual_mov_b32 v9, v12 :: v_dual_mov_b32 v32, 0
	v_dual_mov_b32 v35, 0 :: v_dual_mov_b32 v38, 0
	;; [unrolled: 1-line block ×3, first 2 shown]
	s_delay_alu instid0(VALU_DEP_4)
	v_dual_mov_b32 v40, 0 :: v_dual_mov_b32 v11, v13
	v_dual_mov_b32 v39, 0 :: v_dual_mov_b32 v42, 0
	;; [unrolled: 1-line block ×7, first 2 shown]
	v_mov_b32_e32 v51, 0
	v_mov_b32_e32 v53, 0
	s_mov_b64 s[24:25], 0
.LBB96_5:                               ;   Parent Loop BB96_3 Depth=1
                                        ; =>  This Inner Loop Header: Depth=2
	global_load_b64 v[12:13], v[10:11], off offset:-4
	global_load_b64 v[14:15], v[8:9], off
	s_wait_alu 0xfffe
	s_add_nc_u64 s[24:25], s[24:25], 4
	v_add_co_u32 v8, vcc_lo, v8, s8
	s_wait_alu 0xfffe
	v_cmp_lt_i64_e64 s1, s[24:25], s[16:17]
	s_wait_alu 0xfffd
	v_add_co_ci_u32_e64 v9, null, s9, v9, vcc_lo
	v_add_co_u32 v10, vcc_lo, v10, s12
	s_wait_alu 0xfffd
	v_add_co_ci_u32_e64 v11, null, s13, v11, vcc_lo
	s_and_b32 vcc_lo, exec_lo, s1
	s_wait_loadcnt 0x1
	v_xor_b32_e32 v13, 0x80000000, v13
	s_wait_loadcnt 0x0
	ds_store_b64 v16, v[14:15]
	ds_store_b64 v17, v[12:13]
	s_wait_dscnt 0x0
	s_barrier_signal -1
	s_barrier_wait -1
	global_inv scope:SCOPE_SE
	ds_load_2addr_b64 v[12:15], v18 offset1:16
	ds_load_b128 v[54:57], v19
	ds_load_b128 v[58:61], v19 offset:16
	ds_load_b128 v[62:65], v19 offset:512
	;; [unrolled: 1-line block ×7, first 2 shown]
	ds_load_2addr_b64 v[86:89], v18 offset0:32 offset1:48
	ds_load_2addr_b64 v[90:93], v18 offset0:64 offset1:80
	;; [unrolled: 1-line block ×7, first 2 shown]
	s_wait_loadcnt_dscnt 0x0
	s_barrier_signal -1
	s_barrier_wait -1
	global_inv scope:SCOPE_SE
	v_dual_mul_f32 v114, v55, v13 :: v_dual_mul_f32 v117, v54, v15
	v_dual_mul_f32 v115, v54, v13 :: v_dual_mul_f32 v116, v55, v15
	;; [unrolled: 1-line block ×6, first 2 shown]
	v_mul_f32_e32 v126, v79, v13
	v_dual_mul_f32 v13, v78, v13 :: v_dual_mul_f32 v128, v55, v87
	v_dual_mul_f32 v127, v79, v15 :: v_dual_mul_f32 v144, v57, v93
	;; [unrolled: 1-line block ×9, first 2 shown]
	v_mul_f32_e32 v15, v78, v15
	v_dual_mul_f32 v87, v78, v87 :: v_dual_mul_f32 v148, v57, v97
	v_dual_mul_f32 v89, v78, v89 :: v_dual_mul_f32 v146, v57, v95
	;; [unrolled: 1-line block ×19, first 2 shown]
	v_mul_f32_e32 v181, v74, v101
	v_fma_f32 v114, v54, v12, -v114
	v_fmac_f32_e32 v115, v55, v12
	v_fma_f32 v116, v54, v14, -v116
	v_fmac_f32_e32 v117, v55, v14
	;; [unrolled: 2-line block ×7, first 2 shown]
	v_fma_f32 v12, v78, v14, -v127
	v_fma_f32 v128, v54, v86, -v128
	v_dual_fmac_f32 v129, v55, v86 :: v_dual_mul_f32 v194, v77, v113
	v_fma_f32 v54, v54, v88, -v130
	v_fmac_f32_e32 v131, v55, v88
	v_fma_f32 v55, v62, v86, -v132
	v_fmac_f32_e32 v133, v63, v86
	;; [unrolled: 2-line block ×3, first 2 shown]
	v_fmac_f32_e32 v139, v71, v88
	v_fma_f32 v71, v78, v86, -v140
	v_fma_f32 v78, v78, v88, -v141
	;; [unrolled: 1-line block ×3, first 2 shown]
	v_dual_mul_f32 v144, v60, v107 :: v_dual_fmac_f32 v135, v63, v88
	v_fma_f32 v63, v70, v86, -v136
	v_fma_f32 v70, v70, v88, -v138
	v_dual_mul_f32 v97, v80, v97 :: v_dual_mul_f32 v182, v83, v99
	v_dual_mul_f32 v171, v58, v99 :: v_dual_mul_f32 v188, v67, v105
	v_dual_mul_f32 v173, v58, v101 :: v_dual_mul_f32 v184, v59, v103
	v_mul_f32_e32 v175, v66, v99
	v_mul_f32_e32 v177, v66, v101
	v_dual_mul_f32 v179, v74, v99 :: v_dual_mul_f32 v138, v83, v105
	v_mul_f32_e32 v99, v82, v99
	v_mul_f32_e32 v183, v83, v101
	;; [unrolled: 1-line block ×5, first 2 shown]
	v_dual_fmac_f32 v15, v79, v14 :: v_dual_mul_f32 v190, v77, v107
	v_mul_f32_e32 v14, v67, v103
	v_dual_mul_f32 v127, v66, v103 :: v_dual_mul_f32 v192, v77, v109
	v_mul_f32_e32 v189, v66, v105
	v_fmac_f32_e32 v87, v79, v86
	v_dual_fmac_f32 v89, v79, v88 :: v_dual_mul_f32 v86, v74, v103
	v_mul_f32_e32 v88, v75, v105
	v_mul_f32_e32 v130, v74, v105
	v_fma_f32 v132, v56, v90, -v142
	v_fmac_f32_e32 v143, v57, v90
	v_dual_fmac_f32 v145, v57, v92 :: v_dual_fmac_f32 v86, v75, v102
	v_fma_f32 v136, v56, v94, -v146
	v_dual_fmac_f32 v147, v57, v94 :: v_dual_add_f32 v50, v50, v116
	v_fma_f32 v56, v56, v96, -v148
	v_dual_fmac_f32 v149, v57, v96 :: v_dual_add_f32 v52, v52, v114
	v_dual_mul_f32 v105, v82, v105 :: v_dual_add_f32 v48, v48, v128
	v_fma_f32 v140, v64, v90, -v150
	v_dual_fmac_f32 v151, v65, v90 :: v_dual_add_f32 v42, v42, v120
	v_fma_f32 v141, v64, v92, -v152
	v_dual_fmac_f32 v153, v65, v92 :: v_dual_add_f32 v46, v46, v54
	;; [unrolled: 2-line block ×4, first 2 shown]
	v_dual_mul_f32 v65, v61, v107 :: v_dual_add_f32 v38, v38, v62
	v_mul_f32_e32 v146, v61, v109
	v_mul_f32_e32 v148, v60, v109
	v_fma_f32 v150, v72, v90, -v158
	v_dual_fmac_f32 v159, v73, v90 :: v_dual_add_f32 v34, v34, v124
	v_fma_f32 v152, v72, v92, -v160
	v_dual_fmac_f32 v161, v73, v92 :: v_dual_add_f32 v36, v36, v122
	;; [unrolled: 2-line block ×4, first 2 shown]
	v_dual_mul_f32 v73, v61, v111 :: v_dual_add_f32 v28, v28, v126
	v_mul_f32_e32 v156, v60, v111
	v_mul_f32_e32 v160, v60, v113
	v_fma_f32 v162, v80, v90, -v166
	v_dual_fmac_f32 v91, v81, v90 :: v_dual_add_f32 v12, v26, v12
	v_fma_f32 v90, v80, v92, -v167
	v_dual_fmac_f32 v93, v81, v92 :: v_dual_add_f32 v24, v24, v71
	v_mul_f32_e32 v164, v68, v107
	v_mul_f32_e32 v79, v75, v103
	v_dual_mul_f32 v167, v68, v109 :: v_dual_add_f32 v22, v22, v78
	v_fma_f32 v168, v80, v94, -v168
	v_dual_fmac_f32 v95, v81, v94 :: v_dual_add_f32 v26, v52, v132
	v_fma_f32 v80, v80, v96, -v169
	v_mul_f32_e32 v94, v68, v111
	v_mul_f32_e32 v57, v83, v103
	v_dual_mul_f32 v103, v82, v103 :: v_dual_mul_f32 v158, v61, v113
	v_mul_f32_e32 v92, v69, v107
	v_mul_f32_e32 v166, v69, v109
	v_dual_mul_f32 v169, v68, v113 :: v_dual_add_f32 v46, v46, v56
	v_dual_mul_f32 v191, v76, v107 :: v_dual_add_f32 v42, v42, v141
	;; [unrolled: 1-line block ×3, first 2 shown]
	v_fma_f32 v170, v58, v98, -v170
	v_dual_fmac_f32 v171, v59, v98 :: v_dual_add_f32 v44, v44, v140
	v_fma_f32 v172, v58, v100, -v172
	v_dual_fmac_f32 v173, v59, v100 :: v_dual_add_f32 v40, v40, v142
	;; [unrolled: 2-line block ×8, first 2 shown]
	v_mul_f32_e32 v100, v77, v111
	v_dual_mul_f32 v183, v76, v111 :: v_dual_add_f32 v22, v22, v80
	v_dual_mul_f32 v195, v76, v113 :: v_dual_add_f32 v26, v26, v170
	v_fma_f32 v184, v58, v102, -v184
	v_fma_f32 v58, v58, v104, -v186
	v_dual_fmac_f32 v187, v59, v104 :: v_dual_add_f32 v12, v12, v90
	v_fma_f32 v14, v66, v102, -v14
	v_dual_fmac_f32 v127, v67, v102 :: v_dual_add_f32 v42, v42, v176
	s_delay_alu instid0(VALU_DEP_4)
	v_dual_fmac_f32 v189, v67, v104 :: v_dual_add_f32 v46, v46, v58
	v_fma_f32 v67, v74, v104, -v88
	v_fmac_f32_e32 v130, v75, v104
	v_dual_fmac_f32 v105, v83, v104 :: v_dual_add_f32 v44, v44, v174
	v_dual_mul_f32 v75, v85, v107 :: v_dual_add_f32 v14, v40, v14
	v_fmac_f32_e32 v144, v61, v106
	v_fma_f32 v88, v60, v108, -v146
	v_fmac_f32_e32 v148, v61, v108
	v_fmac_f32_e32 v156, v61, v110
	;; [unrolled: 1-line block ×3, first 2 shown]
	v_dual_mul_f32 v61, v85, v111 :: v_dual_add_f32 v36, v36, v178
	v_fmac_f32_e32 v164, v69, v106
	v_fmac_f32_e32 v94, v69, v110
	v_fma_f32 v57, v82, v102, -v57
	v_add_f32_e32 v51, v51, v117
	v_fmac_f32_e32 v97, v81, v96
	v_dual_mul_f32 v81, v69, v111 :: v_dual_add_f32 v48, v48, v136
	v_dual_mul_f32 v96, v69, v113 :: v_dual_fmac_f32 v185, v59, v102
	v_fma_f32 v59, v66, v104, -v188
	v_fma_f32 v66, v74, v102, -v79
	;; [unrolled: 1-line block ×3, first 2 shown]
	v_mul_f32_e32 v82, v85, v109
	v_dual_mul_f32 v104, v85, v113 :: v_dual_fmac_f32 v103, v83, v102
	v_add_f32_e32 v38, v38, v59
	v_dual_mul_f32 v79, v84, v107 :: v_dual_add_f32 v34, v34, v180
	v_dual_mul_f32 v83, v84, v109 :: v_dual_add_f32 v30, v30, v67
	v_fma_f32 v65, v60, v106, -v65
	v_fma_f32 v73, v60, v110, -v73
	v_mul_f32_e32 v102, v84, v111
	v_dual_mul_f32 v107, v84, v113 :: v_dual_add_f32 v22, v22, v74
	v_fma_f32 v92, v68, v106, -v92
	v_fma_f32 v109, v68, v108, -v166
	v_dual_fmac_f32 v167, v69, v108 :: v_dual_add_f32 v32, v32, v66
	v_fma_f32 v81, v68, v110, -v81
	v_fma_f32 v68, v68, v112, -v96
	v_dual_fmac_f32 v169, v69, v112 :: v_dual_add_f32 v28, v28, v182
	v_fma_f32 v69, v76, v106, -v190
	v_dual_fmac_f32 v191, v77, v106 :: v_dual_add_f32 v24, v24, v57
	;; [unrolled: 2-line block ×4, first 2 shown]
	v_fma_f32 v76, v76, v112, -v194
	v_fma_f32 v75, v84, v106, -v75
	;; [unrolled: 1-line block ×3, first 2 shown]
	v_dual_add_f32 v53, v53, v115 :: v_dual_add_f32 v44, v44, v92
	v_dual_add_f32 v49, v49, v129 :: v_dual_add_f32 v38, v38, v68
	;; [unrolled: 1-line block ×8, first 2 shown]
	v_add_f32_e32 v31, v31, v139
	v_add_f32_e32 v13, v29, v13
	;; [unrolled: 1-line block ×4, first 2 shown]
	v_dual_add_f32 v23, v23, v89 :: v_dual_add_f32 v48, v48, v184
	v_fmac_f32_e32 v195, v77, v112
	v_fma_f32 v77, v84, v108, -v82
	v_fma_f32 v82, v84, v112, -v104
	v_add_f32_e32 v39, v39, v135
	v_add_f32_e32 v33, v33, v137
	;; [unrolled: 1-line block ×3, first 2 shown]
	v_dual_add_f32 v29, v50, v134 :: v_dual_add_f32 v50, v51, v145
	v_add_f32_e32 v49, v49, v147
	v_add_f32_e32 v47, v47, v149
	;; [unrolled: 1-line block ×13, first 2 shown]
	v_dual_add_f32 v39, v39, v157 :: v_dual_add_f32 v22, v22, v82
	v_add_f32_e32 v33, v33, v163
	v_fma_f32 v60, v60, v112, -v158
	v_fmac_f32_e32 v79, v85, v106
	v_dual_fmac_f32 v83, v85, v108 :: v_dual_add_f32 v42, v42, v109
	v_fmac_f32_e32 v102, v85, v110
	v_dual_fmac_f32 v107, v85, v112 :: v_dual_add_f32 v40, v14, v81
	v_add_f32_e32 v27, v27, v171
	v_add_f32_e32 v29, v29, v172
	;; [unrolled: 1-line block ×19, first 2 shown]
	v_dual_add_f32 v51, v51, v148 :: v_dual_add_f32 v48, v48, v73
	v_add_f32_e32 v49, v49, v156
	v_add_f32_e32 v46, v46, v60
	;; [unrolled: 1-line block ×15, first 2 shown]
	s_wait_alu 0xfffe
	s_cbranch_vccnz .LBB96_5
.LBB96_6:                               ;   in Loop: Header=BB96_3 Depth=1
	s_mul_u64 s[24:25], s[22:23], s[28:29]
	s_and_not1_b32 vcc_lo, exec_lo, s34
	s_wait_alu 0xfffe
	s_lshl_b64 s[24:25], s[24:25], 3
	s_mov_b32 s1, -1
	s_wait_alu 0xfffe
	s_add_nc_u64 s[24:25], s[6:7], s[24:25]
                                        ; implicit-def: $vgpr10
                                        ; implicit-def: $vgpr8_vgpr9
	s_cbranch_vccz .LBB96_8
; %bb.7:                                ;   in Loop: Header=BB96_3 Depth=1
	s_and_not1_b32 vcc_lo, exec_lo, s1
	s_wait_alu 0xfffe
	s_cbranch_vccnz .LBB96_2
	s_branch .LBB96_9
.LBB96_8:                               ;   in Loop: Header=BB96_3 Depth=1
	v_lshlrev_b64_e32 v[8:9], 3, v[0:1]
	v_lshlrev_b64_e32 v[11:12], 3, v[2:3]
	v_dual_mul_f32 v10, s18, v53 :: v_dual_mul_f32 v55, s18, v51
	v_dual_mul_f32 v13, s19, v53 :: v_dual_mul_f32 v54, s19, v51
	v_mul_f32_e32 v57, s18, v49
	s_wait_alu 0xfffe
	v_add_co_u32 v8, vcc_lo, s24, v8
	s_wait_alu 0xfffd
	v_add_co_ci_u32_e64 v15, null, s25, v9, vcc_lo
	v_dual_mul_f32 v56, s19, v49 :: v_dual_mul_f32 v59, s18, v47
	v_fmac_f32_e32 v10, s19, v52
	v_fma_f32 v9, v52, s18, -v13
	v_add_co_u32 v13, vcc_lo, v8, v11
	v_dual_mul_f32 v58, s19, v47 :: v_dual_fmac_f32 v55, s19, v50
	s_wait_alu 0xfffd
	v_add_co_ci_u32_e64 v14, null, v15, v12, vcc_lo
	v_fma_f32 v54, v50, s18, -v54
	v_fma_f32 v56, v48, s18, -v56
	v_fmac_f32_e32 v57, s19, v48
	v_fma_f32 v58, v46, s18, -v58
	v_fmac_f32_e32 v59, s19, v46
	s_clause 0x3
	global_store_b64 v[13:14], v[9:10], off
	global_store_b64 v[13:14], v[54:55], off offset:128
	global_store_b64 v[13:14], v[56:57], off offset:256
	;; [unrolled: 1-line block ×3, first 2 shown]
	v_mul_f32_e32 v10, s19, v45
	v_dual_mul_f32 v9, s18, v45 :: v_dual_mul_f32 v58, s19, v39
	v_add_co_u32 v60, vcc_lo, v8, s20
	s_delay_alu instid0(VALU_DEP_3) | instskip(NEXT) | instid1(VALU_DEP_3)
	v_fma_f32 v8, v44, s18, -v10
	v_dual_mul_f32 v10, s19, v43 :: v_dual_fmac_f32 v9, s19, v44
	s_wait_alu 0xfffd
	v_add_co_ci_u32_e64 v15, null, s21, v15, vcc_lo
	v_mul_f32_e32 v55, s18, v43
	s_delay_alu instid0(VALU_DEP_3) | instskip(SKIP_4) | instid1(VALU_DEP_3)
	v_fma_f32 v54, v42, s18, -v10
	v_mul_f32_e32 v10, s19, v41
	v_add_co_u32 v13, vcc_lo, v60, v11
	s_wait_alu 0xfffd
	v_add_co_ci_u32_e64 v14, null, v15, v12, vcc_lo
	v_fma_f32 v56, v40, s18, -v10
	v_mul_f32_e32 v10, s19, v37
	v_mul_f32_e32 v57, s18, v41
	v_add_co_u32 v70, vcc_lo, v60, s20
	v_mul_f32_e32 v59, s18, v39
	s_delay_alu instid0(VALU_DEP_4) | instskip(SKIP_4) | instid1(VALU_DEP_3)
	v_fma_f32 v60, v36, s18, -v10
	v_dual_mul_f32 v10, s19, v35 :: v_dual_mul_f32 v61, s18, v37
	s_wait_alu 0xfffd
	v_add_co_ci_u32_e64 v15, null, s21, v15, vcc_lo
	v_dual_fmac_f32 v55, s19, v42 :: v_dual_mul_f32 v68, s19, v31
	v_fma_f32 v64, v34, s18, -v10
	v_dual_mul_f32 v65, s18, v35 :: v_dual_mul_f32 v10, s19, v33
	v_mul_f32_e32 v67, s18, v33
	v_mul_f32_e32 v69, s18, v31
	v_fmac_f32_e32 v57, s19, v40
	v_add_co_u32 v62, vcc_lo, v70, v11
	v_fma_f32 v58, v38, s18, -v58
	v_fmac_f32_e32 v59, s19, v38
	v_fmac_f32_e32 v61, s19, v36
	s_wait_alu 0xfffd
	v_add_co_ci_u32_e64 v63, null, v15, v12, vcc_lo
	v_fmac_f32_e32 v65, s19, v34
	v_fma_f32 v66, v32, s18, -v10
	v_fmac_f32_e32 v67, s19, v32
	v_fma_f32 v68, v30, s18, -v68
	v_fmac_f32_e32 v69, s19, v30
	s_clause 0x7
	global_store_b64 v[13:14], v[8:9], off
	global_store_b64 v[13:14], v[54:55], off offset:128
	global_store_b64 v[13:14], v[56:57], off offset:256
	;; [unrolled: 1-line block ×3, first 2 shown]
	global_store_b64 v[62:63], v[60:61], off
	global_store_b64 v[62:63], v[64:65], off offset:128
	global_store_b64 v[62:63], v[66:67], off offset:256
	;; [unrolled: 1-line block ×3, first 2 shown]
	v_mul_f32_e32 v8, s19, v29
	v_add_co_u32 v9, vcc_lo, v70, s20
	s_wait_alu 0xfffd
	v_add_co_ci_u32_e64 v10, null, s21, v15, vcc_lo
	s_delay_alu instid0(VALU_DEP_3)
	v_fma_f32 v13, v28, s18, -v8
	v_mul_f32_e32 v8, s19, v27
	v_add_co_u32 v11, vcc_lo, v9, v11
	v_mul_f32_e32 v14, s18, v29
	s_wait_alu 0xfffd
	v_add_co_ci_u32_e64 v12, null, v10, v12, vcc_lo
	v_fma_f32 v54, v26, s18, -v8
	v_dual_mul_f32 v8, s19, v25 :: v_dual_mul_f32 v9, s19, v23
	v_mul_f32_e32 v10, s18, v23
	v_mul_f32_e32 v55, s18, v27
	;; [unrolled: 1-line block ×3, first 2 shown]
	s_delay_alu instid0(VALU_DEP_4)
	v_fma_f32 v56, v24, s18, -v8
	v_add_co_u32 v8, vcc_lo, 0x180, v11
	v_fmac_f32_e32 v14, s19, v28
	v_fma_f32 v15, v22, s18, -v9
	v_fmac_f32_e32 v10, s19, v22
	s_wait_alu 0xfffd
	v_add_co_ci_u32_e64 v9, null, 0, v12, vcc_lo
	v_fmac_f32_e32 v55, s19, v26
	v_fmac_f32_e32 v57, s19, v24
	s_clause 0x3
	global_store_b64 v[11:12], v[13:14], off
	global_store_b64 v[11:12], v[54:55], off offset:128
	global_store_b64 v[11:12], v[56:57], off offset:256
	global_store_b32 v[11:12], v15, off offset:384
	s_cbranch_execnz .LBB96_2
.LBB96_9:                               ;   in Loop: Header=BB96_3 Depth=1
	s_mul_u64 s[26:27], s[4:5], s[28:29]
	v_lshlrev_b64_e32 v[8:9], 3, v[2:3]
	s_wait_alu 0xfffe
	s_lshl_b64 s[26:27], s[26:27], 3
	v_mul_f32_e32 v56, s19, v53
	s_wait_alu 0xfffe
	v_add_co_u32 v54, vcc_lo, v20, s26
	s_wait_alu 0xfffd
	v_add_co_ci_u32_e64 v55, null, s27, v21, vcc_lo
	v_mul_f32_e32 v53, s18, v53
	s_delay_alu instid0(VALU_DEP_3) | instskip(SKIP_1) | instid1(VALU_DEP_3)
	v_add_co_u32 v10, vcc_lo, v54, v8
	s_wait_alu 0xfffd
	v_add_co_ci_u32_e64 v11, null, v55, v9, vcc_lo
	v_lshlrev_b64_e32 v[14:15], 3, v[0:1]
	v_fmac_f32_e32 v53, s19, v52
	v_fma_f32 v56, v52, s18, -v56
	global_load_b64 v[12:13], v[10:11], off
	v_add_co_u32 v58, vcc_lo, s24, v14
	s_wait_alu 0xfffd
	v_add_co_ci_u32_e64 v59, null, s25, v15, vcc_lo
	s_wait_loadcnt 0x0
	v_mul_f32_e32 v57, s30, v13
	s_delay_alu instid0(VALU_DEP_1) | instskip(NEXT) | instid1(VALU_DEP_1)
	v_dual_mul_f32 v52, s31, v13 :: v_dual_fmac_f32 v57, s31, v12
	v_fma_f32 v14, v12, s30, -v52
	v_mul_f32_e32 v52, s19, v51
	v_add_co_u32 v12, vcc_lo, v58, v8
	s_wait_alu 0xfffd
	v_add_co_ci_u32_e64 v13, null, v59, v9, vcc_lo
	v_add_f32_e32 v14, v56, v14
	v_fma_f32 v52, v50, s18, -v52
	v_add_f32_e32 v15, v53, v57
	v_mul_f32_e32 v51, s18, v51
	global_store_b64 v[12:13], v[14:15], off
	global_load_b64 v[14:15], v[10:11], off offset:128
	v_fmac_f32_e32 v51, s19, v50
	s_wait_loadcnt 0x0
	v_mul_f32_e32 v53, s31, v15
	v_mul_f32_e32 v15, s30, v15
	s_delay_alu instid0(VALU_DEP_2) | instskip(NEXT) | instid1(VALU_DEP_2)
	v_fma_f32 v50, v14, s30, -v53
	v_fmac_f32_e32 v15, s31, v14
	s_delay_alu instid0(VALU_DEP_1)
	v_dual_add_f32 v14, v52, v50 :: v_dual_add_f32 v15, v51, v15
	v_mul_f32_e32 v50, s19, v49
	v_mul_f32_e32 v49, s18, v49
	global_store_b64 v[12:13], v[14:15], off offset:128
	global_load_b64 v[14:15], v[10:11], off offset:256
	v_fma_f32 v50, v48, s18, -v50
	v_fmac_f32_e32 v49, s19, v48
	s_wait_loadcnt 0x0
	v_mul_f32_e32 v51, s31, v15
	v_mul_f32_e32 v15, s30, v15
	s_delay_alu instid0(VALU_DEP_2) | instskip(NEXT) | instid1(VALU_DEP_1)
	v_fma_f32 v48, v14, s30, -v51
	v_dual_fmac_f32 v15, s31, v14 :: v_dual_add_f32 v14, v50, v48
	s_delay_alu instid0(VALU_DEP_1) | instskip(SKIP_4) | instid1(VALU_DEP_2)
	v_add_f32_e32 v15, v49, v15
	global_store_b64 v[12:13], v[14:15], off offset:256
	global_load_b64 v[10:11], v[10:11], off offset:384
	v_mul_f32_e32 v14, s19, v47
	v_mul_f32_e32 v15, s18, v47
	v_fma_f32 v14, v46, s18, -v14
	s_delay_alu instid0(VALU_DEP_2) | instskip(SKIP_3) | instid1(VALU_DEP_2)
	v_fmac_f32_e32 v15, s19, v46
	s_wait_loadcnt 0x0
	v_mul_f32_e32 v47, s31, v11
	v_mul_f32_e32 v11, s30, v11
	v_fma_f32 v46, v10, s30, -v47
	v_add_co_u32 v47, vcc_lo, v54, s14
	s_delay_alu instid0(VALU_DEP_3)
	v_fmac_f32_e32 v11, s31, v10
	s_wait_alu 0xfffd
	v_add_co_ci_u32_e64 v48, null, s15, v55, vcc_lo
	v_add_f32_e32 v10, v14, v46
	v_add_co_u32 v14, vcc_lo, v47, v8
	v_add_f32_e32 v11, v15, v11
	s_wait_alu 0xfffd
	v_add_co_ci_u32_e64 v15, null, v48, v9, vcc_lo
	v_add_co_u32 v46, vcc_lo, v58, s20
	global_store_b64 v[12:13], v[10:11], off offset:384
	global_load_b64 v[10:11], v[14:15], off
	v_mul_f32_e32 v12, s19, v45
	v_mul_f32_e32 v13, s18, v45
	s_wait_alu 0xfffd
	v_add_co_ci_u32_e64 v49, null, s21, v59, vcc_lo
	s_delay_alu instid0(VALU_DEP_3) | instskip(SKIP_3) | instid1(VALU_DEP_2)
	v_fma_f32 v12, v44, s18, -v12
	s_wait_loadcnt 0x0
	v_dual_fmac_f32 v13, s19, v44 :: v_dual_mul_f32 v44, s31, v11
	v_mul_f32_e32 v45, s30, v11
	v_fma_f32 v44, v10, s30, -v44
	s_delay_alu instid0(VALU_DEP_2) | instskip(SKIP_3) | instid1(VALU_DEP_3)
	v_fmac_f32_e32 v45, s31, v10
	v_add_co_u32 v10, vcc_lo, v46, v8
	s_wait_alu 0xfffd
	v_add_co_ci_u32_e64 v11, null, v49, v9, vcc_lo
	v_dual_add_f32 v12, v12, v44 :: v_dual_add_f32 v13, v13, v45
	v_mul_f32_e32 v44, s19, v43
	v_mul_f32_e32 v43, s18, v43
	global_store_b64 v[10:11], v[12:13], off
	global_load_b64 v[12:13], v[14:15], off offset:128
	v_fma_f32 v44, v42, s18, -v44
	v_fmac_f32_e32 v43, s19, v42
	s_wait_loadcnt 0x0
	v_mul_f32_e32 v45, s31, v13
	v_mul_f32_e32 v13, s30, v13
	s_delay_alu instid0(VALU_DEP_2) | instskip(NEXT) | instid1(VALU_DEP_1)
	v_fma_f32 v42, v12, s30, -v45
	v_dual_fmac_f32 v13, s31, v12 :: v_dual_add_f32 v12, v44, v42
	s_delay_alu instid0(VALU_DEP_1)
	v_add_f32_e32 v13, v43, v13
	v_mul_f32_e32 v42, s19, v41
	v_mul_f32_e32 v41, s18, v41
	global_store_b64 v[10:11], v[12:13], off offset:128
	global_load_b64 v[12:13], v[14:15], off offset:256
	v_fma_f32 v42, v40, s18, -v42
	v_fmac_f32_e32 v41, s19, v40
	s_wait_loadcnt 0x0
	v_mul_f32_e32 v43, s31, v13
	v_mul_f32_e32 v13, s30, v13
	s_delay_alu instid0(VALU_DEP_2) | instskip(NEXT) | instid1(VALU_DEP_2)
	v_fma_f32 v40, v12, s30, -v43
	v_fmac_f32_e32 v13, s31, v12
	s_delay_alu instid0(VALU_DEP_1) | instskip(SKIP_4) | instid1(VALU_DEP_2)
	v_dual_add_f32 v12, v42, v40 :: v_dual_add_f32 v13, v41, v13
	global_store_b64 v[10:11], v[12:13], off offset:256
	global_load_b64 v[12:13], v[14:15], off offset:384
	v_mul_f32_e32 v14, s19, v39
	v_mul_f32_e32 v15, s18, v39
	v_fma_f32 v14, v38, s18, -v14
	s_delay_alu instid0(VALU_DEP_2) | instskip(SKIP_3) | instid1(VALU_DEP_2)
	v_fmac_f32_e32 v15, s19, v38
	s_wait_loadcnt 0x0
	v_mul_f32_e32 v39, s31, v13
	v_mul_f32_e32 v13, s30, v13
	v_fma_f32 v38, v12, s30, -v39
	v_add_co_u32 v39, vcc_lo, v47, s14
	s_delay_alu instid0(VALU_DEP_3)
	v_fmac_f32_e32 v13, s31, v12
	s_wait_alu 0xfffd
	v_add_co_ci_u32_e64 v40, null, s15, v48, vcc_lo
	v_add_f32_e32 v12, v14, v38
	v_add_co_u32 v14, vcc_lo, v39, v8
	v_add_f32_e32 v13, v15, v13
	s_wait_alu 0xfffd
	v_add_co_ci_u32_e64 v15, null, v40, v9, vcc_lo
	v_add_co_u32 v38, vcc_lo, v46, s20
	global_store_b64 v[10:11], v[12:13], off offset:384
	global_load_b64 v[10:11], v[14:15], off
	v_mul_f32_e32 v12, s19, v37
	v_mul_f32_e32 v13, s18, v37
	s_wait_alu 0xfffd
	v_add_co_ci_u32_e64 v41, null, s21, v49, vcc_lo
	s_delay_alu instid0(VALU_DEP_3) | instskip(SKIP_3) | instid1(VALU_DEP_2)
	v_fma_f32 v12, v36, s18, -v12
	s_wait_loadcnt 0x0
	v_dual_fmac_f32 v13, s19, v36 :: v_dual_mul_f32 v36, s31, v11
	v_mul_f32_e32 v37, s30, v11
	v_fma_f32 v36, v10, s30, -v36
	s_delay_alu instid0(VALU_DEP_2) | instskip(SKIP_3) | instid1(VALU_DEP_3)
	v_fmac_f32_e32 v37, s31, v10
	v_add_co_u32 v10, vcc_lo, v38, v8
	s_wait_alu 0xfffd
	v_add_co_ci_u32_e64 v11, null, v41, v9, vcc_lo
	v_dual_add_f32 v12, v12, v36 :: v_dual_add_f32 v13, v13, v37
	v_mul_f32_e32 v36, s19, v35
	v_mul_f32_e32 v35, s18, v35
	global_store_b64 v[10:11], v[12:13], off
	global_load_b64 v[12:13], v[14:15], off offset:128
	v_fma_f32 v36, v34, s18, -v36
	v_fmac_f32_e32 v35, s19, v34
	s_wait_loadcnt 0x0
	v_mul_f32_e32 v37, s31, v13
	v_mul_f32_e32 v13, s30, v13
	s_delay_alu instid0(VALU_DEP_2) | instskip(NEXT) | instid1(VALU_DEP_1)
	v_fma_f32 v34, v12, s30, -v37
	v_dual_fmac_f32 v13, s31, v12 :: v_dual_add_f32 v12, v36, v34
	s_delay_alu instid0(VALU_DEP_1)
	v_add_f32_e32 v13, v35, v13
	v_mul_f32_e32 v34, s19, v33
	v_mul_f32_e32 v33, s18, v33
	global_store_b64 v[10:11], v[12:13], off offset:128
	global_load_b64 v[12:13], v[14:15], off offset:256
	v_fma_f32 v34, v32, s18, -v34
	v_fmac_f32_e32 v33, s19, v32
	s_wait_loadcnt 0x0
	v_mul_f32_e32 v35, s31, v13
	v_mul_f32_e32 v13, s30, v13
	s_delay_alu instid0(VALU_DEP_2) | instskip(NEXT) | instid1(VALU_DEP_2)
	v_fma_f32 v32, v12, s30, -v35
	v_fmac_f32_e32 v13, s31, v12
	s_delay_alu instid0(VALU_DEP_1) | instskip(SKIP_4) | instid1(VALU_DEP_2)
	v_dual_add_f32 v12, v34, v32 :: v_dual_add_f32 v13, v33, v13
	global_store_b64 v[10:11], v[12:13], off offset:256
	global_load_b64 v[12:13], v[14:15], off offset:384
	v_mul_f32_e32 v14, s19, v31
	v_mul_f32_e32 v15, s18, v31
	v_fma_f32 v14, v30, s18, -v14
	s_delay_alu instid0(VALU_DEP_2) | instskip(SKIP_3) | instid1(VALU_DEP_2)
	v_fmac_f32_e32 v15, s19, v30
	s_wait_loadcnt 0x0
	v_mul_f32_e32 v31, s31, v13
	v_mul_f32_e32 v13, s30, v13
	v_fma_f32 v30, v12, s30, -v31
	v_add_co_u32 v31, vcc_lo, v39, s14
	s_delay_alu instid0(VALU_DEP_3)
	v_fmac_f32_e32 v13, s31, v12
	s_wait_alu 0xfffd
	v_add_co_ci_u32_e64 v32, null, s15, v40, vcc_lo
	v_add_f32_e32 v12, v14, v30
	v_add_co_u32 v14, vcc_lo, v31, v8
	v_add_f32_e32 v13, v15, v13
	s_wait_alu 0xfffd
	v_add_co_ci_u32_e64 v15, null, v32, v9, vcc_lo
	global_store_b64 v[10:11], v[12:13], off offset:384
	global_load_b64 v[10:11], v[14:15], off
	v_mul_f32_e32 v12, s19, v29
	v_mul_f32_e32 v13, s18, v29
	s_delay_alu instid0(VALU_DEP_2) | instskip(SKIP_1) | instid1(VALU_DEP_2)
	v_fma_f32 v29, v28, s18, -v12
	s_wait_loadcnt 0x0
	v_dual_fmac_f32 v13, s19, v28 :: v_dual_mul_f32 v12, s31, v11
	v_mul_f32_e32 v28, s30, v11
	v_add_co_u32 v11, vcc_lo, v38, s20
	s_wait_alu 0xfffd
	v_add_co_ci_u32_e64 v30, null, s21, v41, vcc_lo
	v_fma_f32 v31, v10, s30, -v12
	v_fmac_f32_e32 v28, s31, v10
	v_add_co_u32 v11, vcc_lo, v11, v8
	s_wait_alu 0xfffd
	v_add_co_ci_u32_e64 v12, null, v30, v9, vcc_lo
	v_add_f32_e32 v8, v29, v31
	v_dual_add_f32 v9, v13, v28 :: v_dual_mul_f32 v10, s19, v27
	v_mul_f32_e32 v13, s18, v27
	global_store_b64 v[11:12], v[8:9], off
	global_load_b64 v[8:9], v[14:15], off offset:128
	v_fma_f32 v10, v26, s18, -v10
	v_fmac_f32_e32 v13, s19, v26
	s_wait_loadcnt 0x0
	v_mul_f32_e32 v27, s31, v9
	v_mul_f32_e32 v9, s30, v9
	s_delay_alu instid0(VALU_DEP_2) | instskip(NEXT) | instid1(VALU_DEP_1)
	v_fma_f32 v26, v8, s30, -v27
	v_dual_fmac_f32 v9, s31, v8 :: v_dual_add_f32 v8, v10, v26
	s_delay_alu instid0(VALU_DEP_1)
	v_add_f32_e32 v9, v13, v9
	v_mul_f32_e32 v10, s19, v25
	v_mul_f32_e32 v13, s18, v25
	global_store_b64 v[11:12], v[8:9], off offset:128
	global_load_b64 v[8:9], v[14:15], off offset:256
	v_fma_f32 v10, v24, s18, -v10
	v_fmac_f32_e32 v13, s19, v24
	s_wait_loadcnt 0x0
	v_mul_f32_e32 v25, s31, v9
	v_mul_f32_e32 v9, s30, v9
	s_delay_alu instid0(VALU_DEP_2) | instskip(NEXT) | instid1(VALU_DEP_2)
	v_fma_f32 v24, v8, s30, -v25
	v_fmac_f32_e32 v9, s31, v8
	s_delay_alu instid0(VALU_DEP_1)
	v_dual_add_f32 v8, v10, v24 :: v_dual_add_f32 v9, v13, v9
	v_mul_f32_e32 v10, s19, v23
	v_mul_f32_e32 v13, s18, v23
	global_store_b64 v[11:12], v[8:9], off offset:256
	global_load_b64 v[8:9], v[14:15], off offset:384
	v_fma_f32 v10, v22, s18, -v10
	s_wait_loadcnt 0x0
	v_dual_fmac_f32 v13, s19, v22 :: v_dual_mul_f32 v14, s31, v9
	v_mul_f32_e32 v9, s30, v9
	s_delay_alu instid0(VALU_DEP_2) | instskip(NEXT) | instid1(VALU_DEP_2)
	v_fma_f32 v14, v8, s30, -v14
	v_fmac_f32_e32 v9, s31, v8
	v_add_co_u32 v8, vcc_lo, 0x180, v11
	s_delay_alu instid0(VALU_DEP_3) | instskip(NEXT) | instid1(VALU_DEP_3)
	v_add_f32_e32 v14, v10, v14
	v_add_f32_e32 v10, v13, v9
	s_wait_alu 0xfffd
	v_add_co_ci_u32_e64 v9, null, 0, v12, vcc_lo
	global_store_b32 v[11:12], v14, off offset:384
	s_branch .LBB96_2
.LBB96_10:
	s_nop 0
	s_sendmsg sendmsg(MSG_DEALLOC_VGPRS)
	s_endpgm
	.section	.rodata,"a",@progbits
	.p2align	6, 0x0
	.amdhsa_kernel _ZN12_GLOBAL__N_127rocblas_gemm_batched_kernelI19rocblas_complex_numIfELi16ELi16ELi64ELi64ELi4ELi64ELi4ELi4ELi64ELc78ELc67EKS2_S3_S2_EEvlllT_PT11_llS6_llS4_PT12_llPT13_lli
		.amdhsa_group_segment_fixed_size 4096
		.amdhsa_private_segment_fixed_size 0
		.amdhsa_kernarg_size 140
		.amdhsa_user_sgpr_count 2
		.amdhsa_user_sgpr_dispatch_ptr 0
		.amdhsa_user_sgpr_queue_ptr 0
		.amdhsa_user_sgpr_kernarg_segment_ptr 1
		.amdhsa_user_sgpr_dispatch_id 0
		.amdhsa_user_sgpr_private_segment_size 0
		.amdhsa_wavefront_size32 1
		.amdhsa_uses_dynamic_stack 0
		.amdhsa_enable_private_segment 0
		.amdhsa_system_sgpr_workgroup_id_x 1
		.amdhsa_system_sgpr_workgroup_id_y 1
		.amdhsa_system_sgpr_workgroup_id_z 1
		.amdhsa_system_sgpr_workgroup_info 0
		.amdhsa_system_vgpr_workitem_id 1
		.amdhsa_next_free_vgpr 196
		.amdhsa_next_free_sgpr 39
		.amdhsa_reserve_vcc 1
		.amdhsa_float_round_mode_32 0
		.amdhsa_float_round_mode_16_64 0
		.amdhsa_float_denorm_mode_32 3
		.amdhsa_float_denorm_mode_16_64 3
		.amdhsa_fp16_overflow 0
		.amdhsa_workgroup_processor_mode 1
		.amdhsa_memory_ordered 1
		.amdhsa_forward_progress 1
		.amdhsa_inst_pref_size 44
		.amdhsa_round_robin_scheduling 0
		.amdhsa_exception_fp_ieee_invalid_op 0
		.amdhsa_exception_fp_denorm_src 0
		.amdhsa_exception_fp_ieee_div_zero 0
		.amdhsa_exception_fp_ieee_overflow 0
		.amdhsa_exception_fp_ieee_underflow 0
		.amdhsa_exception_fp_ieee_inexact 0
		.amdhsa_exception_int_div_zero 0
	.end_amdhsa_kernel
	.section	.text._ZN12_GLOBAL__N_127rocblas_gemm_batched_kernelI19rocblas_complex_numIfELi16ELi16ELi64ELi64ELi4ELi64ELi4ELi4ELi64ELc78ELc67EKS2_S3_S2_EEvlllT_PT11_llS6_llS4_PT12_llPT13_lli,"axG",@progbits,_ZN12_GLOBAL__N_127rocblas_gemm_batched_kernelI19rocblas_complex_numIfELi16ELi16ELi64ELi64ELi4ELi64ELi4ELi4ELi64ELc78ELc67EKS2_S3_S2_EEvlllT_PT11_llS6_llS4_PT12_llPT13_lli,comdat
.Lfunc_end96:
	.size	_ZN12_GLOBAL__N_127rocblas_gemm_batched_kernelI19rocblas_complex_numIfELi16ELi16ELi64ELi64ELi4ELi64ELi4ELi4ELi64ELc78ELc67EKS2_S3_S2_EEvlllT_PT11_llS6_llS4_PT12_llPT13_lli, .Lfunc_end96-_ZN12_GLOBAL__N_127rocblas_gemm_batched_kernelI19rocblas_complex_numIfELi16ELi16ELi64ELi64ELi4ELi64ELi4ELi4ELi64ELc78ELc67EKS2_S3_S2_EEvlllT_PT11_llS6_llS4_PT12_llPT13_lli
                                        ; -- End function
	.set _ZN12_GLOBAL__N_127rocblas_gemm_batched_kernelI19rocblas_complex_numIfELi16ELi16ELi64ELi64ELi4ELi64ELi4ELi4ELi64ELc78ELc67EKS2_S3_S2_EEvlllT_PT11_llS6_llS4_PT12_llPT13_lli.num_vgpr, 196
	.set _ZN12_GLOBAL__N_127rocblas_gemm_batched_kernelI19rocblas_complex_numIfELi16ELi16ELi64ELi64ELi4ELi64ELi4ELi4ELi64ELc78ELc67EKS2_S3_S2_EEvlllT_PT11_llS6_llS4_PT12_llPT13_lli.num_agpr, 0
	.set _ZN12_GLOBAL__N_127rocblas_gemm_batched_kernelI19rocblas_complex_numIfELi16ELi16ELi64ELi64ELi4ELi64ELi4ELi4ELi64ELc78ELc67EKS2_S3_S2_EEvlllT_PT11_llS6_llS4_PT12_llPT13_lli.numbered_sgpr, 39
	.set _ZN12_GLOBAL__N_127rocblas_gemm_batched_kernelI19rocblas_complex_numIfELi16ELi16ELi64ELi64ELi4ELi64ELi4ELi4ELi64ELc78ELc67EKS2_S3_S2_EEvlllT_PT11_llS6_llS4_PT12_llPT13_lli.num_named_barrier, 0
	.set _ZN12_GLOBAL__N_127rocblas_gemm_batched_kernelI19rocblas_complex_numIfELi16ELi16ELi64ELi64ELi4ELi64ELi4ELi4ELi64ELc78ELc67EKS2_S3_S2_EEvlllT_PT11_llS6_llS4_PT12_llPT13_lli.private_seg_size, 0
	.set _ZN12_GLOBAL__N_127rocblas_gemm_batched_kernelI19rocblas_complex_numIfELi16ELi16ELi64ELi64ELi4ELi64ELi4ELi4ELi64ELc78ELc67EKS2_S3_S2_EEvlllT_PT11_llS6_llS4_PT12_llPT13_lli.uses_vcc, 1
	.set _ZN12_GLOBAL__N_127rocblas_gemm_batched_kernelI19rocblas_complex_numIfELi16ELi16ELi64ELi64ELi4ELi64ELi4ELi4ELi64ELc78ELc67EKS2_S3_S2_EEvlllT_PT11_llS6_llS4_PT12_llPT13_lli.uses_flat_scratch, 0
	.set _ZN12_GLOBAL__N_127rocblas_gemm_batched_kernelI19rocblas_complex_numIfELi16ELi16ELi64ELi64ELi4ELi64ELi4ELi4ELi64ELc78ELc67EKS2_S3_S2_EEvlllT_PT11_llS6_llS4_PT12_llPT13_lli.has_dyn_sized_stack, 0
	.set _ZN12_GLOBAL__N_127rocblas_gemm_batched_kernelI19rocblas_complex_numIfELi16ELi16ELi64ELi64ELi4ELi64ELi4ELi4ELi64ELc78ELc67EKS2_S3_S2_EEvlllT_PT11_llS6_llS4_PT12_llPT13_lli.has_recursion, 0
	.set _ZN12_GLOBAL__N_127rocblas_gemm_batched_kernelI19rocblas_complex_numIfELi16ELi16ELi64ELi64ELi4ELi64ELi4ELi4ELi64ELc78ELc67EKS2_S3_S2_EEvlllT_PT11_llS6_llS4_PT12_llPT13_lli.has_indirect_call, 0
	.section	.AMDGPU.csdata,"",@progbits
; Kernel info:
; codeLenInByte = 5524
; TotalNumSgprs: 41
; NumVgprs: 196
; ScratchSize: 0
; MemoryBound: 0
; FloatMode: 240
; IeeeMode: 1
; LDSByteSize: 4096 bytes/workgroup (compile time only)
; SGPRBlocks: 0
; VGPRBlocks: 24
; NumSGPRsForWavesPerEU: 41
; NumVGPRsForWavesPerEU: 196
; Occupancy: 7
; WaveLimiterHint : 1
; COMPUTE_PGM_RSRC2:SCRATCH_EN: 0
; COMPUTE_PGM_RSRC2:USER_SGPR: 2
; COMPUTE_PGM_RSRC2:TRAP_HANDLER: 0
; COMPUTE_PGM_RSRC2:TGID_X_EN: 1
; COMPUTE_PGM_RSRC2:TGID_Y_EN: 1
; COMPUTE_PGM_RSRC2:TGID_Z_EN: 1
; COMPUTE_PGM_RSRC2:TIDIG_COMP_CNT: 1
	.section	.text._ZN12_GLOBAL__N_127rocblas_gemm_batched_kernelI19rocblas_complex_numIfELi16ELi16ELi64ELi64ELi4ELi64ELi4ELi4ELi64ELc84ELc67EKS2_S3_S2_EEvlllT_PT11_llS6_llS4_PT12_llPT13_lli,"axG",@progbits,_ZN12_GLOBAL__N_127rocblas_gemm_batched_kernelI19rocblas_complex_numIfELi16ELi16ELi64ELi64ELi4ELi64ELi4ELi4ELi64ELc84ELc67EKS2_S3_S2_EEvlllT_PT11_llS6_llS4_PT12_llPT13_lli,comdat
	.globl	_ZN12_GLOBAL__N_127rocblas_gemm_batched_kernelI19rocblas_complex_numIfELi16ELi16ELi64ELi64ELi4ELi64ELi4ELi4ELi64ELc84ELc67EKS2_S3_S2_EEvlllT_PT11_llS6_llS4_PT12_llPT13_lli ; -- Begin function _ZN12_GLOBAL__N_127rocblas_gemm_batched_kernelI19rocblas_complex_numIfELi16ELi16ELi64ELi64ELi4ELi64ELi4ELi4ELi64ELc84ELc67EKS2_S3_S2_EEvlllT_PT11_llS6_llS4_PT12_llPT13_lli
	.p2align	8
	.type	_ZN12_GLOBAL__N_127rocblas_gemm_batched_kernelI19rocblas_complex_numIfELi16ELi16ELi64ELi64ELi4ELi64ELi4ELi4ELi64ELc84ELc67EKS2_S3_S2_EEvlllT_PT11_llS6_llS4_PT12_llPT13_lli,@function
_ZN12_GLOBAL__N_127rocblas_gemm_batched_kernelI19rocblas_complex_numIfELi16ELi16ELi64ELi64ELi4ELi64ELi4ELi4ELi64ELc84ELc67EKS2_S3_S2_EEvlllT_PT11_llS6_llS4_PT12_llPT13_lli: ; @_ZN12_GLOBAL__N_127rocblas_gemm_batched_kernelI19rocblas_complex_numIfELi16ELi16ELi64ELi64ELi4ELi64ELi4ELi4ELi64ELc84ELc67EKS2_S3_S2_EEvlllT_PT11_llS6_llS4_PT12_llPT13_lli
; %bb.0:
	s_load_b32 s33, s[0:1], 0x88
	s_lshr_b32 s2, ttmp7, 16
	s_wait_kmcnt 0x0
	s_cmp_ge_i32 s2, s33
	s_cbranch_scc1 .LBB97_10
; %bb.1:
	v_and_b32_e32 v12, 0x3ff, v0
	v_bfe_u32 v8, v0, 10, 10
	s_load_b128 s[28:31], s[0:1], 0x40
	s_lshl_b32 s3, ttmp7, 6
	s_clause 0x1
	s_load_b128 s[20:23], s[0:1], 0x10
	s_load_b256 s[4:11], s[0:1], 0x58
	s_and_b32 s38, s3, 0x3fffc0
	v_lshl_add_u32 v2, v8, 4, v12
	v_and_b32_e32 v6, 3, v0
	s_clause 0x2
	s_load_b256 s[12:19], s[0:1], 0x20
	s_load_b128 s[24:27], s[0:1], 0x78
	s_load_b64 s[34:35], s[0:1], 0x50
	v_add_nc_u32_e32 v10, s38, v8
	s_mov_b32 s36, ttmp9
	v_lshrrev_b32_e32 v3, 2, v2
	v_and_b32_e32 v9, 63, v2
	v_lshrrev_b32_e32 v13, 6, v2
	s_ashr_i32 s37, ttmp9, 31
	v_lshl_add_u32 v19, v8, 5, 0x800
	v_add_co_u32 v0, s3, v3, s38
	s_delay_alu instid0(VALU_DEP_1)
	v_add_co_ci_u32_e64 v1, null, 0, 0, s3
	s_lshl_b64 s[36:37], s[36:37], 6
	s_mov_b32 s3, 0
	s_wait_kmcnt 0x0
	v_mad_co_u64_u32 v[4:5], null, s28, v6, v[0:1]
	v_lshlrev_b32_e32 v1, 3, v6
	s_or_b32 s0, s34, s35
	s_delay_alu instid0(SALU_CYCLE_1) | instskip(NEXT) | instid1(VALU_DEP_2)
	s_bitset0_b32 s0, 31
	v_mov_b32_e32 v0, v5
	s_delay_alu instid0(VALU_DEP_2)
	v_lshl_or_b32 v1, v3, 5, v1
	v_lshlrev_b32_e32 v5, 3, v9
	s_cmp_eq_u32 s0, 0
	s_mul_i32 s0, s14, s37
	s_cselect_b32 s1, -1, 0
	v_mad_co_u64_u32 v[2:3], null, s29, v6, v[0:1]
	v_mad_co_u64_u32 v[6:7], null, v10, s6, 0
	v_lshl_or_b32 v17, v13, 9, v5
	v_add_nc_u32_e32 v18, 0x800, v1
	v_mad_co_u64_u32 v[0:1], null, v10, s24, 0
	s_delay_alu instid0(VALU_DEP_4) | instskip(SKIP_1) | instid1(VALU_DEP_2)
	v_dual_mov_b32 v5, v2 :: v_dual_mov_b32 v2, v7
	v_or_b32_e32 v7, s36, v9
	v_mad_co_u64_u32 v[2:3], null, v10, s7, v[2:3]
	s_delay_alu instid0(VALU_DEP_2) | instskip(SKIP_1) | instid1(VALU_DEP_3)
	v_mul_lo_u32 v14, s15, v7
	v_mad_co_u64_u32 v[8:9], null, s14, v7, 0
	v_mad_co_u64_u32 v[10:11], null, v10, s25, v[1:2]
	v_mov_b32_e32 v7, v2
	s_delay_alu instid0(VALU_DEP_3)
	v_add3_u32 v9, v9, s0, v14
	v_lshlrev_b32_e32 v16, 3, v12
	v_cmp_gt_i64_e64 s0, s[20:21], 0
	v_add_co_u32 v2, s14, s36, v12
	v_lshlrev_b64_e32 v[6:7], 3, v[6:7]
	v_lshlrev_b64_e32 v[8:9], 3, v[8:9]
	v_dual_mov_b32 v1, v10 :: v_dual_lshlrev_b32 v10, 3, v13
	s_wait_alu 0xf1ff
	v_add_co_ci_u32_e64 v3, null, s37, 0, s14
	s_delay_alu instid0(VALU_DEP_4) | instskip(NEXT) | instid1(VALU_DEP_1)
	v_add_co_u32 v20, vcc_lo, s4, v6
	v_add_co_ci_u32_e64 v21, null, s5, v7, vcc_lo
	v_add_co_u32 v8, vcc_lo, v8, v10
	v_lshlrev_b64_e32 v[6:7], 3, v[4:5]
	s_wait_alu 0xfffd
	v_add_co_ci_u32_e64 v9, null, 0, v9, vcc_lo
	s_delay_alu instid0(VALU_DEP_3) | instskip(SKIP_2) | instid1(VALU_DEP_3)
	v_add_co_u32 v4, vcc_lo, s12, v8
	v_cndmask_b32_e64 v8, 0, 1, s0
	s_wait_alu 0xfffd
	v_add_co_ci_u32_e64 v5, null, s13, v9, vcc_lo
	v_add_co_u32 v6, vcc_lo, s18, v6
	s_wait_alu 0xfffd
	v_add_co_ci_u32_e64 v7, null, s19, v7, vcc_lo
	v_cmp_ne_u32_e64 s0, 1, v8
	s_delay_alu instid0(VALU_DEP_3) | instskip(SKIP_1) | instid1(VALU_DEP_3)
	v_add_co_u32 v6, vcc_lo, v6, 4
	s_wait_alu 0xfffd
	v_add_co_ci_u32_e64 v7, null, 0, v7, vcc_lo
	s_lshl_b64 s[24:25], s[24:25], 4
	s_lshl_b64 s[14:15], s[6:7], 4
	s_lshl_b64 s[4:5], s[16:17], 3
	s_lshl_b64 s[6:7], s[30:31], 3
	s_lshl_b64 s[12:13], s[28:29], 5
	s_wait_alu 0xfffe
	s_lshl_b64 s[14:15], s[14:15], 3
	s_lshl_b64 s[16:17], s[24:25], 3
	s_branch .LBB97_3
.LBB97_2:                               ;   in Loop: Header=BB97_3 Depth=1
	s_add_co_i32 s2, s2, 0x10000
	global_store_b32 v[8:9], v10, off offset:4
	s_wait_alu 0xfffe
	s_cmp_lt_i32 s2, s33
	s_cbranch_scc0 .LBB97_10
.LBB97_3:                               ; =>This Loop Header: Depth=1
                                        ;     Child Loop BB97_5 Depth 2
	v_dual_mov_b32 v52, 0 :: v_dual_mov_b32 v53, 0
	v_dual_mov_b32 v50, 0 :: v_dual_mov_b32 v51, 0
	;; [unrolled: 1-line block ×16, first 2 shown]
	s_and_b32 vcc_lo, exec_lo, s0
	s_wait_alu 0xfffe
	s_cbranch_vccnz .LBB97_6
; %bb.4:                                ;   in Loop: Header=BB97_3 Depth=1
	v_mad_co_u64_u32 v[8:9], null, s4, s2, v[4:5]
	v_mad_co_u64_u32 v[10:11], null, s6, s2, v[6:7]
	v_dual_mov_b32 v23, 0 :: v_dual_mov_b32 v22, 0
	v_dual_mov_b32 v25, 0 :: v_dual_mov_b32 v24, 0
	;; [unrolled: 1-line block ×3, first 2 shown]
	s_delay_alu instid0(VALU_DEP_4) | instskip(SKIP_3) | instid1(VALU_DEP_4)
	v_mad_co_u64_u32 v[12:13], null, s5, s2, v[9:10]
	v_dual_mov_b32 v29, 0 :: v_dual_mov_b32 v28, 0
	v_dual_mov_b32 v31, 0 :: v_dual_mov_b32 v30, 0
	;; [unrolled: 1-line block ×3, first 2 shown]
	v_mad_co_u64_u32 v[13:14], null, s7, s2, v[11:12]
	v_dual_mov_b32 v9, v12 :: v_dual_mov_b32 v32, 0
	v_dual_mov_b32 v35, 0 :: v_dual_mov_b32 v38, 0
	;; [unrolled: 1-line block ×3, first 2 shown]
	s_delay_alu instid0(VALU_DEP_4)
	v_dual_mov_b32 v40, 0 :: v_dual_mov_b32 v11, v13
	v_dual_mov_b32 v39, 0 :: v_dual_mov_b32 v42, 0
	;; [unrolled: 1-line block ×7, first 2 shown]
	v_mov_b32_e32 v51, 0
	v_mov_b32_e32 v53, 0
	s_mov_b64 s[18:19], 0
.LBB97_5:                               ;   Parent Loop BB97_3 Depth=1
                                        ; =>  This Inner Loop Header: Depth=2
	global_load_b64 v[12:13], v[10:11], off offset:-4
	global_load_b64 v[14:15], v[8:9], off
	s_wait_alu 0xfffe
	s_add_nc_u64 s[18:19], s[18:19], 4
	v_add_co_u32 v8, vcc_lo, v8, 32
	s_wait_alu 0xfffe
	v_cmp_lt_i64_e64 s24, s[18:19], s[20:21]
	s_wait_alu 0xfffd
	v_add_co_ci_u32_e64 v9, null, 0, v9, vcc_lo
	v_add_co_u32 v10, vcc_lo, v10, s12
	s_wait_alu 0xfffd
	v_add_co_ci_u32_e64 v11, null, s13, v11, vcc_lo
	s_and_b32 vcc_lo, exec_lo, s24
	s_wait_loadcnt 0x1
	v_xor_b32_e32 v13, 0x80000000, v13
	s_wait_loadcnt 0x0
	ds_store_b64 v17, v[14:15]
	ds_store_b64 v18, v[12:13]
	s_wait_dscnt 0x0
	s_barrier_signal -1
	s_barrier_wait -1
	global_inv scope:SCOPE_SE
	ds_load_2addr_b64 v[12:15], v16 offset1:16
	ds_load_b128 v[54:57], v19
	ds_load_b128 v[58:61], v19 offset:16
	ds_load_b128 v[62:65], v19 offset:512
	;; [unrolled: 1-line block ×7, first 2 shown]
	ds_load_2addr_b64 v[86:89], v16 offset0:32 offset1:48
	ds_load_2addr_b64 v[90:93], v16 offset0:64 offset1:80
	;; [unrolled: 1-line block ×7, first 2 shown]
	s_wait_loadcnt_dscnt 0x0
	s_barrier_signal -1
	s_barrier_wait -1
	global_inv scope:SCOPE_SE
	v_dual_mul_f32 v114, v55, v13 :: v_dual_mul_f32 v117, v54, v15
	v_dual_mul_f32 v115, v54, v13 :: v_dual_mul_f32 v116, v55, v15
	;; [unrolled: 1-line block ×6, first 2 shown]
	v_mul_f32_e32 v126, v79, v13
	v_dual_mul_f32 v13, v78, v13 :: v_dual_mul_f32 v128, v55, v87
	v_dual_mul_f32 v127, v79, v15 :: v_dual_mul_f32 v144, v57, v93
	;; [unrolled: 1-line block ×9, first 2 shown]
	v_mul_f32_e32 v15, v78, v15
	v_dual_mul_f32 v87, v78, v87 :: v_dual_mul_f32 v148, v57, v97
	v_dual_mul_f32 v89, v78, v89 :: v_dual_mul_f32 v146, v57, v95
	;; [unrolled: 1-line block ×19, first 2 shown]
	v_mul_f32_e32 v181, v74, v101
	v_fma_f32 v114, v54, v12, -v114
	v_fmac_f32_e32 v115, v55, v12
	v_fma_f32 v116, v54, v14, -v116
	v_fmac_f32_e32 v117, v55, v14
	v_fma_f32 v118, v62, v12, -v118
	v_fmac_f32_e32 v119, v63, v12
	v_fma_f32 v120, v62, v14, -v120
	v_fmac_f32_e32 v121, v63, v14
	v_fma_f32 v122, v70, v12, -v122
	v_fmac_f32_e32 v123, v71, v12
	v_fma_f32 v124, v70, v14, -v124
	v_fmac_f32_e32 v125, v71, v14
	v_fma_f32 v126, v78, v12, -v126
	v_fmac_f32_e32 v13, v79, v12
	v_fma_f32 v12, v78, v14, -v127
	v_fma_f32 v128, v54, v86, -v128
	v_dual_fmac_f32 v129, v55, v86 :: v_dual_mul_f32 v194, v77, v113
	v_fma_f32 v54, v54, v88, -v130
	v_fmac_f32_e32 v131, v55, v88
	v_fma_f32 v55, v62, v86, -v132
	v_fmac_f32_e32 v133, v63, v86
	;; [unrolled: 2-line block ×3, first 2 shown]
	v_fmac_f32_e32 v139, v71, v88
	v_fma_f32 v71, v78, v86, -v140
	v_fma_f32 v78, v78, v88, -v141
	;; [unrolled: 1-line block ×3, first 2 shown]
	v_dual_mul_f32 v144, v60, v107 :: v_dual_fmac_f32 v135, v63, v88
	v_fma_f32 v63, v70, v86, -v136
	v_fma_f32 v70, v70, v88, -v138
	v_dual_mul_f32 v97, v80, v97 :: v_dual_mul_f32 v182, v83, v99
	v_dual_mul_f32 v171, v58, v99 :: v_dual_mul_f32 v188, v67, v105
	;; [unrolled: 1-line block ×3, first 2 shown]
	v_mul_f32_e32 v175, v66, v99
	v_mul_f32_e32 v177, v66, v101
	v_dual_mul_f32 v179, v74, v99 :: v_dual_mul_f32 v138, v83, v105
	v_mul_f32_e32 v99, v82, v99
	v_mul_f32_e32 v183, v83, v101
	;; [unrolled: 1-line block ×5, first 2 shown]
	v_dual_fmac_f32 v15, v79, v14 :: v_dual_mul_f32 v190, v77, v107
	v_mul_f32_e32 v14, v67, v103
	v_dual_mul_f32 v127, v66, v103 :: v_dual_mul_f32 v192, v77, v109
	v_mul_f32_e32 v189, v66, v105
	v_fmac_f32_e32 v87, v79, v86
	v_dual_fmac_f32 v89, v79, v88 :: v_dual_mul_f32 v86, v74, v103
	v_mul_f32_e32 v88, v75, v105
	v_mul_f32_e32 v130, v74, v105
	v_fma_f32 v132, v56, v90, -v142
	v_fmac_f32_e32 v143, v57, v90
	v_dual_fmac_f32 v145, v57, v92 :: v_dual_fmac_f32 v86, v75, v102
	v_fma_f32 v136, v56, v94, -v146
	v_dual_fmac_f32 v147, v57, v94 :: v_dual_add_f32 v50, v50, v116
	v_fma_f32 v56, v56, v96, -v148
	v_dual_fmac_f32 v149, v57, v96 :: v_dual_add_f32 v52, v52, v114
	v_dual_mul_f32 v105, v82, v105 :: v_dual_add_f32 v48, v48, v128
	v_fma_f32 v140, v64, v90, -v150
	v_dual_fmac_f32 v151, v65, v90 :: v_dual_add_f32 v42, v42, v120
	v_fma_f32 v141, v64, v92, -v152
	v_dual_fmac_f32 v153, v65, v92 :: v_dual_add_f32 v46, v46, v54
	v_fma_f32 v142, v64, v94, -v154
	v_dual_fmac_f32 v155, v65, v94 :: v_dual_add_f32 v40, v40, v55
	v_fma_f32 v64, v64, v96, -v156
	v_dual_fmac_f32 v157, v65, v96 :: v_dual_add_f32 v44, v44, v118
	v_dual_mul_f32 v65, v61, v107 :: v_dual_add_f32 v38, v38, v62
	v_mul_f32_e32 v146, v61, v109
	v_mul_f32_e32 v148, v60, v109
	v_fma_f32 v150, v72, v90, -v158
	v_dual_fmac_f32 v159, v73, v90 :: v_dual_add_f32 v34, v34, v124
	v_fma_f32 v152, v72, v92, -v160
	v_dual_fmac_f32 v161, v73, v92 :: v_dual_add_f32 v36, v36, v122
	;; [unrolled: 2-line block ×4, first 2 shown]
	v_dual_mul_f32 v73, v61, v111 :: v_dual_add_f32 v28, v28, v126
	v_mul_f32_e32 v156, v60, v111
	v_mul_f32_e32 v160, v60, v113
	v_fma_f32 v162, v80, v90, -v166
	v_dual_fmac_f32 v91, v81, v90 :: v_dual_add_f32 v12, v26, v12
	v_fma_f32 v90, v80, v92, -v167
	v_dual_fmac_f32 v93, v81, v92 :: v_dual_add_f32 v24, v24, v71
	v_mul_f32_e32 v164, v68, v107
	v_mul_f32_e32 v79, v75, v103
	v_dual_mul_f32 v167, v68, v109 :: v_dual_add_f32 v22, v22, v78
	v_fma_f32 v168, v80, v94, -v168
	v_dual_fmac_f32 v95, v81, v94 :: v_dual_add_f32 v26, v52, v132
	v_fma_f32 v80, v80, v96, -v169
	v_mul_f32_e32 v94, v68, v111
	v_mul_f32_e32 v57, v83, v103
	v_dual_mul_f32 v103, v82, v103 :: v_dual_mul_f32 v158, v61, v113
	v_mul_f32_e32 v92, v69, v107
	v_mul_f32_e32 v166, v69, v109
	v_dual_mul_f32 v169, v68, v113 :: v_dual_add_f32 v46, v46, v56
	v_dual_mul_f32 v191, v76, v107 :: v_dual_add_f32 v42, v42, v141
	;; [unrolled: 1-line block ×3, first 2 shown]
	v_fma_f32 v170, v58, v98, -v170
	v_dual_fmac_f32 v171, v59, v98 :: v_dual_add_f32 v44, v44, v140
	v_fma_f32 v172, v58, v100, -v172
	v_dual_fmac_f32 v173, v59, v100 :: v_dual_add_f32 v40, v40, v142
	v_fma_f32 v174, v66, v98, -v174
	v_dual_fmac_f32 v175, v67, v98 :: v_dual_add_f32 v34, v34, v152
	v_fma_f32 v176, v66, v100, -v176
	v_dual_fmac_f32 v177, v67, v100 :: v_dual_add_f32 v36, v36, v150
	v_fma_f32 v178, v74, v98, -v178
	v_dual_fmac_f32 v179, v75, v98 :: v_dual_add_f32 v30, v30, v72
	v_fma_f32 v180, v74, v100, -v180
	v_dual_fmac_f32 v181, v75, v100 :: v_dual_add_f32 v32, v32, v154
	v_fma_f32 v182, v82, v98, -v182
	v_dual_fmac_f32 v99, v83, v98 :: v_dual_add_f32 v24, v24, v168
	v_fma_f32 v98, v82, v100, -v183
	v_dual_fmac_f32 v101, v83, v100 :: v_dual_add_f32 v28, v28, v162
	v_mul_f32_e32 v100, v77, v111
	v_dual_mul_f32 v183, v76, v111 :: v_dual_add_f32 v22, v22, v80
	v_dual_mul_f32 v195, v76, v113 :: v_dual_add_f32 v26, v26, v170
	v_fma_f32 v184, v58, v102, -v184
	v_fma_f32 v58, v58, v104, -v186
	v_dual_fmac_f32 v187, v59, v104 :: v_dual_add_f32 v12, v12, v90
	v_fma_f32 v14, v66, v102, -v14
	v_dual_fmac_f32 v127, v67, v102 :: v_dual_add_f32 v42, v42, v176
	s_delay_alu instid0(VALU_DEP_4)
	v_dual_fmac_f32 v189, v67, v104 :: v_dual_add_f32 v46, v46, v58
	v_fma_f32 v67, v74, v104, -v88
	v_fmac_f32_e32 v130, v75, v104
	v_dual_fmac_f32 v105, v83, v104 :: v_dual_add_f32 v44, v44, v174
	v_dual_mul_f32 v75, v85, v107 :: v_dual_add_f32 v14, v40, v14
	v_fmac_f32_e32 v144, v61, v106
	v_fma_f32 v88, v60, v108, -v146
	v_fmac_f32_e32 v148, v61, v108
	v_fmac_f32_e32 v156, v61, v110
	;; [unrolled: 1-line block ×3, first 2 shown]
	v_dual_mul_f32 v61, v85, v111 :: v_dual_add_f32 v36, v36, v178
	v_fmac_f32_e32 v164, v69, v106
	v_fmac_f32_e32 v94, v69, v110
	v_fma_f32 v57, v82, v102, -v57
	v_add_f32_e32 v51, v51, v117
	v_fmac_f32_e32 v97, v81, v96
	v_dual_mul_f32 v81, v69, v111 :: v_dual_add_f32 v48, v48, v136
	v_dual_mul_f32 v96, v69, v113 :: v_dual_fmac_f32 v185, v59, v102
	v_fma_f32 v59, v66, v104, -v188
	v_fma_f32 v66, v74, v102, -v79
	;; [unrolled: 1-line block ×3, first 2 shown]
	v_mul_f32_e32 v82, v85, v109
	v_dual_mul_f32 v104, v85, v113 :: v_dual_fmac_f32 v103, v83, v102
	v_add_f32_e32 v38, v38, v59
	v_dual_mul_f32 v79, v84, v107 :: v_dual_add_f32 v34, v34, v180
	v_dual_mul_f32 v83, v84, v109 :: v_dual_add_f32 v30, v30, v67
	v_fma_f32 v65, v60, v106, -v65
	v_fma_f32 v73, v60, v110, -v73
	v_mul_f32_e32 v102, v84, v111
	v_dual_mul_f32 v107, v84, v113 :: v_dual_add_f32 v22, v22, v74
	v_fma_f32 v92, v68, v106, -v92
	v_fma_f32 v109, v68, v108, -v166
	v_dual_fmac_f32 v167, v69, v108 :: v_dual_add_f32 v32, v32, v66
	v_fma_f32 v81, v68, v110, -v81
	v_fma_f32 v68, v68, v112, -v96
	v_dual_fmac_f32 v169, v69, v112 :: v_dual_add_f32 v28, v28, v182
	v_fma_f32 v69, v76, v106, -v190
	v_dual_fmac_f32 v191, v77, v106 :: v_dual_add_f32 v24, v24, v57
	;; [unrolled: 2-line block ×4, first 2 shown]
	v_fma_f32 v76, v76, v112, -v194
	v_fma_f32 v75, v84, v106, -v75
	v_fma_f32 v61, v84, v110, -v61
	v_dual_add_f32 v53, v53, v115 :: v_dual_add_f32 v44, v44, v92
	v_dual_add_f32 v49, v49, v129 :: v_dual_add_f32 v38, v38, v68
	;; [unrolled: 1-line block ×8, first 2 shown]
	v_add_f32_e32 v31, v31, v139
	v_add_f32_e32 v13, v29, v13
	;; [unrolled: 1-line block ×4, first 2 shown]
	v_dual_add_f32 v23, v23, v89 :: v_dual_add_f32 v48, v48, v184
	v_fmac_f32_e32 v195, v77, v112
	v_fma_f32 v77, v84, v108, -v82
	v_fma_f32 v82, v84, v112, -v104
	v_add_f32_e32 v39, v39, v135
	v_add_f32_e32 v33, v33, v137
	;; [unrolled: 1-line block ×3, first 2 shown]
	v_dual_add_f32 v29, v50, v134 :: v_dual_add_f32 v50, v51, v145
	v_add_f32_e32 v49, v49, v147
	v_add_f32_e32 v47, v47, v149
	;; [unrolled: 1-line block ×13, first 2 shown]
	v_dual_add_f32 v39, v39, v157 :: v_dual_add_f32 v22, v22, v82
	v_add_f32_e32 v33, v33, v163
	v_fma_f32 v60, v60, v112, -v158
	v_fmac_f32_e32 v79, v85, v106
	v_dual_fmac_f32 v83, v85, v108 :: v_dual_add_f32 v42, v42, v109
	v_fmac_f32_e32 v102, v85, v110
	v_dual_fmac_f32 v107, v85, v112 :: v_dual_add_f32 v40, v14, v81
	v_add_f32_e32 v27, v27, v171
	v_add_f32_e32 v29, v29, v172
	;; [unrolled: 1-line block ×19, first 2 shown]
	v_dual_add_f32 v51, v51, v148 :: v_dual_add_f32 v48, v48, v73
	v_add_f32_e32 v49, v49, v156
	v_add_f32_e32 v46, v46, v60
	;; [unrolled: 1-line block ×15, first 2 shown]
	s_wait_alu 0xfffe
	s_cbranch_vccnz .LBB97_5
.LBB97_6:                               ;   in Loop: Header=BB97_3 Depth=1
	s_mul_u64 s[18:19], s[26:27], s[2:3]
	s_and_not1_b32 vcc_lo, exec_lo, s1
	s_wait_alu 0xfffe
	s_lshl_b64 s[18:19], s[18:19], 3
	s_mov_b32 s24, -1
	s_wait_alu 0xfffe
	s_add_nc_u64 s[18:19], s[10:11], s[18:19]
                                        ; implicit-def: $vgpr10
                                        ; implicit-def: $vgpr8_vgpr9
	s_cbranch_vccz .LBB97_8
; %bb.7:                                ;   in Loop: Header=BB97_3 Depth=1
	s_and_not1_b32 vcc_lo, exec_lo, s24
	s_wait_alu 0xfffe
	s_cbranch_vccnz .LBB97_2
	s_branch .LBB97_9
.LBB97_8:                               ;   in Loop: Header=BB97_3 Depth=1
	v_lshlrev_b64_e32 v[8:9], 3, v[0:1]
	v_lshlrev_b64_e32 v[11:12], 3, v[2:3]
	v_dual_mul_f32 v10, s22, v53 :: v_dual_mul_f32 v55, s22, v51
	v_dual_mul_f32 v13, s23, v53 :: v_dual_mul_f32 v54, s23, v51
	v_mul_f32_e32 v57, s22, v49
	s_wait_alu 0xfffe
	v_add_co_u32 v8, vcc_lo, s18, v8
	s_wait_alu 0xfffd
	v_add_co_ci_u32_e64 v15, null, s19, v9, vcc_lo
	v_dual_mul_f32 v56, s23, v49 :: v_dual_mul_f32 v59, s22, v47
	v_fmac_f32_e32 v10, s23, v52
	v_fma_f32 v9, v52, s22, -v13
	v_add_co_u32 v13, vcc_lo, v8, v11
	v_dual_mul_f32 v58, s23, v47 :: v_dual_fmac_f32 v55, s23, v50
	s_wait_alu 0xfffd
	v_add_co_ci_u32_e64 v14, null, v15, v12, vcc_lo
	v_fma_f32 v54, v50, s22, -v54
	v_fma_f32 v56, v48, s22, -v56
	v_fmac_f32_e32 v57, s23, v48
	v_fma_f32 v58, v46, s22, -v58
	v_fmac_f32_e32 v59, s23, v46
	s_clause 0x3
	global_store_b64 v[13:14], v[9:10], off
	global_store_b64 v[13:14], v[54:55], off offset:128
	global_store_b64 v[13:14], v[56:57], off offset:256
	;; [unrolled: 1-line block ×3, first 2 shown]
	v_mul_f32_e32 v10, s23, v45
	v_dual_mul_f32 v9, s22, v45 :: v_dual_mul_f32 v58, s23, v39
	v_add_co_u32 v60, vcc_lo, v8, s16
	s_delay_alu instid0(VALU_DEP_3) | instskip(NEXT) | instid1(VALU_DEP_3)
	v_fma_f32 v8, v44, s22, -v10
	v_dual_mul_f32 v10, s23, v43 :: v_dual_fmac_f32 v9, s23, v44
	s_wait_alu 0xfffd
	v_add_co_ci_u32_e64 v15, null, s17, v15, vcc_lo
	v_mul_f32_e32 v55, s22, v43
	s_delay_alu instid0(VALU_DEP_3) | instskip(SKIP_4) | instid1(VALU_DEP_3)
	v_fma_f32 v54, v42, s22, -v10
	v_mul_f32_e32 v10, s23, v41
	v_add_co_u32 v13, vcc_lo, v60, v11
	s_wait_alu 0xfffd
	v_add_co_ci_u32_e64 v14, null, v15, v12, vcc_lo
	v_fma_f32 v56, v40, s22, -v10
	v_mul_f32_e32 v10, s23, v37
	v_mul_f32_e32 v57, s22, v41
	v_add_co_u32 v70, vcc_lo, v60, s16
	v_mul_f32_e32 v59, s22, v39
	s_delay_alu instid0(VALU_DEP_4) | instskip(SKIP_4) | instid1(VALU_DEP_3)
	v_fma_f32 v60, v36, s22, -v10
	v_dual_mul_f32 v10, s23, v35 :: v_dual_mul_f32 v61, s22, v37
	s_wait_alu 0xfffd
	v_add_co_ci_u32_e64 v15, null, s17, v15, vcc_lo
	v_dual_fmac_f32 v55, s23, v42 :: v_dual_mul_f32 v68, s23, v31
	v_fma_f32 v64, v34, s22, -v10
	v_dual_mul_f32 v65, s22, v35 :: v_dual_mul_f32 v10, s23, v33
	v_mul_f32_e32 v67, s22, v33
	v_mul_f32_e32 v69, s22, v31
	v_fmac_f32_e32 v57, s23, v40
	v_add_co_u32 v62, vcc_lo, v70, v11
	v_fma_f32 v58, v38, s22, -v58
	v_fmac_f32_e32 v59, s23, v38
	v_fmac_f32_e32 v61, s23, v36
	s_wait_alu 0xfffd
	v_add_co_ci_u32_e64 v63, null, v15, v12, vcc_lo
	v_fmac_f32_e32 v65, s23, v34
	v_fma_f32 v66, v32, s22, -v10
	v_fmac_f32_e32 v67, s23, v32
	v_fma_f32 v68, v30, s22, -v68
	v_fmac_f32_e32 v69, s23, v30
	s_clause 0x7
	global_store_b64 v[13:14], v[8:9], off
	global_store_b64 v[13:14], v[54:55], off offset:128
	global_store_b64 v[13:14], v[56:57], off offset:256
	;; [unrolled: 1-line block ×3, first 2 shown]
	global_store_b64 v[62:63], v[60:61], off
	global_store_b64 v[62:63], v[64:65], off offset:128
	global_store_b64 v[62:63], v[66:67], off offset:256
	;; [unrolled: 1-line block ×3, first 2 shown]
	v_mul_f32_e32 v8, s23, v29
	v_add_co_u32 v9, vcc_lo, v70, s16
	s_wait_alu 0xfffd
	v_add_co_ci_u32_e64 v10, null, s17, v15, vcc_lo
	s_delay_alu instid0(VALU_DEP_3)
	v_fma_f32 v13, v28, s22, -v8
	v_mul_f32_e32 v8, s23, v27
	v_add_co_u32 v11, vcc_lo, v9, v11
	v_mul_f32_e32 v14, s22, v29
	s_wait_alu 0xfffd
	v_add_co_ci_u32_e64 v12, null, v10, v12, vcc_lo
	v_fma_f32 v54, v26, s22, -v8
	v_dual_mul_f32 v8, s23, v25 :: v_dual_mul_f32 v9, s23, v23
	v_mul_f32_e32 v10, s22, v23
	v_mul_f32_e32 v55, s22, v27
	v_mul_f32_e32 v57, s22, v25
	s_delay_alu instid0(VALU_DEP_4)
	v_fma_f32 v56, v24, s22, -v8
	v_add_co_u32 v8, vcc_lo, 0x180, v11
	v_fmac_f32_e32 v14, s23, v28
	v_fma_f32 v15, v22, s22, -v9
	v_fmac_f32_e32 v10, s23, v22
	s_wait_alu 0xfffd
	v_add_co_ci_u32_e64 v9, null, 0, v12, vcc_lo
	v_fmac_f32_e32 v55, s23, v26
	v_fmac_f32_e32 v57, s23, v24
	s_clause 0x3
	global_store_b64 v[11:12], v[13:14], off
	global_store_b64 v[11:12], v[54:55], off offset:128
	global_store_b64 v[11:12], v[56:57], off offset:256
	global_store_b32 v[11:12], v15, off offset:384
	s_cbranch_execnz .LBB97_2
.LBB97_9:                               ;   in Loop: Header=BB97_3 Depth=1
	s_mul_u64 s[24:25], s[8:9], s[2:3]
	v_lshlrev_b64_e32 v[8:9], 3, v[2:3]
	s_wait_alu 0xfffe
	s_lshl_b64 s[24:25], s[24:25], 3
	v_mul_f32_e32 v56, s23, v53
	s_wait_alu 0xfffe
	v_add_co_u32 v54, vcc_lo, v20, s24
	s_wait_alu 0xfffd
	v_add_co_ci_u32_e64 v55, null, s25, v21, vcc_lo
	v_mul_f32_e32 v53, s22, v53
	s_delay_alu instid0(VALU_DEP_3) | instskip(SKIP_1) | instid1(VALU_DEP_3)
	v_add_co_u32 v10, vcc_lo, v54, v8
	s_wait_alu 0xfffd
	v_add_co_ci_u32_e64 v11, null, v55, v9, vcc_lo
	v_lshlrev_b64_e32 v[14:15], 3, v[0:1]
	v_fmac_f32_e32 v53, s23, v52
	v_fma_f32 v56, v52, s22, -v56
	global_load_b64 v[12:13], v[10:11], off
	v_add_co_u32 v58, vcc_lo, s18, v14
	s_wait_alu 0xfffd
	v_add_co_ci_u32_e64 v59, null, s19, v15, vcc_lo
	s_wait_loadcnt 0x0
	v_mul_f32_e32 v57, s34, v13
	s_delay_alu instid0(VALU_DEP_1) | instskip(NEXT) | instid1(VALU_DEP_1)
	v_dual_mul_f32 v52, s35, v13 :: v_dual_fmac_f32 v57, s35, v12
	v_fma_f32 v14, v12, s34, -v52
	v_mul_f32_e32 v52, s23, v51
	v_add_co_u32 v12, vcc_lo, v58, v8
	s_wait_alu 0xfffd
	v_add_co_ci_u32_e64 v13, null, v59, v9, vcc_lo
	v_add_f32_e32 v14, v56, v14
	v_fma_f32 v52, v50, s22, -v52
	v_add_f32_e32 v15, v53, v57
	v_mul_f32_e32 v51, s22, v51
	global_store_b64 v[12:13], v[14:15], off
	global_load_b64 v[14:15], v[10:11], off offset:128
	v_fmac_f32_e32 v51, s23, v50
	s_wait_loadcnt 0x0
	v_mul_f32_e32 v53, s35, v15
	v_mul_f32_e32 v15, s34, v15
	s_delay_alu instid0(VALU_DEP_2) | instskip(NEXT) | instid1(VALU_DEP_2)
	v_fma_f32 v50, v14, s34, -v53
	v_fmac_f32_e32 v15, s35, v14
	s_delay_alu instid0(VALU_DEP_1)
	v_dual_add_f32 v14, v52, v50 :: v_dual_add_f32 v15, v51, v15
	v_mul_f32_e32 v50, s23, v49
	v_mul_f32_e32 v49, s22, v49
	global_store_b64 v[12:13], v[14:15], off offset:128
	global_load_b64 v[14:15], v[10:11], off offset:256
	v_fma_f32 v50, v48, s22, -v50
	v_fmac_f32_e32 v49, s23, v48
	s_wait_loadcnt 0x0
	v_mul_f32_e32 v51, s35, v15
	v_mul_f32_e32 v15, s34, v15
	s_delay_alu instid0(VALU_DEP_2) | instskip(NEXT) | instid1(VALU_DEP_1)
	v_fma_f32 v48, v14, s34, -v51
	v_dual_fmac_f32 v15, s35, v14 :: v_dual_add_f32 v14, v50, v48
	s_delay_alu instid0(VALU_DEP_1) | instskip(SKIP_4) | instid1(VALU_DEP_2)
	v_add_f32_e32 v15, v49, v15
	global_store_b64 v[12:13], v[14:15], off offset:256
	global_load_b64 v[10:11], v[10:11], off offset:384
	v_mul_f32_e32 v14, s23, v47
	v_mul_f32_e32 v15, s22, v47
	v_fma_f32 v14, v46, s22, -v14
	s_delay_alu instid0(VALU_DEP_2) | instskip(SKIP_3) | instid1(VALU_DEP_2)
	v_fmac_f32_e32 v15, s23, v46
	s_wait_loadcnt 0x0
	v_mul_f32_e32 v47, s35, v11
	v_mul_f32_e32 v11, s34, v11
	v_fma_f32 v46, v10, s34, -v47
	v_add_co_u32 v47, vcc_lo, v54, s14
	s_delay_alu instid0(VALU_DEP_3)
	v_fmac_f32_e32 v11, s35, v10
	s_wait_alu 0xfffd
	v_add_co_ci_u32_e64 v48, null, s15, v55, vcc_lo
	v_add_f32_e32 v10, v14, v46
	v_add_co_u32 v14, vcc_lo, v47, v8
	v_add_f32_e32 v11, v15, v11
	s_wait_alu 0xfffd
	v_add_co_ci_u32_e64 v15, null, v48, v9, vcc_lo
	v_add_co_u32 v46, vcc_lo, v58, s16
	global_store_b64 v[12:13], v[10:11], off offset:384
	global_load_b64 v[10:11], v[14:15], off
	v_mul_f32_e32 v12, s23, v45
	v_mul_f32_e32 v13, s22, v45
	s_wait_alu 0xfffd
	v_add_co_ci_u32_e64 v49, null, s17, v59, vcc_lo
	s_delay_alu instid0(VALU_DEP_3) | instskip(SKIP_3) | instid1(VALU_DEP_2)
	v_fma_f32 v12, v44, s22, -v12
	s_wait_loadcnt 0x0
	v_dual_fmac_f32 v13, s23, v44 :: v_dual_mul_f32 v44, s35, v11
	v_mul_f32_e32 v45, s34, v11
	v_fma_f32 v44, v10, s34, -v44
	s_delay_alu instid0(VALU_DEP_2) | instskip(SKIP_3) | instid1(VALU_DEP_3)
	v_fmac_f32_e32 v45, s35, v10
	v_add_co_u32 v10, vcc_lo, v46, v8
	s_wait_alu 0xfffd
	v_add_co_ci_u32_e64 v11, null, v49, v9, vcc_lo
	v_dual_add_f32 v12, v12, v44 :: v_dual_add_f32 v13, v13, v45
	v_mul_f32_e32 v44, s23, v43
	v_mul_f32_e32 v43, s22, v43
	global_store_b64 v[10:11], v[12:13], off
	global_load_b64 v[12:13], v[14:15], off offset:128
	v_fma_f32 v44, v42, s22, -v44
	v_fmac_f32_e32 v43, s23, v42
	s_wait_loadcnt 0x0
	v_mul_f32_e32 v45, s35, v13
	v_mul_f32_e32 v13, s34, v13
	s_delay_alu instid0(VALU_DEP_2) | instskip(NEXT) | instid1(VALU_DEP_1)
	v_fma_f32 v42, v12, s34, -v45
	v_dual_fmac_f32 v13, s35, v12 :: v_dual_add_f32 v12, v44, v42
	s_delay_alu instid0(VALU_DEP_1)
	v_add_f32_e32 v13, v43, v13
	v_mul_f32_e32 v42, s23, v41
	v_mul_f32_e32 v41, s22, v41
	global_store_b64 v[10:11], v[12:13], off offset:128
	global_load_b64 v[12:13], v[14:15], off offset:256
	v_fma_f32 v42, v40, s22, -v42
	v_fmac_f32_e32 v41, s23, v40
	s_wait_loadcnt 0x0
	v_mul_f32_e32 v43, s35, v13
	v_mul_f32_e32 v13, s34, v13
	s_delay_alu instid0(VALU_DEP_2) | instskip(NEXT) | instid1(VALU_DEP_2)
	v_fma_f32 v40, v12, s34, -v43
	v_fmac_f32_e32 v13, s35, v12
	s_delay_alu instid0(VALU_DEP_1) | instskip(SKIP_4) | instid1(VALU_DEP_2)
	v_dual_add_f32 v12, v42, v40 :: v_dual_add_f32 v13, v41, v13
	global_store_b64 v[10:11], v[12:13], off offset:256
	global_load_b64 v[12:13], v[14:15], off offset:384
	v_mul_f32_e32 v14, s23, v39
	v_mul_f32_e32 v15, s22, v39
	v_fma_f32 v14, v38, s22, -v14
	s_delay_alu instid0(VALU_DEP_2) | instskip(SKIP_3) | instid1(VALU_DEP_2)
	v_fmac_f32_e32 v15, s23, v38
	s_wait_loadcnt 0x0
	v_mul_f32_e32 v39, s35, v13
	v_mul_f32_e32 v13, s34, v13
	v_fma_f32 v38, v12, s34, -v39
	v_add_co_u32 v39, vcc_lo, v47, s14
	s_delay_alu instid0(VALU_DEP_3)
	v_fmac_f32_e32 v13, s35, v12
	s_wait_alu 0xfffd
	v_add_co_ci_u32_e64 v40, null, s15, v48, vcc_lo
	v_add_f32_e32 v12, v14, v38
	v_add_co_u32 v14, vcc_lo, v39, v8
	v_add_f32_e32 v13, v15, v13
	s_wait_alu 0xfffd
	v_add_co_ci_u32_e64 v15, null, v40, v9, vcc_lo
	v_add_co_u32 v38, vcc_lo, v46, s16
	global_store_b64 v[10:11], v[12:13], off offset:384
	global_load_b64 v[10:11], v[14:15], off
	v_mul_f32_e32 v12, s23, v37
	v_mul_f32_e32 v13, s22, v37
	s_wait_alu 0xfffd
	v_add_co_ci_u32_e64 v41, null, s17, v49, vcc_lo
	s_delay_alu instid0(VALU_DEP_3) | instskip(SKIP_3) | instid1(VALU_DEP_2)
	v_fma_f32 v12, v36, s22, -v12
	s_wait_loadcnt 0x0
	v_dual_fmac_f32 v13, s23, v36 :: v_dual_mul_f32 v36, s35, v11
	v_mul_f32_e32 v37, s34, v11
	v_fma_f32 v36, v10, s34, -v36
	s_delay_alu instid0(VALU_DEP_2) | instskip(SKIP_3) | instid1(VALU_DEP_3)
	v_fmac_f32_e32 v37, s35, v10
	v_add_co_u32 v10, vcc_lo, v38, v8
	s_wait_alu 0xfffd
	v_add_co_ci_u32_e64 v11, null, v41, v9, vcc_lo
	v_dual_add_f32 v12, v12, v36 :: v_dual_add_f32 v13, v13, v37
	v_mul_f32_e32 v36, s23, v35
	v_mul_f32_e32 v35, s22, v35
	global_store_b64 v[10:11], v[12:13], off
	global_load_b64 v[12:13], v[14:15], off offset:128
	v_fma_f32 v36, v34, s22, -v36
	v_fmac_f32_e32 v35, s23, v34
	s_wait_loadcnt 0x0
	v_mul_f32_e32 v37, s35, v13
	v_mul_f32_e32 v13, s34, v13
	s_delay_alu instid0(VALU_DEP_2) | instskip(NEXT) | instid1(VALU_DEP_1)
	v_fma_f32 v34, v12, s34, -v37
	v_dual_fmac_f32 v13, s35, v12 :: v_dual_add_f32 v12, v36, v34
	s_delay_alu instid0(VALU_DEP_1)
	v_add_f32_e32 v13, v35, v13
	v_mul_f32_e32 v34, s23, v33
	v_mul_f32_e32 v33, s22, v33
	global_store_b64 v[10:11], v[12:13], off offset:128
	global_load_b64 v[12:13], v[14:15], off offset:256
	v_fma_f32 v34, v32, s22, -v34
	v_fmac_f32_e32 v33, s23, v32
	s_wait_loadcnt 0x0
	v_mul_f32_e32 v35, s35, v13
	v_mul_f32_e32 v13, s34, v13
	s_delay_alu instid0(VALU_DEP_2) | instskip(NEXT) | instid1(VALU_DEP_2)
	v_fma_f32 v32, v12, s34, -v35
	v_fmac_f32_e32 v13, s35, v12
	s_delay_alu instid0(VALU_DEP_1) | instskip(SKIP_4) | instid1(VALU_DEP_2)
	v_dual_add_f32 v12, v34, v32 :: v_dual_add_f32 v13, v33, v13
	global_store_b64 v[10:11], v[12:13], off offset:256
	global_load_b64 v[12:13], v[14:15], off offset:384
	v_mul_f32_e32 v14, s23, v31
	v_mul_f32_e32 v15, s22, v31
	v_fma_f32 v14, v30, s22, -v14
	s_delay_alu instid0(VALU_DEP_2) | instskip(SKIP_3) | instid1(VALU_DEP_2)
	v_fmac_f32_e32 v15, s23, v30
	s_wait_loadcnt 0x0
	v_mul_f32_e32 v31, s35, v13
	v_mul_f32_e32 v13, s34, v13
	v_fma_f32 v30, v12, s34, -v31
	v_add_co_u32 v31, vcc_lo, v39, s14
	s_delay_alu instid0(VALU_DEP_3)
	v_fmac_f32_e32 v13, s35, v12
	s_wait_alu 0xfffd
	v_add_co_ci_u32_e64 v32, null, s15, v40, vcc_lo
	v_add_f32_e32 v12, v14, v30
	v_add_co_u32 v14, vcc_lo, v31, v8
	v_add_f32_e32 v13, v15, v13
	s_wait_alu 0xfffd
	v_add_co_ci_u32_e64 v15, null, v32, v9, vcc_lo
	global_store_b64 v[10:11], v[12:13], off offset:384
	global_load_b64 v[10:11], v[14:15], off
	v_mul_f32_e32 v12, s23, v29
	v_mul_f32_e32 v13, s22, v29
	s_delay_alu instid0(VALU_DEP_2) | instskip(SKIP_1) | instid1(VALU_DEP_2)
	v_fma_f32 v29, v28, s22, -v12
	s_wait_loadcnt 0x0
	v_dual_fmac_f32 v13, s23, v28 :: v_dual_mul_f32 v12, s35, v11
	v_mul_f32_e32 v28, s34, v11
	v_add_co_u32 v11, vcc_lo, v38, s16
	s_wait_alu 0xfffd
	v_add_co_ci_u32_e64 v30, null, s17, v41, vcc_lo
	v_fma_f32 v31, v10, s34, -v12
	v_fmac_f32_e32 v28, s35, v10
	v_add_co_u32 v11, vcc_lo, v11, v8
	s_wait_alu 0xfffd
	v_add_co_ci_u32_e64 v12, null, v30, v9, vcc_lo
	v_add_f32_e32 v8, v29, v31
	v_dual_add_f32 v9, v13, v28 :: v_dual_mul_f32 v10, s23, v27
	v_mul_f32_e32 v13, s22, v27
	global_store_b64 v[11:12], v[8:9], off
	global_load_b64 v[8:9], v[14:15], off offset:128
	v_fma_f32 v10, v26, s22, -v10
	v_fmac_f32_e32 v13, s23, v26
	s_wait_loadcnt 0x0
	v_mul_f32_e32 v27, s35, v9
	v_mul_f32_e32 v9, s34, v9
	s_delay_alu instid0(VALU_DEP_2) | instskip(NEXT) | instid1(VALU_DEP_1)
	v_fma_f32 v26, v8, s34, -v27
	v_dual_fmac_f32 v9, s35, v8 :: v_dual_add_f32 v8, v10, v26
	s_delay_alu instid0(VALU_DEP_1)
	v_add_f32_e32 v9, v13, v9
	v_mul_f32_e32 v10, s23, v25
	v_mul_f32_e32 v13, s22, v25
	global_store_b64 v[11:12], v[8:9], off offset:128
	global_load_b64 v[8:9], v[14:15], off offset:256
	v_fma_f32 v10, v24, s22, -v10
	v_fmac_f32_e32 v13, s23, v24
	s_wait_loadcnt 0x0
	v_mul_f32_e32 v25, s35, v9
	v_mul_f32_e32 v9, s34, v9
	s_delay_alu instid0(VALU_DEP_2) | instskip(NEXT) | instid1(VALU_DEP_2)
	v_fma_f32 v24, v8, s34, -v25
	v_fmac_f32_e32 v9, s35, v8
	s_delay_alu instid0(VALU_DEP_1)
	v_dual_add_f32 v8, v10, v24 :: v_dual_add_f32 v9, v13, v9
	v_mul_f32_e32 v10, s23, v23
	v_mul_f32_e32 v13, s22, v23
	global_store_b64 v[11:12], v[8:9], off offset:256
	global_load_b64 v[8:9], v[14:15], off offset:384
	v_fma_f32 v10, v22, s22, -v10
	s_wait_loadcnt 0x0
	v_dual_fmac_f32 v13, s23, v22 :: v_dual_mul_f32 v14, s35, v9
	v_mul_f32_e32 v9, s34, v9
	s_delay_alu instid0(VALU_DEP_2) | instskip(NEXT) | instid1(VALU_DEP_2)
	v_fma_f32 v14, v8, s34, -v14
	v_fmac_f32_e32 v9, s35, v8
	v_add_co_u32 v8, vcc_lo, 0x180, v11
	s_delay_alu instid0(VALU_DEP_3) | instskip(NEXT) | instid1(VALU_DEP_3)
	v_add_f32_e32 v14, v10, v14
	v_add_f32_e32 v10, v13, v9
	s_wait_alu 0xfffd
	v_add_co_ci_u32_e64 v9, null, 0, v12, vcc_lo
	global_store_b32 v[11:12], v14, off offset:384
	s_branch .LBB97_2
.LBB97_10:
	s_nop 0
	s_sendmsg sendmsg(MSG_DEALLOC_VGPRS)
	s_endpgm
	.section	.rodata,"a",@progbits
	.p2align	6, 0x0
	.amdhsa_kernel _ZN12_GLOBAL__N_127rocblas_gemm_batched_kernelI19rocblas_complex_numIfELi16ELi16ELi64ELi64ELi4ELi64ELi4ELi4ELi64ELc84ELc67EKS2_S3_S2_EEvlllT_PT11_llS6_llS4_PT12_llPT13_lli
		.amdhsa_group_segment_fixed_size 4096
		.amdhsa_private_segment_fixed_size 0
		.amdhsa_kernarg_size 140
		.amdhsa_user_sgpr_count 2
		.amdhsa_user_sgpr_dispatch_ptr 0
		.amdhsa_user_sgpr_queue_ptr 0
		.amdhsa_user_sgpr_kernarg_segment_ptr 1
		.amdhsa_user_sgpr_dispatch_id 0
		.amdhsa_user_sgpr_private_segment_size 0
		.amdhsa_wavefront_size32 1
		.amdhsa_uses_dynamic_stack 0
		.amdhsa_enable_private_segment 0
		.amdhsa_system_sgpr_workgroup_id_x 1
		.amdhsa_system_sgpr_workgroup_id_y 1
		.amdhsa_system_sgpr_workgroup_id_z 1
		.amdhsa_system_sgpr_workgroup_info 0
		.amdhsa_system_vgpr_workitem_id 1
		.amdhsa_next_free_vgpr 196
		.amdhsa_next_free_sgpr 39
		.amdhsa_reserve_vcc 1
		.amdhsa_float_round_mode_32 0
		.amdhsa_float_round_mode_16_64 0
		.amdhsa_float_denorm_mode_32 3
		.amdhsa_float_denorm_mode_16_64 3
		.amdhsa_fp16_overflow 0
		.amdhsa_workgroup_processor_mode 1
		.amdhsa_memory_ordered 1
		.amdhsa_forward_progress 1
		.amdhsa_inst_pref_size 44
		.amdhsa_round_robin_scheduling 0
		.amdhsa_exception_fp_ieee_invalid_op 0
		.amdhsa_exception_fp_denorm_src 0
		.amdhsa_exception_fp_ieee_div_zero 0
		.amdhsa_exception_fp_ieee_overflow 0
		.amdhsa_exception_fp_ieee_underflow 0
		.amdhsa_exception_fp_ieee_inexact 0
		.amdhsa_exception_int_div_zero 0
	.end_amdhsa_kernel
	.section	.text._ZN12_GLOBAL__N_127rocblas_gemm_batched_kernelI19rocblas_complex_numIfELi16ELi16ELi64ELi64ELi4ELi64ELi4ELi4ELi64ELc84ELc67EKS2_S3_S2_EEvlllT_PT11_llS6_llS4_PT12_llPT13_lli,"axG",@progbits,_ZN12_GLOBAL__N_127rocblas_gemm_batched_kernelI19rocblas_complex_numIfELi16ELi16ELi64ELi64ELi4ELi64ELi4ELi4ELi64ELc84ELc67EKS2_S3_S2_EEvlllT_PT11_llS6_llS4_PT12_llPT13_lli,comdat
.Lfunc_end97:
	.size	_ZN12_GLOBAL__N_127rocblas_gemm_batched_kernelI19rocblas_complex_numIfELi16ELi16ELi64ELi64ELi4ELi64ELi4ELi4ELi64ELc84ELc67EKS2_S3_S2_EEvlllT_PT11_llS6_llS4_PT12_llPT13_lli, .Lfunc_end97-_ZN12_GLOBAL__N_127rocblas_gemm_batched_kernelI19rocblas_complex_numIfELi16ELi16ELi64ELi64ELi4ELi64ELi4ELi4ELi64ELc84ELc67EKS2_S3_S2_EEvlllT_PT11_llS6_llS4_PT12_llPT13_lli
                                        ; -- End function
	.set _ZN12_GLOBAL__N_127rocblas_gemm_batched_kernelI19rocblas_complex_numIfELi16ELi16ELi64ELi64ELi4ELi64ELi4ELi4ELi64ELc84ELc67EKS2_S3_S2_EEvlllT_PT11_llS6_llS4_PT12_llPT13_lli.num_vgpr, 196
	.set _ZN12_GLOBAL__N_127rocblas_gemm_batched_kernelI19rocblas_complex_numIfELi16ELi16ELi64ELi64ELi4ELi64ELi4ELi4ELi64ELc84ELc67EKS2_S3_S2_EEvlllT_PT11_llS6_llS4_PT12_llPT13_lli.num_agpr, 0
	.set _ZN12_GLOBAL__N_127rocblas_gemm_batched_kernelI19rocblas_complex_numIfELi16ELi16ELi64ELi64ELi4ELi64ELi4ELi4ELi64ELc84ELc67EKS2_S3_S2_EEvlllT_PT11_llS6_llS4_PT12_llPT13_lli.numbered_sgpr, 39
	.set _ZN12_GLOBAL__N_127rocblas_gemm_batched_kernelI19rocblas_complex_numIfELi16ELi16ELi64ELi64ELi4ELi64ELi4ELi4ELi64ELc84ELc67EKS2_S3_S2_EEvlllT_PT11_llS6_llS4_PT12_llPT13_lli.num_named_barrier, 0
	.set _ZN12_GLOBAL__N_127rocblas_gemm_batched_kernelI19rocblas_complex_numIfELi16ELi16ELi64ELi64ELi4ELi64ELi4ELi4ELi64ELc84ELc67EKS2_S3_S2_EEvlllT_PT11_llS6_llS4_PT12_llPT13_lli.private_seg_size, 0
	.set _ZN12_GLOBAL__N_127rocblas_gemm_batched_kernelI19rocblas_complex_numIfELi16ELi16ELi64ELi64ELi4ELi64ELi4ELi4ELi64ELc84ELc67EKS2_S3_S2_EEvlllT_PT11_llS6_llS4_PT12_llPT13_lli.uses_vcc, 1
	.set _ZN12_GLOBAL__N_127rocblas_gemm_batched_kernelI19rocblas_complex_numIfELi16ELi16ELi64ELi64ELi4ELi64ELi4ELi4ELi64ELc84ELc67EKS2_S3_S2_EEvlllT_PT11_llS6_llS4_PT12_llPT13_lli.uses_flat_scratch, 0
	.set _ZN12_GLOBAL__N_127rocblas_gemm_batched_kernelI19rocblas_complex_numIfELi16ELi16ELi64ELi64ELi4ELi64ELi4ELi4ELi64ELc84ELc67EKS2_S3_S2_EEvlllT_PT11_llS6_llS4_PT12_llPT13_lli.has_dyn_sized_stack, 0
	.set _ZN12_GLOBAL__N_127rocblas_gemm_batched_kernelI19rocblas_complex_numIfELi16ELi16ELi64ELi64ELi4ELi64ELi4ELi4ELi64ELc84ELc67EKS2_S3_S2_EEvlllT_PT11_llS6_llS4_PT12_llPT13_lli.has_recursion, 0
	.set _ZN12_GLOBAL__N_127rocblas_gemm_batched_kernelI19rocblas_complex_numIfELi16ELi16ELi64ELi64ELi4ELi64ELi4ELi4ELi64ELc84ELc67EKS2_S3_S2_EEvlllT_PT11_llS6_llS4_PT12_llPT13_lli.has_indirect_call, 0
	.section	.AMDGPU.csdata,"",@progbits
; Kernel info:
; codeLenInByte = 5532
; TotalNumSgprs: 41
; NumVgprs: 196
; ScratchSize: 0
; MemoryBound: 0
; FloatMode: 240
; IeeeMode: 1
; LDSByteSize: 4096 bytes/workgroup (compile time only)
; SGPRBlocks: 0
; VGPRBlocks: 24
; NumSGPRsForWavesPerEU: 41
; NumVGPRsForWavesPerEU: 196
; Occupancy: 7
; WaveLimiterHint : 1
; COMPUTE_PGM_RSRC2:SCRATCH_EN: 0
; COMPUTE_PGM_RSRC2:USER_SGPR: 2
; COMPUTE_PGM_RSRC2:TRAP_HANDLER: 0
; COMPUTE_PGM_RSRC2:TGID_X_EN: 1
; COMPUTE_PGM_RSRC2:TGID_Y_EN: 1
; COMPUTE_PGM_RSRC2:TGID_Z_EN: 1
; COMPUTE_PGM_RSRC2:TIDIG_COMP_CNT: 1
	.section	.text._ZN12_GLOBAL__N_127rocblas_gemm_batched_kernelI19rocblas_complex_numIfELi16ELi16ELi32ELi32ELi8ELi32ELi8ELi8ELi32ELc78ELc78EKS2_S3_S2_EEvlllT_PT11_llS6_llS4_PT12_llPT13_lli,"axG",@progbits,_ZN12_GLOBAL__N_127rocblas_gemm_batched_kernelI19rocblas_complex_numIfELi16ELi16ELi32ELi32ELi8ELi32ELi8ELi8ELi32ELc78ELc78EKS2_S3_S2_EEvlllT_PT11_llS6_llS4_PT12_llPT13_lli,comdat
	.globl	_ZN12_GLOBAL__N_127rocblas_gemm_batched_kernelI19rocblas_complex_numIfELi16ELi16ELi32ELi32ELi8ELi32ELi8ELi8ELi32ELc78ELc78EKS2_S3_S2_EEvlllT_PT11_llS6_llS4_PT12_llPT13_lli ; -- Begin function _ZN12_GLOBAL__N_127rocblas_gemm_batched_kernelI19rocblas_complex_numIfELi16ELi16ELi32ELi32ELi8ELi32ELi8ELi8ELi32ELc78ELc78EKS2_S3_S2_EEvlllT_PT11_llS6_llS4_PT12_llPT13_lli
	.p2align	8
	.type	_ZN12_GLOBAL__N_127rocblas_gemm_batched_kernelI19rocblas_complex_numIfELi16ELi16ELi32ELi32ELi8ELi32ELi8ELi8ELi32ELc78ELc78EKS2_S3_S2_EEvlllT_PT11_llS6_llS4_PT12_llPT13_lli,@function
_ZN12_GLOBAL__N_127rocblas_gemm_batched_kernelI19rocblas_complex_numIfELi16ELi16ELi32ELi32ELi8ELi32ELi8ELi8ELi32ELc78ELc78EKS2_S3_S2_EEvlllT_PT11_llS6_llS4_PT12_llPT13_lli: ; @_ZN12_GLOBAL__N_127rocblas_gemm_batched_kernelI19rocblas_complex_numIfELi16ELi16ELi32ELi32ELi8ELi32ELi8ELi8ELi32ELc78ELc78EKS2_S3_S2_EEvlllT_PT11_llS6_llS4_PT12_llPT13_lli
; %bb.0:
	s_load_b32 s33, s[0:1], 0x88
	s_lshr_b32 s28, ttmp7, 16
	s_wait_kmcnt 0x0
	s_cmp_ge_i32 s28, s33
	s_cbranch_scc1 .LBB98_10
; %bb.1:
	s_clause 0x5
	s_load_b128 s[20:23], s[0:1], 0x10
	s_load_b256 s[12:19], s[0:1], 0x20
	s_load_b256 s[4:11], s[0:1], 0x58
	s_load_b128 s[24:27], s[0:1], 0x40
	s_load_b64 s[30:31], s[0:1], 0x50
	s_load_b128 s[0:3], s[0:1], 0x78
	v_and_b32_e32 v9, 0x3ff, v0
	v_bfe_u32 v2, v0, 10, 10
	s_lshl_b32 s29, ttmp7, 5
	v_lshlrev_b32_e32 v0, 3, v0
	s_and_b32 s29, s29, 0x1fffe0
	s_mov_b32 s34, ttmp9
	v_lshl_add_u32 v1, v2, 4, v9
	v_add_nc_u32_e32 v18, s29, v2
	s_ashr_i32 s35, ttmp9, 31
	v_lshl_add_u32 v15, v2, 6, 0x800
	s_lshl_b64 s[34:35], s[34:35], 5
	v_and_b32_e32 v11, 31, v1
	v_lshrrev_b32_e32 v16, 5, v1
	v_lshrrev_b32_e32 v1, 3, v1
	s_delay_alu instid0(VALU_DEP_1)
	v_add_nc_u32_e32 v19, s29, v1
	s_wait_kmcnt 0x0
	v_mad_co_u64_u32 v[4:5], null, v18, s0, 0
	v_and_b32_e32 v20, 56, v0
	v_lshlrev_b32_e32 v0, 3, v11
	s_or_b32 s29, s30, s31
	s_wait_alu 0xfffe
	s_and_b32 s36, s29, 0x7fffffff
	v_lshl_or_b32 v3, v1, 6, v20
	v_lshl_or_b32 v12, v16, 8, v0
	v_mad_co_u64_u32 v[0:1], null, v18, s6, 0
	s_cmp_eq_u32 s36, 0
	v_add_nc_u32_e32 v13, 0x800, v3
	v_mad_co_u64_u32 v[2:3], null, s14, v16, s[34:35]
	s_cselect_b32 s36, -1, 0
	s_mov_b32 s29, 0
	v_mad_co_u64_u32 v[6:7], null, v18, s7, v[1:2]
	v_mad_co_u64_u32 v[7:8], null, s24, v19, 0
	v_mov_b32_e32 v1, v3
	v_mov_b32_e32 v3, v5
	s_delay_alu instid0(VALU_DEP_2) | instskip(NEXT) | instid1(VALU_DEP_4)
	v_mad_co_u64_u32 v[16:17], null, s15, v16, v[1:2]
	v_mov_b32_e32 v5, v8
	v_mov_b32_e32 v1, v6
	s_delay_alu instid0(VALU_DEP_4) | instskip(SKIP_1) | instid1(VALU_DEP_4)
	v_mad_co_u64_u32 v[17:18], null, v18, s1, v[3:4]
	v_add_co_u32 v2, vcc_lo, v2, v11
	v_mad_co_u64_u32 v[18:19], null, s25, v19, v[5:6]
	v_add_co_ci_u32_e64 v3, null, 0, v16, vcc_lo
	v_lshlrev_b64_e32 v[0:1], 3, v[0:1]
	v_mov_b32_e32 v5, v17
	s_delay_alu instid0(VALU_DEP_3)
	v_lshlrev_b64_e32 v[2:3], 3, v[2:3]
	v_mov_b32_e32 v8, v18
	v_lshlrev_b32_e32 v14, 3, v9
	v_add_co_u32 v9, s24, s34, v9
	s_wait_alu 0xf1ff
	v_add_co_ci_u32_e64 v10, null, s35, 0, s24
	v_lshlrev_b64_e32 v[6:7], 3, v[7:8]
	s_lshl_b64 s[24:25], s[0:1], 4
	v_cmp_gt_i64_e64 s0, s[20:21], 0
	v_add_co_u32 v16, vcc_lo, s4, v0
	s_wait_alu 0xfffd
	v_add_co_ci_u32_e64 v17, null, s5, v1, vcc_lo
	v_add_co_u32 v0, vcc_lo, s12, v2
	s_wait_alu 0xfffd
	v_add_co_ci_u32_e64 v1, null, s13, v3, vcc_lo
	v_add_co_u32 v2, vcc_lo, v6, v20
	s_wait_alu 0xf1ff
	v_cndmask_b32_e64 v6, 0, 1, s0
	s_wait_alu 0xfffd
	v_add_co_ci_u32_e64 v3, null, 0, v7, vcc_lo
	v_cndmask_b32_e64 v8, 0, 1, s36
	v_add_co_u32 v2, vcc_lo, s18, v2
	v_cmp_ne_u32_e64 s0, 1, v6
	v_lshlrev_b64_e32 v[4:5], 3, v[4:5]
	v_lshlrev_b64_e32 v[6:7], 3, v[9:10]
	s_wait_alu 0xfffd
	v_add_co_ci_u32_e64 v3, null, s19, v3, vcc_lo
	v_cmp_ne_u32_e64 s1, 1, v8
	s_lshl_b64 s[34:35], s[6:7], 4
	s_lshl_b64 s[4:5], s[16:17], 3
	;; [unrolled: 1-line block ×4, first 2 shown]
	s_wait_alu 0xfffe
	s_lshl_b64 s[14:15], s[34:35], 3
	s_lshl_b64 s[16:17], s[24:25], 3
	s_branch .LBB98_3
.LBB98_2:                               ;   in Loop: Header=BB98_3 Depth=1
	s_add_co_i32 s28, s28, 0x10000
	global_store_b32 v[8:9], v10, off offset:4
	s_wait_alu 0xfffe
	s_cmp_lt_i32 s28, s33
	s_cbranch_scc0 .LBB98_10
.LBB98_3:                               ; =>This Loop Header: Depth=1
                                        ;     Child Loop BB98_5 Depth 2
	v_dual_mov_b32 v24, 0 :: v_dual_mov_b32 v25, 0
	v_dual_mov_b32 v22, 0 :: v_dual_mov_b32 v23, 0
	;; [unrolled: 1-line block ×4, first 2 shown]
	s_and_b32 vcc_lo, exec_lo, s0
	s_wait_alu 0xfffe
	s_cbranch_vccnz .LBB98_6
; %bb.4:                                ;   in Loop: Header=BB98_3 Depth=1
	v_mad_co_u64_u32 v[8:9], null, s4, s28, v[0:1]
	v_mad_co_u64_u32 v[10:11], null, s12, s28, v[2:3]
	v_dual_mov_b32 v18, 0 :: v_dual_mov_b32 v19, 0
	v_dual_mov_b32 v21, 0 :: v_dual_mov_b32 v20, 0
	;; [unrolled: 1-line block ×3, first 2 shown]
	s_delay_alu instid0(VALU_DEP_4) | instskip(SKIP_3) | instid1(VALU_DEP_3)
	v_mad_co_u64_u32 v[24:25], null, s5, s28, v[9:10]
	v_mad_co_u64_u32 v[26:27], null, s13, s28, v[11:12]
	v_mov_b32_e32 v25, 0
	s_mov_b64 s[18:19], 0
	v_dual_mov_b32 v9, v24 :: v_dual_mov_b32 v24, 0
	s_delay_alu instid0(VALU_DEP_3)
	v_mov_b32_e32 v11, v26
.LBB98_5:                               ;   Parent Loop BB98_3 Depth=1
                                        ; =>  This Inner Loop Header: Depth=2
	global_load_b64 v[26:27], v[8:9], off
	global_load_b64 v[28:29], v[10:11], off
	s_wait_alu 0xfffe
	s_add_nc_u64 s[18:19], s[18:19], 8
	v_add_co_u32 v8, vcc_lo, v8, s6
	s_wait_alu 0xfffe
	v_cmp_lt_i64_e64 s24, s[18:19], s[20:21]
	s_wait_alu 0xfffd
	v_add_co_ci_u32_e64 v9, null, s7, v9, vcc_lo
	v_add_co_u32 v10, vcc_lo, v10, 64
	s_wait_alu 0xfffd
	v_add_co_ci_u32_e64 v11, null, 0, v11, vcc_lo
	s_and_b32 vcc_lo, exec_lo, s24
	s_wait_loadcnt 0x1
	ds_store_b64 v12, v[26:27]
	s_wait_loadcnt 0x0
	ds_store_b64 v13, v[28:29]
	s_wait_dscnt 0x0
	s_barrier_signal -1
	s_barrier_wait -1
	global_inv scope:SCOPE_SE
	ds_load_2addr_b64 v[26:29], v14 offset1:16
	ds_load_b128 v[30:33], v15
	ds_load_b128 v[34:37], v15 offset:1024
	ds_load_2addr_b64 v[38:41], v14 offset0:32 offset1:48
	ds_load_b128 v[42:45], v15 offset:16
	ds_load_b128 v[46:49], v15 offset:32
	ds_load_b128 v[50:53], v15 offset:48
	ds_load_2addr_b64 v[54:57], v14 offset0:64 offset1:80
	ds_load_b128 v[58:61], v15 offset:1040
	ds_load_2addr_b64 v[62:65], v14 offset0:96 offset1:112
	ds_load_2addr_b64 v[66:69], v14 offset0:128 offset1:144
	;; [unrolled: 1-line block ×4, first 2 shown]
	ds_load_b128 v[78:81], v15 offset:1056
	ds_load_b128 v[82:85], v15 offset:1072
	ds_load_2addr_b64 v[86:89], v14 offset0:224 offset1:240
	s_wait_loadcnt_dscnt 0x0
	s_barrier_signal -1
	s_barrier_wait -1
	global_inv scope:SCOPE_SE
	v_dual_mul_f32 v90, v31, v27 :: v_dual_mul_f32 v93, v30, v29
	v_dual_mul_f32 v91, v30, v27 :: v_dual_mul_f32 v92, v31, v29
	v_mul_f32_e32 v94, v35, v27
	v_dual_mul_f32 v27, v34, v27 :: v_dual_mul_f32 v98, v33, v41
	v_dual_mul_f32 v95, v35, v29 :: v_dual_mul_f32 v96, v33, v39
	v_mul_f32_e32 v29, v34, v29
	v_mul_f32_e32 v97, v32, v39
	;; [unrolled: 1-line block ×3, first 2 shown]
	v_fma_f32 v90, v30, v26, -v90
	v_fmac_f32_e32 v91, v31, v26
	v_fma_f32 v30, v30, v28, -v92
	v_dual_fmac_f32 v93, v31, v28 :: v_dual_mul_f32 v92, v42, v55
	v_fma_f32 v31, v34, v26, -v94
	v_fmac_f32_e32 v27, v35, v26
	v_fma_f32 v26, v34, v28, -v95
	v_dual_mul_f32 v34, v36, v39 :: v_dual_fmac_f32 v29, v35, v28
	v_mul_f32_e32 v28, v37, v39
	v_mul_f32_e32 v35, v37, v41
	v_dual_mul_f32 v39, v36, v41 :: v_dual_fmac_f32 v92, v43, v54
	v_fma_f32 v41, v32, v38, -v96
	v_fma_f32 v32, v32, v40, -v98
	v_dual_fmac_f32 v99, v33, v40 :: v_dual_mul_f32 v98, v44, v65
	v_dual_mul_f32 v94, v43, v57 :: v_dual_fmac_f32 v97, v33, v38
	v_dual_mul_f32 v33, v43, v55 :: v_dual_mul_f32 v96, v45, v65
	v_fma_f32 v28, v36, v38, -v28
	v_fmac_f32_e32 v34, v37, v38
	v_fma_f32 v35, v36, v40, -v35
	v_dual_fmac_f32 v39, v37, v40 :: v_dual_mul_f32 v36, v59, v55
	v_dual_mul_f32 v37, v58, v55 :: v_dual_mul_f32 v38, v59, v57
	v_mul_f32_e32 v40, v58, v57
	v_mul_f32_e32 v95, v42, v57
	;; [unrolled: 1-line block ×3, first 2 shown]
	v_dual_mul_f32 v57, v44, v63 :: v_dual_fmac_f32 v98, v45, v64
	v_fma_f32 v33, v42, v54, -v33
	v_fma_f32 v42, v42, v56, -v94
	v_fma_f32 v36, v58, v54, -v36
	v_fma_f32 v38, v58, v56, -v38
	v_fmac_f32_e32 v40, v59, v56
	v_fmac_f32_e32 v95, v43, v56
	v_mul_f32_e32 v43, v61, v63
	v_mul_f32_e32 v56, v61, v65
	v_dual_mul_f32 v58, v60, v65 :: v_dual_fmac_f32 v37, v59, v54
	v_mul_f32_e32 v54, v60, v63
	v_fma_f32 v55, v44, v62, -v55
	v_fmac_f32_e32 v57, v45, v62
	v_fma_f32 v44, v44, v64, -v96
	v_mul_f32_e32 v45, v47, v67
	v_dual_mul_f32 v59, v46, v67 :: v_dual_mul_f32 v94, v49, v73
	v_mul_f32_e32 v63, v47, v69
	v_fma_f32 v43, v60, v62, -v43
	v_fmac_f32_e32 v54, v61, v62
	v_fma_f32 v56, v60, v64, -v56
	v_fmac_f32_e32 v58, v61, v64
	v_mul_f32_e32 v60, v79, v67
	v_dual_mul_f32 v61, v78, v67 :: v_dual_mul_f32 v96, v48, v73
	v_mul_f32_e32 v62, v79, v69
	v_mul_f32_e32 v64, v78, v69
	;; [unrolled: 1-line block ×5, first 2 shown]
	v_fma_f32 v45, v46, v66, -v45
	v_dual_fmac_f32 v59, v47, v66 :: v_dual_fmac_f32 v96, v49, v72
	v_fmac_f32_e32 v64, v79, v68
	v_fmac_f32_e32 v65, v47, v68
	v_fma_f32 v47, v78, v66, -v60
	v_fma_f32 v60, v78, v68, -v62
	v_mul_f32_e32 v62, v81, v71
	v_fma_f32 v46, v46, v68, -v63
	v_dual_mul_f32 v68, v80, v73 :: v_dual_fmac_f32 v61, v79, v66
	v_mul_f32_e32 v66, v81, v73
	v_dual_mul_f32 v78, v50, v77 :: v_dual_mul_f32 v63, v80, v71
	v_fma_f32 v67, v48, v70, -v67
	v_fmac_f32_e32 v69, v49, v70
	v_fma_f32 v48, v48, v72, -v94
	v_dual_mul_f32 v49, v51, v75 :: v_dual_mul_f32 v94, v52, v89
	v_mul_f32_e32 v73, v51, v77
	v_fma_f32 v62, v80, v70, -v62
	v_fma_f32 v66, v80, v72, -v66
	v_fmac_f32_e32 v68, v81, v72
	v_mul_f32_e32 v72, v82, v75
	v_mul_f32_e32 v71, v50, v75
	;; [unrolled: 1-line block ×3, first 2 shown]
	v_dual_fmac_f32 v78, v51, v76 :: v_dual_fmac_f32 v63, v81, v70
	v_mul_f32_e32 v70, v83, v75
	v_mul_f32_e32 v75, v83, v77
	s_delay_alu instid0(VALU_DEP_4)
	v_dual_mul_f32 v77, v82, v77 :: v_dual_fmac_f32 v80, v53, v86
	v_mul_f32_e32 v79, v53, v87
	v_fma_f32 v49, v50, v74, -v49
	v_fma_f32 v50, v50, v76, -v73
	v_fmac_f32_e32 v72, v83, v74
	v_dual_fmac_f32 v71, v51, v74 :: v_dual_fmac_f32 v94, v53, v88
	v_fma_f32 v51, v82, v74, -v70
	v_mul_f32_e32 v74, v84, v87
	v_fma_f32 v70, v82, v76, -v75
	v_dual_fmac_f32 v77, v83, v76 :: v_dual_mul_f32 v76, v84, v89
	v_dual_mul_f32 v81, v53, v89 :: v_dual_add_f32 v24, v24, v90
	v_dual_mul_f32 v73, v85, v87 :: v_dual_add_f32 v22, v22, v30
	;; [unrolled: 1-line block ×3, first 2 shown]
	s_delay_alu instid0(VALU_DEP_4) | instskip(SKIP_3) | instid1(VALU_DEP_3)
	v_dual_fmac_f32 v76, v85, v88 :: v_dual_add_f32 v23, v23, v93
	v_dual_add_f32 v25, v25, v91 :: v_dual_add_f32 v18, v18, v29
	v_dual_add_f32 v21, v21, v27 :: v_dual_add_f32 v24, v24, v41
	;; [unrolled: 1-line block ×4, first 2 shown]
	s_delay_alu instid0(VALU_DEP_3) | instskip(NEXT) | instid1(VALU_DEP_4)
	v_dual_add_f32 v23, v23, v99 :: v_dual_add_f32 v24, v24, v33
	v_dual_add_f32 v21, v21, v34 :: v_dual_add_f32 v18, v18, v39
	s_delay_alu instid0(VALU_DEP_4) | instskip(NEXT) | instid1(VALU_DEP_3)
	v_dual_add_f32 v19, v19, v35 :: v_dual_add_f32 v22, v22, v42
	v_dual_add_f32 v25, v25, v92 :: v_dual_add_f32 v24, v24, v55
	s_delay_alu instid0(VALU_DEP_4) | instskip(NEXT) | instid1(VALU_DEP_4)
	v_dual_add_f32 v23, v23, v95 :: v_dual_add_f32 v20, v20, v36
	v_dual_add_f32 v21, v21, v37 :: v_dual_add_f32 v18, v18, v40
	s_delay_alu instid0(VALU_DEP_4) | instskip(NEXT) | instid1(VALU_DEP_3)
	v_dual_add_f32 v19, v19, v38 :: v_dual_add_f32 v22, v22, v44
	v_dual_add_f32 v25, v25, v57 :: v_dual_add_f32 v20, v20, v43
	s_delay_alu instid0(VALU_DEP_4) | instskip(NEXT) | instid1(VALU_DEP_4)
	v_dual_add_f32 v23, v23, v98 :: v_dual_add_f32 v24, v24, v45
	v_add_f32_e32 v21, v21, v54
	s_delay_alu instid0(VALU_DEP_4) | instskip(NEXT) | instid1(VALU_DEP_4)
	v_dual_add_f32 v19, v19, v56 :: v_dual_add_f32 v18, v18, v58
	v_dual_add_f32 v25, v25, v59 :: v_dual_add_f32 v22, v22, v46
	s_delay_alu instid0(VALU_DEP_4) | instskip(NEXT) | instid1(VALU_DEP_4)
	v_dual_add_f32 v23, v23, v65 :: v_dual_add_f32 v20, v20, v47
	v_dual_add_f32 v21, v21, v61 :: v_dual_add_f32 v24, v24, v67
	s_delay_alu instid0(VALU_DEP_4) | instskip(NEXT) | instid1(VALU_DEP_4)
	v_add_f32_e32 v19, v19, v60
	v_dual_add_f32 v18, v18, v64 :: v_dual_add_f32 v25, v25, v69
	v_add_f32_e32 v22, v22, v48
	s_delay_alu instid0(VALU_DEP_4) | instskip(SKIP_1) | instid1(VALU_DEP_4)
	v_dual_add_f32 v23, v23, v96 :: v_dual_add_f32 v24, v24, v49
	v_dual_add_f32 v20, v20, v62 :: v_dual_add_f32 v21, v21, v63
	;; [unrolled: 1-line block ×3, first 2 shown]
	v_fma_f32 v79, v52, v86, -v79
	v_fma_f32 v52, v52, v88, -v81
	;; [unrolled: 1-line block ×3, first 2 shown]
	v_fmac_f32_e32 v74, v85, v86
	v_fma_f32 v73, v84, v88, -v75
	v_dual_add_f32 v25, v25, v71 :: v_dual_add_f32 v22, v22, v50
	v_dual_add_f32 v23, v23, v78 :: v_dual_add_f32 v18, v18, v77
	;; [unrolled: 1-line block ×4, first 2 shown]
	s_delay_alu instid0(VALU_DEP_4) | instskip(NEXT) | instid1(VALU_DEP_3)
	v_add_f32_e32 v22, v22, v52
	v_dual_add_f32 v25, v25, v80 :: v_dual_add_f32 v20, v20, v53
	v_dual_add_f32 v23, v23, v94 :: v_dual_add_f32 v18, v18, v76
	v_add_f32_e32 v21, v21, v74
	v_add_f32_e32 v19, v19, v73
	s_wait_alu 0xfffe
	s_cbranch_vccnz .LBB98_5
.LBB98_6:                               ;   in Loop: Header=BB98_3 Depth=1
	s_mul_u64 s[18:19], s[2:3], s[28:29]
	s_and_b32 vcc_lo, exec_lo, s1
	s_wait_alu 0xfffe
	s_lshl_b64 s[18:19], s[18:19], 3
	s_mov_b32 s24, -1
	s_wait_alu 0xfffe
	s_add_nc_u64 s[18:19], s[10:11], s[18:19]
                                        ; implicit-def: $vgpr10
                                        ; implicit-def: $vgpr8_vgpr9
	s_cbranch_vccz .LBB98_8
; %bb.7:                                ;   in Loop: Header=BB98_3 Depth=1
	s_and_not1_b32 vcc_lo, exec_lo, s24
	s_wait_alu 0xfffe
	s_cbranch_vccnz .LBB98_2
	s_branch .LBB98_9
.LBB98_8:                               ;   in Loop: Header=BB98_3 Depth=1
	v_mul_f32_e32 v27, s22, v25
	v_mul_f32_e32 v8, s23, v25
	s_wait_alu 0xfffe
	v_add_co_u32 v9, vcc_lo, s18, v4
	s_wait_alu 0xfffd
	v_add_co_ci_u32_e64 v10, null, s19, v5, vcc_lo
	v_fmac_f32_e32 v27, s23, v24
	v_fma_f32 v26, v24, s22, -v8
	v_mul_f32_e32 v8, s23, v23
	v_add_co_u32 v30, vcc_lo, v9, v6
	v_mul_f32_e32 v29, s22, v23
	s_wait_alu 0xfffd
	v_add_co_ci_u32_e64 v31, null, v10, v7, vcc_lo
	v_fma_f32 v28, v22, s22, -v8
	v_mul_f32_e32 v8, s23, v21
	v_add_co_u32 v9, vcc_lo, v9, s16
	v_mul_f32_e32 v33, s22, v21
	s_wait_alu 0xfffd
	v_add_co_ci_u32_e64 v11, null, s17, v10, vcc_lo
	v_fma_f32 v32, v20, s22, -v8
	v_mul_f32_e32 v8, s23, v18
	v_add_co_u32 v34, vcc_lo, v9, v6
	v_dual_fmac_f32 v33, s23, v20 :: v_dual_mul_f32 v10, s22, v18
	s_wait_alu 0xfffd
	v_add_co_ci_u32_e64 v35, null, v11, v7, vcc_lo
	v_fma_f32 v11, v19, s22, -v8
	v_add_co_u32 v8, vcc_lo, 0x80, v34
	v_dual_fmac_f32 v29, s23, v22 :: v_dual_fmac_f32 v10, s23, v19
	s_wait_alu 0xfffd
	v_add_co_ci_u32_e64 v9, null, 0, v35, vcc_lo
	s_clause 0x3
	global_store_b64 v[30:31], v[26:27], off
	global_store_b64 v[30:31], v[28:29], off offset:128
	global_store_b64 v[34:35], v[32:33], off
	global_store_b32 v[34:35], v11, off offset:128
	s_cbranch_execnz .LBB98_2
.LBB98_9:                               ;   in Loop: Header=BB98_3 Depth=1
	s_mul_u64 s[24:25], s[8:9], s[28:29]
	s_wait_alu 0xfffe
	s_lshl_b64 s[24:25], s[24:25], 3
	s_wait_alu 0xfffe
	v_add_co_u32 v26, vcc_lo, v16, s24
	s_wait_alu 0xfffd
	v_add_co_ci_u32_e64 v27, null, s25, v17, vcc_lo
	s_delay_alu instid0(VALU_DEP_2) | instskip(SKIP_1) | instid1(VALU_DEP_2)
	v_add_co_u32 v8, vcc_lo, v26, v6
	s_wait_alu 0xfffd
	v_add_co_ci_u32_e64 v9, null, v27, v7, vcc_lo
	v_add_co_u32 v31, vcc_lo, s18, v4
	s_wait_alu 0xfffd
	v_add_co_ci_u32_e64 v32, null, s19, v5, vcc_lo
	global_load_b64 v[10:11], v[8:9], off
	v_mul_f32_e32 v28, s23, v25
	s_wait_loadcnt 0x0
	v_dual_mul_f32 v25, s22, v25 :: v_dual_mul_f32 v30, s30, v11
	v_mul_f32_e32 v29, s31, v11
	s_delay_alu instid0(VALU_DEP_3) | instskip(NEXT) | instid1(VALU_DEP_3)
	v_fma_f32 v28, v24, s22, -v28
	v_dual_fmac_f32 v25, s23, v24 :: v_dual_fmac_f32 v30, s31, v10
	s_delay_alu instid0(VALU_DEP_3) | instskip(SKIP_3) | instid1(VALU_DEP_3)
	v_fma_f32 v24, v10, s30, -v29
	v_add_co_u32 v10, vcc_lo, v31, v6
	s_wait_alu 0xfffd
	v_add_co_ci_u32_e64 v11, null, v32, v7, vcc_lo
	v_dual_add_f32 v24, v28, v24 :: v_dual_add_f32 v25, v25, v30
	global_store_b64 v[10:11], v[24:25], off
	global_load_b64 v[8:9], v[8:9], off offset:128
	s_wait_loadcnt 0x0
	v_dual_mul_f32 v24, s23, v23 :: v_dual_mul_f32 v25, s31, v9
	s_delay_alu instid0(VALU_DEP_1) | instskip(SKIP_2) | instid1(VALU_DEP_2)
	v_fma_f32 v24, v22, s22, -v24
	v_mul_f32_e32 v23, s22, v23
	v_mul_f32_e32 v9, s30, v9
	v_fmac_f32_e32 v23, s23, v22
	v_fma_f32 v22, v8, s30, -v25
	v_add_co_u32 v25, vcc_lo, v26, s14
	s_delay_alu instid0(VALU_DEP_4)
	v_fmac_f32_e32 v9, s31, v8
	s_wait_alu 0xfffd
	v_add_co_ci_u32_e64 v26, null, s15, v27, vcc_lo
	v_add_f32_e32 v8, v24, v22
	v_add_co_u32 v22, vcc_lo, v25, v6
	v_add_f32_e32 v9, v23, v9
	s_wait_alu 0xfffd
	v_add_co_ci_u32_e64 v23, null, v26, v7, vcc_lo
	v_add_co_u32 v24, vcc_lo, v31, s16
	global_store_b64 v[10:11], v[8:9], off offset:128
	global_load_b64 v[8:9], v[22:23], off
	v_mul_f32_e32 v10, s23, v21
	v_mul_f32_e32 v11, s22, v21
	s_wait_alu 0xfffd
	v_add_co_ci_u32_e64 v25, null, s17, v32, vcc_lo
	s_delay_alu instid0(VALU_DEP_3) | instskip(NEXT) | instid1(VALU_DEP_3)
	v_fma_f32 v10, v20, s22, -v10
	v_fmac_f32_e32 v11, s23, v20
	v_add_co_u32 v20, vcc_lo, v24, v6
	s_wait_loadcnt 0x0
	v_mul_f32_e32 v21, s31, v9
	v_mul_f32_e32 v9, s30, v9
	s_delay_alu instid0(VALU_DEP_2) | instskip(NEXT) | instid1(VALU_DEP_2)
	v_fma_f32 v26, v8, s30, -v21
	v_fmac_f32_e32 v9, s31, v8
	s_wait_alu 0xfffd
	v_add_co_ci_u32_e64 v21, null, v25, v7, vcc_lo
	s_delay_alu instid0(VALU_DEP_2)
	v_dual_add_f32 v8, v10, v26 :: v_dual_add_f32 v9, v11, v9
	v_mul_f32_e32 v10, s23, v18
	v_mul_f32_e32 v11, s22, v18
	global_store_b64 v[20:21], v[8:9], off
	global_load_b64 v[8:9], v[22:23], off offset:128
	v_fma_f32 v10, v19, s22, -v10
	s_wait_loadcnt 0x0
	v_dual_fmac_f32 v11, s23, v19 :: v_dual_mul_f32 v18, s31, v9
	v_mul_f32_e32 v9, s30, v9
	s_delay_alu instid0(VALU_DEP_2) | instskip(NEXT) | instid1(VALU_DEP_2)
	v_fma_f32 v18, v8, s30, -v18
	v_fmac_f32_e32 v9, s31, v8
	v_add_co_u32 v8, vcc_lo, 0x80, v20
	s_delay_alu instid0(VALU_DEP_3) | instskip(NEXT) | instid1(VALU_DEP_3)
	v_add_f32_e32 v18, v10, v18
	v_add_f32_e32 v10, v11, v9
	s_wait_alu 0xfffd
	v_add_co_ci_u32_e64 v9, null, 0, v21, vcc_lo
	global_store_b32 v[20:21], v18, off offset:128
	s_branch .LBB98_2
.LBB98_10:
	s_nop 0
	s_sendmsg sendmsg(MSG_DEALLOC_VGPRS)
	s_endpgm
	.section	.rodata,"a",@progbits
	.p2align	6, 0x0
	.amdhsa_kernel _ZN12_GLOBAL__N_127rocblas_gemm_batched_kernelI19rocblas_complex_numIfELi16ELi16ELi32ELi32ELi8ELi32ELi8ELi8ELi32ELc78ELc78EKS2_S3_S2_EEvlllT_PT11_llS6_llS4_PT12_llPT13_lli
		.amdhsa_group_segment_fixed_size 4096
		.amdhsa_private_segment_fixed_size 0
		.amdhsa_kernarg_size 140
		.amdhsa_user_sgpr_count 2
		.amdhsa_user_sgpr_dispatch_ptr 0
		.amdhsa_user_sgpr_queue_ptr 0
		.amdhsa_user_sgpr_kernarg_segment_ptr 1
		.amdhsa_user_sgpr_dispatch_id 0
		.amdhsa_user_sgpr_private_segment_size 0
		.amdhsa_wavefront_size32 1
		.amdhsa_uses_dynamic_stack 0
		.amdhsa_enable_private_segment 0
		.amdhsa_system_sgpr_workgroup_id_x 1
		.amdhsa_system_sgpr_workgroup_id_y 1
		.amdhsa_system_sgpr_workgroup_id_z 1
		.amdhsa_system_sgpr_workgroup_info 0
		.amdhsa_system_vgpr_workitem_id 1
		.amdhsa_next_free_vgpr 100
		.amdhsa_next_free_sgpr 37
		.amdhsa_reserve_vcc 1
		.amdhsa_float_round_mode_32 0
		.amdhsa_float_round_mode_16_64 0
		.amdhsa_float_denorm_mode_32 3
		.amdhsa_float_denorm_mode_16_64 3
		.amdhsa_fp16_overflow 0
		.amdhsa_workgroup_processor_mode 1
		.amdhsa_memory_ordered 1
		.amdhsa_forward_progress 1
		.amdhsa_inst_pref_size 22
		.amdhsa_round_robin_scheduling 0
		.amdhsa_exception_fp_ieee_invalid_op 0
		.amdhsa_exception_fp_denorm_src 0
		.amdhsa_exception_fp_ieee_div_zero 0
		.amdhsa_exception_fp_ieee_overflow 0
		.amdhsa_exception_fp_ieee_underflow 0
		.amdhsa_exception_fp_ieee_inexact 0
		.amdhsa_exception_int_div_zero 0
	.end_amdhsa_kernel
	.section	.text._ZN12_GLOBAL__N_127rocblas_gemm_batched_kernelI19rocblas_complex_numIfELi16ELi16ELi32ELi32ELi8ELi32ELi8ELi8ELi32ELc78ELc78EKS2_S3_S2_EEvlllT_PT11_llS6_llS4_PT12_llPT13_lli,"axG",@progbits,_ZN12_GLOBAL__N_127rocblas_gemm_batched_kernelI19rocblas_complex_numIfELi16ELi16ELi32ELi32ELi8ELi32ELi8ELi8ELi32ELc78ELc78EKS2_S3_S2_EEvlllT_PT11_llS6_llS4_PT12_llPT13_lli,comdat
.Lfunc_end98:
	.size	_ZN12_GLOBAL__N_127rocblas_gemm_batched_kernelI19rocblas_complex_numIfELi16ELi16ELi32ELi32ELi8ELi32ELi8ELi8ELi32ELc78ELc78EKS2_S3_S2_EEvlllT_PT11_llS6_llS4_PT12_llPT13_lli, .Lfunc_end98-_ZN12_GLOBAL__N_127rocblas_gemm_batched_kernelI19rocblas_complex_numIfELi16ELi16ELi32ELi32ELi8ELi32ELi8ELi8ELi32ELc78ELc78EKS2_S3_S2_EEvlllT_PT11_llS6_llS4_PT12_llPT13_lli
                                        ; -- End function
	.set _ZN12_GLOBAL__N_127rocblas_gemm_batched_kernelI19rocblas_complex_numIfELi16ELi16ELi32ELi32ELi8ELi32ELi8ELi8ELi32ELc78ELc78EKS2_S3_S2_EEvlllT_PT11_llS6_llS4_PT12_llPT13_lli.num_vgpr, 100
	.set _ZN12_GLOBAL__N_127rocblas_gemm_batched_kernelI19rocblas_complex_numIfELi16ELi16ELi32ELi32ELi8ELi32ELi8ELi8ELi32ELc78ELc78EKS2_S3_S2_EEvlllT_PT11_llS6_llS4_PT12_llPT13_lli.num_agpr, 0
	.set _ZN12_GLOBAL__N_127rocblas_gemm_batched_kernelI19rocblas_complex_numIfELi16ELi16ELi32ELi32ELi8ELi32ELi8ELi8ELi32ELc78ELc78EKS2_S3_S2_EEvlllT_PT11_llS6_llS4_PT12_llPT13_lli.numbered_sgpr, 37
	.set _ZN12_GLOBAL__N_127rocblas_gemm_batched_kernelI19rocblas_complex_numIfELi16ELi16ELi32ELi32ELi8ELi32ELi8ELi8ELi32ELc78ELc78EKS2_S3_S2_EEvlllT_PT11_llS6_llS4_PT12_llPT13_lli.num_named_barrier, 0
	.set _ZN12_GLOBAL__N_127rocblas_gemm_batched_kernelI19rocblas_complex_numIfELi16ELi16ELi32ELi32ELi8ELi32ELi8ELi8ELi32ELc78ELc78EKS2_S3_S2_EEvlllT_PT11_llS6_llS4_PT12_llPT13_lli.private_seg_size, 0
	.set _ZN12_GLOBAL__N_127rocblas_gemm_batched_kernelI19rocblas_complex_numIfELi16ELi16ELi32ELi32ELi8ELi32ELi8ELi8ELi32ELc78ELc78EKS2_S3_S2_EEvlllT_PT11_llS6_llS4_PT12_llPT13_lli.uses_vcc, 1
	.set _ZN12_GLOBAL__N_127rocblas_gemm_batched_kernelI19rocblas_complex_numIfELi16ELi16ELi32ELi32ELi8ELi32ELi8ELi8ELi32ELc78ELc78EKS2_S3_S2_EEvlllT_PT11_llS6_llS4_PT12_llPT13_lli.uses_flat_scratch, 0
	.set _ZN12_GLOBAL__N_127rocblas_gemm_batched_kernelI19rocblas_complex_numIfELi16ELi16ELi32ELi32ELi8ELi32ELi8ELi8ELi32ELc78ELc78EKS2_S3_S2_EEvlllT_PT11_llS6_llS4_PT12_llPT13_lli.has_dyn_sized_stack, 0
	.set _ZN12_GLOBAL__N_127rocblas_gemm_batched_kernelI19rocblas_complex_numIfELi16ELi16ELi32ELi32ELi8ELi32ELi8ELi8ELi32ELc78ELc78EKS2_S3_S2_EEvlllT_PT11_llS6_llS4_PT12_llPT13_lli.has_recursion, 0
	.set _ZN12_GLOBAL__N_127rocblas_gemm_batched_kernelI19rocblas_complex_numIfELi16ELi16ELi32ELi32ELi8ELi32ELi8ELi8ELi32ELc78ELc78EKS2_S3_S2_EEvlllT_PT11_llS6_llS4_PT12_llPT13_lli.has_indirect_call, 0
	.section	.AMDGPU.csdata,"",@progbits
; Kernel info:
; codeLenInByte = 2800
; TotalNumSgprs: 39
; NumVgprs: 100
; ScratchSize: 0
; MemoryBound: 0
; FloatMode: 240
; IeeeMode: 1
; LDSByteSize: 4096 bytes/workgroup (compile time only)
; SGPRBlocks: 0
; VGPRBlocks: 12
; NumSGPRsForWavesPerEU: 39
; NumVGPRsForWavesPerEU: 100
; Occupancy: 12
; WaveLimiterHint : 1
; COMPUTE_PGM_RSRC2:SCRATCH_EN: 0
; COMPUTE_PGM_RSRC2:USER_SGPR: 2
; COMPUTE_PGM_RSRC2:TRAP_HANDLER: 0
; COMPUTE_PGM_RSRC2:TGID_X_EN: 1
; COMPUTE_PGM_RSRC2:TGID_Y_EN: 1
; COMPUTE_PGM_RSRC2:TGID_Z_EN: 1
; COMPUTE_PGM_RSRC2:TIDIG_COMP_CNT: 1
	.section	.text._ZN12_GLOBAL__N_127rocblas_gemm_batched_kernelI19rocblas_complex_numIfELi16ELi16ELi32ELi32ELi8ELi32ELi8ELi8ELi32ELc84ELc78EKS2_S3_S2_EEvlllT_PT11_llS6_llS4_PT12_llPT13_lli,"axG",@progbits,_ZN12_GLOBAL__N_127rocblas_gemm_batched_kernelI19rocblas_complex_numIfELi16ELi16ELi32ELi32ELi8ELi32ELi8ELi8ELi32ELc84ELc78EKS2_S3_S2_EEvlllT_PT11_llS6_llS4_PT12_llPT13_lli,comdat
	.globl	_ZN12_GLOBAL__N_127rocblas_gemm_batched_kernelI19rocblas_complex_numIfELi16ELi16ELi32ELi32ELi8ELi32ELi8ELi8ELi32ELc84ELc78EKS2_S3_S2_EEvlllT_PT11_llS6_llS4_PT12_llPT13_lli ; -- Begin function _ZN12_GLOBAL__N_127rocblas_gemm_batched_kernelI19rocblas_complex_numIfELi16ELi16ELi32ELi32ELi8ELi32ELi8ELi8ELi32ELc84ELc78EKS2_S3_S2_EEvlllT_PT11_llS6_llS4_PT12_llPT13_lli
	.p2align	8
	.type	_ZN12_GLOBAL__N_127rocblas_gemm_batched_kernelI19rocblas_complex_numIfELi16ELi16ELi32ELi32ELi8ELi32ELi8ELi8ELi32ELc84ELc78EKS2_S3_S2_EEvlllT_PT11_llS6_llS4_PT12_llPT13_lli,@function
_ZN12_GLOBAL__N_127rocblas_gemm_batched_kernelI19rocblas_complex_numIfELi16ELi16ELi32ELi32ELi8ELi32ELi8ELi8ELi32ELc84ELc78EKS2_S3_S2_EEvlllT_PT11_llS6_llS4_PT12_llPT13_lli: ; @_ZN12_GLOBAL__N_127rocblas_gemm_batched_kernelI19rocblas_complex_numIfELi16ELi16ELi32ELi32ELi8ELi32ELi8ELi8ELi32ELc84ELc78EKS2_S3_S2_EEvlllT_PT11_llS6_llS4_PT12_llPT13_lli
; %bb.0:
	s_load_b32 s33, s[0:1], 0x88
	s_lshr_b32 s2, ttmp7, 16
	s_wait_kmcnt 0x0
	s_cmp_ge_i32 s2, s33
	s_cbranch_scc1 .LBB99_10
; %bb.1:
	v_and_b32_e32 v11, 0x3ff, v0
	v_bfe_u32 v2, v0, 10, 10
	s_clause 0x2
	s_load_b128 s[20:23], s[0:1], 0x10
	s_load_b256 s[12:19], s[0:1], 0x20
	s_load_b128 s[24:27], s[0:1], 0x78
	v_lshlrev_b32_e32 v0, 3, v0
	s_clause 0x2
	s_load_b256 s[4:11], s[0:1], 0x58
	s_load_b128 s[28:31], s[0:1], 0x40
	s_load_b64 s[34:35], s[0:1], 0x50
	v_lshl_add_u32 v1, v2, 4, v11
	s_lshl_b32 s0, ttmp7, 5
	v_and_b32_e32 v20, 56, v0
	s_and_b32 s3, s0, 0x1fffe0
	v_lshl_add_u32 v15, v2, 6, 0x800
	v_and_b32_e32 v3, 31, v1
	v_lshrrev_b32_e32 v16, 5, v1
	v_lshrrev_b32_e32 v1, 3, v1
	v_add_nc_u32_e32 v6, s3, v2
	s_mov_b32 s36, ttmp9
	v_lshlrev_b32_e32 v0, 3, v3
	s_ashr_i32 s37, ttmp9, 31
	v_lshl_or_b32 v4, v1, 6, v20
	s_lshl_b64 s[0:1], s[36:37], 5
	v_add_nc_u32_e32 v17, s3, v1
	v_lshl_or_b32 v12, v16, 8, v0
	s_delay_alu instid0(VALU_DEP_3)
	v_add_nc_u32_e32 v13, 0x800, v4
	s_wait_kmcnt 0x0
	v_mad_co_u64_u32 v[4:5], null, v6, s24, 0
	v_mad_co_u64_u32 v[0:1], null, v6, s6, 0
	;; [unrolled: 1-line block ×3, first 2 shown]
	s_or_b32 s3, s34, s35
	v_mov_b32_e32 v2, v5
	v_or_b32_e32 v5, s0, v3
	v_add_co_u32 v18, s0, s0, v11
	s_wait_alu 0xf1ff
	v_add_co_ci_u32_e64 v19, null, s1, 0, s0
	v_mad_co_u64_u32 v[2:3], null, v6, s25, v[2:3]
	v_mul_lo_u32 v3, s15, v5
	s_mul_i32 s0, s14, s1
	s_wait_alu 0xfffe
	s_and_b32 s36, s3, 0x7fffffff
	v_lshlrev_b32_e32 v14, 3, v11
	s_cmp_eq_u32 s36, 0
	s_mov_b32 s3, 0
	v_mad_co_u64_u32 v[6:7], null, v6, s7, v[1:2]
	v_mad_co_u64_u32 v[7:8], null, s14, v5, 0
	v_dual_mov_b32 v5, v2 :: v_dual_mov_b32 v2, v10
	s_cselect_b32 s36, -1, 0
	s_lshl_b64 s[14:15], s[24:25], 4
	s_delay_alu instid0(VALU_DEP_3) | instskip(NEXT) | instid1(VALU_DEP_2)
	v_mov_b32_e32 v1, v6
	v_lshlrev_b64_e32 v[4:5], 3, v[4:5]
	s_delay_alu instid0(VALU_DEP_4) | instskip(SKIP_1) | instid1(VALU_DEP_4)
	v_add3_u32 v8, v8, s0, v3
	v_mad_co_u64_u32 v[2:3], null, s29, v17, v[2:3]
	v_lshlrev_b64_e32 v[0:1], 3, v[0:1]
	v_lshlrev_b32_e32 v3, 3, v16
	s_delay_alu instid0(VALU_DEP_4)
	v_lshlrev_b64_e32 v[6:7], 3, v[7:8]
	v_cmp_gt_i64_e64 s0, s[20:21], 0
	v_cndmask_b32_e64 v8, 0, 1, s36
	s_lshl_b64 s[24:25], s[6:7], 4
	v_mov_b32_e32 v10, v2
	v_add_co_u32 v16, vcc_lo, s4, v0
	s_delay_alu instid0(VALU_DEP_1) | instskip(SKIP_1) | instid1(VALU_DEP_4)
	v_add_co_ci_u32_e64 v17, null, s5, v1, vcc_lo
	v_add_co_u32 v0, vcc_lo, v6, v3
	v_lshlrev_b64_e32 v[2:3], 3, v[9:10]
	s_wait_alu 0xfffd
	v_add_co_ci_u32_e64 v1, null, 0, v7, vcc_lo
	s_delay_alu instid0(VALU_DEP_3) | instskip(SKIP_2) | instid1(VALU_DEP_3)
	v_add_co_u32 v0, vcc_lo, s12, v0
	v_cndmask_b32_e64 v6, 0, 1, s0
	s_wait_alu 0xfffd
	v_add_co_ci_u32_e64 v1, null, s13, v1, vcc_lo
	v_add_co_u32 v2, vcc_lo, v2, v20
	s_wait_alu 0xfffd
	v_add_co_ci_u32_e64 v3, null, 0, v3, vcc_lo
	v_cmp_ne_u32_e64 s0, 1, v6
	s_delay_alu instid0(VALU_DEP_3)
	v_add_co_u32 v2, vcc_lo, s18, v2
	v_lshlrev_b64_e32 v[6:7], 3, v[18:19]
	s_wait_alu 0xfffd
	v_add_co_ci_u32_e64 v3, null, s19, v3, vcc_lo
	v_cmp_ne_u32_e64 s1, 1, v8
	s_lshl_b64 s[4:5], s[16:17], 3
	s_lshl_b64 s[6:7], s[30:31], 3
	s_wait_alu 0xfffe
	s_lshl_b64 s[12:13], s[24:25], 3
	s_lshl_b64 s[14:15], s[14:15], 3
	s_branch .LBB99_3
.LBB99_2:                               ;   in Loop: Header=BB99_3 Depth=1
	s_add_co_i32 s2, s2, 0x10000
	global_store_b32 v[8:9], v10, off offset:4
	s_wait_alu 0xfffe
	s_cmp_lt_i32 s2, s33
	s_cbranch_scc0 .LBB99_10
.LBB99_3:                               ; =>This Loop Header: Depth=1
                                        ;     Child Loop BB99_5 Depth 2
	v_dual_mov_b32 v24, 0 :: v_dual_mov_b32 v25, 0
	v_dual_mov_b32 v22, 0 :: v_dual_mov_b32 v23, 0
	;; [unrolled: 1-line block ×4, first 2 shown]
	s_and_b32 vcc_lo, exec_lo, s0
	s_wait_alu 0xfffe
	s_cbranch_vccnz .LBB99_6
; %bb.4:                                ;   in Loop: Header=BB99_3 Depth=1
	v_mad_co_u64_u32 v[8:9], null, s4, s2, v[0:1]
	v_mad_co_u64_u32 v[10:11], null, s6, s2, v[2:3]
	v_dual_mov_b32 v18, 0 :: v_dual_mov_b32 v19, 0
	v_dual_mov_b32 v21, 0 :: v_dual_mov_b32 v20, 0
	;; [unrolled: 1-line block ×3, first 2 shown]
	s_delay_alu instid0(VALU_DEP_4) | instskip(SKIP_3) | instid1(VALU_DEP_3)
	v_mad_co_u64_u32 v[24:25], null, s5, s2, v[9:10]
	v_mad_co_u64_u32 v[26:27], null, s7, s2, v[11:12]
	v_mov_b32_e32 v25, 0
	s_mov_b64 s[16:17], 0
	v_dual_mov_b32 v9, v24 :: v_dual_mov_b32 v24, 0
	s_delay_alu instid0(VALU_DEP_3)
	v_mov_b32_e32 v11, v26
.LBB99_5:                               ;   Parent Loop BB99_3 Depth=1
                                        ; =>  This Inner Loop Header: Depth=2
	global_load_b64 v[26:27], v[8:9], off
	global_load_b64 v[28:29], v[10:11], off
	s_wait_alu 0xfffe
	s_add_nc_u64 s[16:17], s[16:17], 8
	v_add_co_u32 v8, vcc_lo, v8, 64
	s_wait_alu 0xfffe
	v_cmp_lt_i64_e64 s18, s[16:17], s[20:21]
	s_wait_alu 0xfffd
	v_add_co_ci_u32_e64 v9, null, 0, v9, vcc_lo
	v_add_co_u32 v10, vcc_lo, v10, 64
	s_wait_alu 0xfffd
	v_add_co_ci_u32_e64 v11, null, 0, v11, vcc_lo
	s_and_b32 vcc_lo, exec_lo, s18
	s_wait_loadcnt 0x1
	ds_store_b64 v12, v[26:27]
	s_wait_loadcnt 0x0
	ds_store_b64 v13, v[28:29]
	s_wait_dscnt 0x0
	s_barrier_signal -1
	s_barrier_wait -1
	global_inv scope:SCOPE_SE
	ds_load_2addr_b64 v[26:29], v14 offset1:16
	ds_load_b128 v[30:33], v15
	ds_load_b128 v[34:37], v15 offset:1024
	ds_load_2addr_b64 v[38:41], v14 offset0:32 offset1:48
	ds_load_b128 v[42:45], v15 offset:16
	ds_load_b128 v[46:49], v15 offset:32
	;; [unrolled: 1-line block ×3, first 2 shown]
	ds_load_2addr_b64 v[54:57], v14 offset0:64 offset1:80
	ds_load_b128 v[58:61], v15 offset:1040
	ds_load_2addr_b64 v[62:65], v14 offset0:96 offset1:112
	ds_load_2addr_b64 v[66:69], v14 offset0:128 offset1:144
	;; [unrolled: 1-line block ×4, first 2 shown]
	ds_load_b128 v[78:81], v15 offset:1056
	ds_load_b128 v[82:85], v15 offset:1072
	ds_load_2addr_b64 v[86:89], v14 offset0:224 offset1:240
	s_wait_loadcnt_dscnt 0x0
	s_barrier_signal -1
	s_barrier_wait -1
	global_inv scope:SCOPE_SE
	v_dual_mul_f32 v90, v31, v27 :: v_dual_mul_f32 v93, v30, v29
	v_dual_mul_f32 v91, v30, v27 :: v_dual_mul_f32 v92, v31, v29
	v_mul_f32_e32 v94, v35, v27
	v_dual_mul_f32 v27, v34, v27 :: v_dual_mul_f32 v98, v33, v41
	v_dual_mul_f32 v95, v35, v29 :: v_dual_mul_f32 v96, v33, v39
	v_mul_f32_e32 v29, v34, v29
	v_mul_f32_e32 v97, v32, v39
	;; [unrolled: 1-line block ×3, first 2 shown]
	v_fma_f32 v90, v30, v26, -v90
	v_fmac_f32_e32 v91, v31, v26
	v_fma_f32 v30, v30, v28, -v92
	v_dual_fmac_f32 v93, v31, v28 :: v_dual_mul_f32 v92, v42, v55
	v_fma_f32 v31, v34, v26, -v94
	v_fmac_f32_e32 v27, v35, v26
	v_fma_f32 v26, v34, v28, -v95
	v_dual_mul_f32 v34, v36, v39 :: v_dual_fmac_f32 v29, v35, v28
	v_mul_f32_e32 v28, v37, v39
	v_mul_f32_e32 v35, v37, v41
	v_dual_mul_f32 v39, v36, v41 :: v_dual_fmac_f32 v92, v43, v54
	v_fma_f32 v41, v32, v38, -v96
	v_fma_f32 v32, v32, v40, -v98
	v_dual_fmac_f32 v99, v33, v40 :: v_dual_mul_f32 v98, v44, v65
	v_dual_mul_f32 v94, v43, v57 :: v_dual_fmac_f32 v97, v33, v38
	v_dual_mul_f32 v33, v43, v55 :: v_dual_mul_f32 v96, v45, v65
	v_fma_f32 v28, v36, v38, -v28
	v_fmac_f32_e32 v34, v37, v38
	v_fma_f32 v35, v36, v40, -v35
	v_dual_fmac_f32 v39, v37, v40 :: v_dual_mul_f32 v36, v59, v55
	v_dual_mul_f32 v37, v58, v55 :: v_dual_mul_f32 v38, v59, v57
	v_mul_f32_e32 v40, v58, v57
	v_mul_f32_e32 v95, v42, v57
	;; [unrolled: 1-line block ×3, first 2 shown]
	v_dual_mul_f32 v57, v44, v63 :: v_dual_fmac_f32 v98, v45, v64
	v_fma_f32 v33, v42, v54, -v33
	v_fma_f32 v42, v42, v56, -v94
	;; [unrolled: 1-line block ×4, first 2 shown]
	v_fmac_f32_e32 v40, v59, v56
	v_fmac_f32_e32 v95, v43, v56
	v_mul_f32_e32 v43, v61, v63
	v_mul_f32_e32 v56, v61, v65
	v_dual_mul_f32 v58, v60, v65 :: v_dual_fmac_f32 v37, v59, v54
	v_mul_f32_e32 v54, v60, v63
	v_fma_f32 v55, v44, v62, -v55
	v_fmac_f32_e32 v57, v45, v62
	v_fma_f32 v44, v44, v64, -v96
	v_mul_f32_e32 v45, v47, v67
	v_dual_mul_f32 v59, v46, v67 :: v_dual_mul_f32 v94, v49, v73
	v_mul_f32_e32 v63, v47, v69
	v_fma_f32 v43, v60, v62, -v43
	v_fmac_f32_e32 v54, v61, v62
	v_fma_f32 v56, v60, v64, -v56
	v_fmac_f32_e32 v58, v61, v64
	v_mul_f32_e32 v60, v79, v67
	v_dual_mul_f32 v61, v78, v67 :: v_dual_mul_f32 v96, v48, v73
	v_mul_f32_e32 v62, v79, v69
	v_mul_f32_e32 v64, v78, v69
	;; [unrolled: 1-line block ×5, first 2 shown]
	v_fma_f32 v45, v46, v66, -v45
	v_dual_fmac_f32 v59, v47, v66 :: v_dual_fmac_f32 v96, v49, v72
	v_fmac_f32_e32 v64, v79, v68
	v_fmac_f32_e32 v65, v47, v68
	v_fma_f32 v47, v78, v66, -v60
	v_fma_f32 v60, v78, v68, -v62
	v_mul_f32_e32 v62, v81, v71
	v_fma_f32 v46, v46, v68, -v63
	v_dual_mul_f32 v68, v80, v73 :: v_dual_fmac_f32 v61, v79, v66
	v_mul_f32_e32 v66, v81, v73
	v_dual_mul_f32 v78, v50, v77 :: v_dual_mul_f32 v63, v80, v71
	v_fma_f32 v67, v48, v70, -v67
	v_fmac_f32_e32 v69, v49, v70
	v_fma_f32 v48, v48, v72, -v94
	v_dual_mul_f32 v49, v51, v75 :: v_dual_mul_f32 v94, v52, v89
	v_mul_f32_e32 v73, v51, v77
	v_fma_f32 v62, v80, v70, -v62
	v_fma_f32 v66, v80, v72, -v66
	v_fmac_f32_e32 v68, v81, v72
	v_mul_f32_e32 v72, v82, v75
	v_mul_f32_e32 v71, v50, v75
	v_mul_f32_e32 v80, v52, v87
	v_dual_fmac_f32 v78, v51, v76 :: v_dual_fmac_f32 v63, v81, v70
	v_mul_f32_e32 v70, v83, v75
	v_mul_f32_e32 v75, v83, v77
	s_delay_alu instid0(VALU_DEP_4)
	v_dual_mul_f32 v77, v82, v77 :: v_dual_fmac_f32 v80, v53, v86
	v_mul_f32_e32 v79, v53, v87
	v_fma_f32 v49, v50, v74, -v49
	v_fma_f32 v50, v50, v76, -v73
	v_fmac_f32_e32 v72, v83, v74
	v_dual_fmac_f32 v71, v51, v74 :: v_dual_fmac_f32 v94, v53, v88
	v_fma_f32 v51, v82, v74, -v70
	v_mul_f32_e32 v74, v84, v87
	v_fma_f32 v70, v82, v76, -v75
	v_dual_fmac_f32 v77, v83, v76 :: v_dual_mul_f32 v76, v84, v89
	v_dual_mul_f32 v81, v53, v89 :: v_dual_add_f32 v24, v24, v90
	v_dual_mul_f32 v73, v85, v87 :: v_dual_add_f32 v22, v22, v30
	;; [unrolled: 1-line block ×3, first 2 shown]
	s_delay_alu instid0(VALU_DEP_4) | instskip(SKIP_3) | instid1(VALU_DEP_3)
	v_dual_fmac_f32 v76, v85, v88 :: v_dual_add_f32 v23, v23, v93
	v_dual_add_f32 v25, v25, v91 :: v_dual_add_f32 v18, v18, v29
	v_dual_add_f32 v21, v21, v27 :: v_dual_add_f32 v24, v24, v41
	;; [unrolled: 1-line block ×4, first 2 shown]
	s_delay_alu instid0(VALU_DEP_3) | instskip(NEXT) | instid1(VALU_DEP_4)
	v_dual_add_f32 v23, v23, v99 :: v_dual_add_f32 v24, v24, v33
	v_dual_add_f32 v21, v21, v34 :: v_dual_add_f32 v18, v18, v39
	s_delay_alu instid0(VALU_DEP_4) | instskip(NEXT) | instid1(VALU_DEP_3)
	v_dual_add_f32 v19, v19, v35 :: v_dual_add_f32 v22, v22, v42
	v_dual_add_f32 v25, v25, v92 :: v_dual_add_f32 v24, v24, v55
	s_delay_alu instid0(VALU_DEP_4) | instskip(NEXT) | instid1(VALU_DEP_4)
	v_dual_add_f32 v23, v23, v95 :: v_dual_add_f32 v20, v20, v36
	v_dual_add_f32 v21, v21, v37 :: v_dual_add_f32 v18, v18, v40
	s_delay_alu instid0(VALU_DEP_4) | instskip(NEXT) | instid1(VALU_DEP_3)
	v_dual_add_f32 v19, v19, v38 :: v_dual_add_f32 v22, v22, v44
	v_dual_add_f32 v25, v25, v57 :: v_dual_add_f32 v20, v20, v43
	s_delay_alu instid0(VALU_DEP_4) | instskip(NEXT) | instid1(VALU_DEP_4)
	v_dual_add_f32 v23, v23, v98 :: v_dual_add_f32 v24, v24, v45
	v_add_f32_e32 v21, v21, v54
	s_delay_alu instid0(VALU_DEP_4) | instskip(NEXT) | instid1(VALU_DEP_4)
	v_dual_add_f32 v19, v19, v56 :: v_dual_add_f32 v18, v18, v58
	v_dual_add_f32 v25, v25, v59 :: v_dual_add_f32 v22, v22, v46
	s_delay_alu instid0(VALU_DEP_4) | instskip(NEXT) | instid1(VALU_DEP_4)
	v_dual_add_f32 v23, v23, v65 :: v_dual_add_f32 v20, v20, v47
	v_dual_add_f32 v21, v21, v61 :: v_dual_add_f32 v24, v24, v67
	s_delay_alu instid0(VALU_DEP_4) | instskip(NEXT) | instid1(VALU_DEP_4)
	v_add_f32_e32 v19, v19, v60
	v_dual_add_f32 v18, v18, v64 :: v_dual_add_f32 v25, v25, v69
	v_add_f32_e32 v22, v22, v48
	s_delay_alu instid0(VALU_DEP_4) | instskip(SKIP_1) | instid1(VALU_DEP_4)
	v_dual_add_f32 v23, v23, v96 :: v_dual_add_f32 v24, v24, v49
	v_dual_add_f32 v20, v20, v62 :: v_dual_add_f32 v21, v21, v63
	;; [unrolled: 1-line block ×3, first 2 shown]
	v_fma_f32 v79, v52, v86, -v79
	v_fma_f32 v52, v52, v88, -v81
	;; [unrolled: 1-line block ×3, first 2 shown]
	v_fmac_f32_e32 v74, v85, v86
	v_fma_f32 v73, v84, v88, -v75
	v_dual_add_f32 v25, v25, v71 :: v_dual_add_f32 v22, v22, v50
	v_dual_add_f32 v23, v23, v78 :: v_dual_add_f32 v18, v18, v77
	;; [unrolled: 1-line block ×4, first 2 shown]
	s_delay_alu instid0(VALU_DEP_4) | instskip(NEXT) | instid1(VALU_DEP_3)
	v_add_f32_e32 v22, v22, v52
	v_dual_add_f32 v25, v25, v80 :: v_dual_add_f32 v20, v20, v53
	v_dual_add_f32 v23, v23, v94 :: v_dual_add_f32 v18, v18, v76
	v_add_f32_e32 v21, v21, v74
	v_add_f32_e32 v19, v19, v73
	s_wait_alu 0xfffe
	s_cbranch_vccnz .LBB99_5
.LBB99_6:                               ;   in Loop: Header=BB99_3 Depth=1
	s_mul_u64 s[16:17], s[26:27], s[2:3]
	s_and_b32 vcc_lo, exec_lo, s1
	s_wait_alu 0xfffe
	s_lshl_b64 s[16:17], s[16:17], 3
	s_mov_b32 s18, -1
	s_wait_alu 0xfffe
	s_add_nc_u64 s[16:17], s[10:11], s[16:17]
                                        ; implicit-def: $vgpr10
                                        ; implicit-def: $vgpr8_vgpr9
	s_cbranch_vccz .LBB99_8
; %bb.7:                                ;   in Loop: Header=BB99_3 Depth=1
	s_and_not1_b32 vcc_lo, exec_lo, s18
	s_wait_alu 0xfffe
	s_cbranch_vccnz .LBB99_2
	s_branch .LBB99_9
.LBB99_8:                               ;   in Loop: Header=BB99_3 Depth=1
	v_mul_f32_e32 v27, s22, v25
	v_mul_f32_e32 v8, s23, v25
	s_wait_alu 0xfffe
	v_add_co_u32 v9, vcc_lo, s16, v4
	s_wait_alu 0xfffd
	v_add_co_ci_u32_e64 v10, null, s17, v5, vcc_lo
	v_fmac_f32_e32 v27, s23, v24
	v_fma_f32 v26, v24, s22, -v8
	v_mul_f32_e32 v8, s23, v23
	v_add_co_u32 v30, vcc_lo, v9, v6
	v_mul_f32_e32 v29, s22, v23
	s_wait_alu 0xfffd
	v_add_co_ci_u32_e64 v31, null, v10, v7, vcc_lo
	v_fma_f32 v28, v22, s22, -v8
	v_mul_f32_e32 v8, s23, v21
	v_add_co_u32 v9, vcc_lo, v9, s14
	v_mul_f32_e32 v33, s22, v21
	s_wait_alu 0xfffd
	v_add_co_ci_u32_e64 v11, null, s15, v10, vcc_lo
	v_fma_f32 v32, v20, s22, -v8
	v_mul_f32_e32 v8, s23, v18
	v_add_co_u32 v34, vcc_lo, v9, v6
	v_dual_fmac_f32 v33, s23, v20 :: v_dual_mul_f32 v10, s22, v18
	s_wait_alu 0xfffd
	v_add_co_ci_u32_e64 v35, null, v11, v7, vcc_lo
	v_fma_f32 v11, v19, s22, -v8
	v_add_co_u32 v8, vcc_lo, 0x80, v34
	v_dual_fmac_f32 v29, s23, v22 :: v_dual_fmac_f32 v10, s23, v19
	s_wait_alu 0xfffd
	v_add_co_ci_u32_e64 v9, null, 0, v35, vcc_lo
	s_clause 0x3
	global_store_b64 v[30:31], v[26:27], off
	global_store_b64 v[30:31], v[28:29], off offset:128
	global_store_b64 v[34:35], v[32:33], off
	global_store_b32 v[34:35], v11, off offset:128
	s_cbranch_execnz .LBB99_2
.LBB99_9:                               ;   in Loop: Header=BB99_3 Depth=1
	s_mul_u64 s[18:19], s[8:9], s[2:3]
	s_wait_alu 0xfffe
	s_lshl_b64 s[18:19], s[18:19], 3
	s_wait_alu 0xfffe
	v_add_co_u32 v26, vcc_lo, v16, s18
	s_wait_alu 0xfffd
	v_add_co_ci_u32_e64 v27, null, s19, v17, vcc_lo
	s_delay_alu instid0(VALU_DEP_2) | instskip(SKIP_1) | instid1(VALU_DEP_2)
	v_add_co_u32 v8, vcc_lo, v26, v6
	s_wait_alu 0xfffd
	v_add_co_ci_u32_e64 v9, null, v27, v7, vcc_lo
	v_add_co_u32 v31, vcc_lo, s16, v4
	s_wait_alu 0xfffd
	v_add_co_ci_u32_e64 v32, null, s17, v5, vcc_lo
	global_load_b64 v[10:11], v[8:9], off
	v_mul_f32_e32 v28, s23, v25
	s_wait_loadcnt 0x0
	v_dual_mul_f32 v25, s22, v25 :: v_dual_mul_f32 v30, s34, v11
	v_mul_f32_e32 v29, s35, v11
	s_delay_alu instid0(VALU_DEP_3) | instskip(NEXT) | instid1(VALU_DEP_3)
	v_fma_f32 v28, v24, s22, -v28
	v_dual_fmac_f32 v25, s23, v24 :: v_dual_fmac_f32 v30, s35, v10
	s_delay_alu instid0(VALU_DEP_3) | instskip(SKIP_3) | instid1(VALU_DEP_3)
	v_fma_f32 v24, v10, s34, -v29
	v_add_co_u32 v10, vcc_lo, v31, v6
	s_wait_alu 0xfffd
	v_add_co_ci_u32_e64 v11, null, v32, v7, vcc_lo
	v_dual_add_f32 v24, v28, v24 :: v_dual_add_f32 v25, v25, v30
	global_store_b64 v[10:11], v[24:25], off
	global_load_b64 v[8:9], v[8:9], off offset:128
	s_wait_loadcnt 0x0
	v_dual_mul_f32 v24, s23, v23 :: v_dual_mul_f32 v25, s35, v9
	s_delay_alu instid0(VALU_DEP_1) | instskip(SKIP_2) | instid1(VALU_DEP_2)
	v_fma_f32 v24, v22, s22, -v24
	v_mul_f32_e32 v23, s22, v23
	v_mul_f32_e32 v9, s34, v9
	v_fmac_f32_e32 v23, s23, v22
	v_fma_f32 v22, v8, s34, -v25
	v_add_co_u32 v25, vcc_lo, v26, s12
	s_delay_alu instid0(VALU_DEP_4)
	v_fmac_f32_e32 v9, s35, v8
	s_wait_alu 0xfffd
	v_add_co_ci_u32_e64 v26, null, s13, v27, vcc_lo
	v_add_f32_e32 v8, v24, v22
	v_add_co_u32 v22, vcc_lo, v25, v6
	v_add_f32_e32 v9, v23, v9
	s_wait_alu 0xfffd
	v_add_co_ci_u32_e64 v23, null, v26, v7, vcc_lo
	v_add_co_u32 v24, vcc_lo, v31, s14
	global_store_b64 v[10:11], v[8:9], off offset:128
	global_load_b64 v[8:9], v[22:23], off
	v_mul_f32_e32 v10, s23, v21
	v_mul_f32_e32 v11, s22, v21
	s_wait_alu 0xfffd
	v_add_co_ci_u32_e64 v25, null, s15, v32, vcc_lo
	s_delay_alu instid0(VALU_DEP_3) | instskip(NEXT) | instid1(VALU_DEP_3)
	v_fma_f32 v10, v20, s22, -v10
	v_fmac_f32_e32 v11, s23, v20
	v_add_co_u32 v20, vcc_lo, v24, v6
	s_wait_loadcnt 0x0
	v_mul_f32_e32 v21, s35, v9
	v_mul_f32_e32 v9, s34, v9
	s_delay_alu instid0(VALU_DEP_2) | instskip(NEXT) | instid1(VALU_DEP_2)
	v_fma_f32 v26, v8, s34, -v21
	v_fmac_f32_e32 v9, s35, v8
	s_wait_alu 0xfffd
	v_add_co_ci_u32_e64 v21, null, v25, v7, vcc_lo
	s_delay_alu instid0(VALU_DEP_2)
	v_dual_add_f32 v8, v10, v26 :: v_dual_add_f32 v9, v11, v9
	v_mul_f32_e32 v10, s23, v18
	v_mul_f32_e32 v11, s22, v18
	global_store_b64 v[20:21], v[8:9], off
	global_load_b64 v[8:9], v[22:23], off offset:128
	v_fma_f32 v10, v19, s22, -v10
	s_wait_loadcnt 0x0
	v_dual_fmac_f32 v11, s23, v19 :: v_dual_mul_f32 v18, s35, v9
	v_mul_f32_e32 v9, s34, v9
	s_delay_alu instid0(VALU_DEP_2) | instskip(NEXT) | instid1(VALU_DEP_2)
	v_fma_f32 v18, v8, s34, -v18
	v_fmac_f32_e32 v9, s35, v8
	v_add_co_u32 v8, vcc_lo, 0x80, v20
	s_delay_alu instid0(VALU_DEP_3) | instskip(NEXT) | instid1(VALU_DEP_3)
	v_add_f32_e32 v18, v10, v18
	v_add_f32_e32 v10, v11, v9
	s_wait_alu 0xfffd
	v_add_co_ci_u32_e64 v9, null, 0, v21, vcc_lo
	global_store_b32 v[20:21], v18, off offset:128
	s_branch .LBB99_2
.LBB99_10:
	s_nop 0
	s_sendmsg sendmsg(MSG_DEALLOC_VGPRS)
	s_endpgm
	.section	.rodata,"a",@progbits
	.p2align	6, 0x0
	.amdhsa_kernel _ZN12_GLOBAL__N_127rocblas_gemm_batched_kernelI19rocblas_complex_numIfELi16ELi16ELi32ELi32ELi8ELi32ELi8ELi8ELi32ELc84ELc78EKS2_S3_S2_EEvlllT_PT11_llS6_llS4_PT12_llPT13_lli
		.amdhsa_group_segment_fixed_size 4096
		.amdhsa_private_segment_fixed_size 0
		.amdhsa_kernarg_size 140
		.amdhsa_user_sgpr_count 2
		.amdhsa_user_sgpr_dispatch_ptr 0
		.amdhsa_user_sgpr_queue_ptr 0
		.amdhsa_user_sgpr_kernarg_segment_ptr 1
		.amdhsa_user_sgpr_dispatch_id 0
		.amdhsa_user_sgpr_private_segment_size 0
		.amdhsa_wavefront_size32 1
		.amdhsa_uses_dynamic_stack 0
		.amdhsa_enable_private_segment 0
		.amdhsa_system_sgpr_workgroup_id_x 1
		.amdhsa_system_sgpr_workgroup_id_y 1
		.amdhsa_system_sgpr_workgroup_id_z 1
		.amdhsa_system_sgpr_workgroup_info 0
		.amdhsa_system_vgpr_workitem_id 1
		.amdhsa_next_free_vgpr 100
		.amdhsa_next_free_sgpr 38
		.amdhsa_reserve_vcc 1
		.amdhsa_float_round_mode_32 0
		.amdhsa_float_round_mode_16_64 0
		.amdhsa_float_denorm_mode_32 3
		.amdhsa_float_denorm_mode_16_64 3
		.amdhsa_fp16_overflow 0
		.amdhsa_workgroup_processor_mode 1
		.amdhsa_memory_ordered 1
		.amdhsa_forward_progress 1
		.amdhsa_inst_pref_size 23
		.amdhsa_round_robin_scheduling 0
		.amdhsa_exception_fp_ieee_invalid_op 0
		.amdhsa_exception_fp_denorm_src 0
		.amdhsa_exception_fp_ieee_div_zero 0
		.amdhsa_exception_fp_ieee_overflow 0
		.amdhsa_exception_fp_ieee_underflow 0
		.amdhsa_exception_fp_ieee_inexact 0
		.amdhsa_exception_int_div_zero 0
	.end_amdhsa_kernel
	.section	.text._ZN12_GLOBAL__N_127rocblas_gemm_batched_kernelI19rocblas_complex_numIfELi16ELi16ELi32ELi32ELi8ELi32ELi8ELi8ELi32ELc84ELc78EKS2_S3_S2_EEvlllT_PT11_llS6_llS4_PT12_llPT13_lli,"axG",@progbits,_ZN12_GLOBAL__N_127rocblas_gemm_batched_kernelI19rocblas_complex_numIfELi16ELi16ELi32ELi32ELi8ELi32ELi8ELi8ELi32ELc84ELc78EKS2_S3_S2_EEvlllT_PT11_llS6_llS4_PT12_llPT13_lli,comdat
.Lfunc_end99:
	.size	_ZN12_GLOBAL__N_127rocblas_gemm_batched_kernelI19rocblas_complex_numIfELi16ELi16ELi32ELi32ELi8ELi32ELi8ELi8ELi32ELc84ELc78EKS2_S3_S2_EEvlllT_PT11_llS6_llS4_PT12_llPT13_lli, .Lfunc_end99-_ZN12_GLOBAL__N_127rocblas_gemm_batched_kernelI19rocblas_complex_numIfELi16ELi16ELi32ELi32ELi8ELi32ELi8ELi8ELi32ELc84ELc78EKS2_S3_S2_EEvlllT_PT11_llS6_llS4_PT12_llPT13_lli
                                        ; -- End function
	.set _ZN12_GLOBAL__N_127rocblas_gemm_batched_kernelI19rocblas_complex_numIfELi16ELi16ELi32ELi32ELi8ELi32ELi8ELi8ELi32ELc84ELc78EKS2_S3_S2_EEvlllT_PT11_llS6_llS4_PT12_llPT13_lli.num_vgpr, 100
	.set _ZN12_GLOBAL__N_127rocblas_gemm_batched_kernelI19rocblas_complex_numIfELi16ELi16ELi32ELi32ELi8ELi32ELi8ELi8ELi32ELc84ELc78EKS2_S3_S2_EEvlllT_PT11_llS6_llS4_PT12_llPT13_lli.num_agpr, 0
	.set _ZN12_GLOBAL__N_127rocblas_gemm_batched_kernelI19rocblas_complex_numIfELi16ELi16ELi32ELi32ELi8ELi32ELi8ELi8ELi32ELc84ELc78EKS2_S3_S2_EEvlllT_PT11_llS6_llS4_PT12_llPT13_lli.numbered_sgpr, 38
	.set _ZN12_GLOBAL__N_127rocblas_gemm_batched_kernelI19rocblas_complex_numIfELi16ELi16ELi32ELi32ELi8ELi32ELi8ELi8ELi32ELc84ELc78EKS2_S3_S2_EEvlllT_PT11_llS6_llS4_PT12_llPT13_lli.num_named_barrier, 0
	.set _ZN12_GLOBAL__N_127rocblas_gemm_batched_kernelI19rocblas_complex_numIfELi16ELi16ELi32ELi32ELi8ELi32ELi8ELi8ELi32ELc84ELc78EKS2_S3_S2_EEvlllT_PT11_llS6_llS4_PT12_llPT13_lli.private_seg_size, 0
	.set _ZN12_GLOBAL__N_127rocblas_gemm_batched_kernelI19rocblas_complex_numIfELi16ELi16ELi32ELi32ELi8ELi32ELi8ELi8ELi32ELc84ELc78EKS2_S3_S2_EEvlllT_PT11_llS6_llS4_PT12_llPT13_lli.uses_vcc, 1
	.set _ZN12_GLOBAL__N_127rocblas_gemm_batched_kernelI19rocblas_complex_numIfELi16ELi16ELi32ELi32ELi8ELi32ELi8ELi8ELi32ELc84ELc78EKS2_S3_S2_EEvlllT_PT11_llS6_llS4_PT12_llPT13_lli.uses_flat_scratch, 0
	.set _ZN12_GLOBAL__N_127rocblas_gemm_batched_kernelI19rocblas_complex_numIfELi16ELi16ELi32ELi32ELi8ELi32ELi8ELi8ELi32ELc84ELc78EKS2_S3_S2_EEvlllT_PT11_llS6_llS4_PT12_llPT13_lli.has_dyn_sized_stack, 0
	.set _ZN12_GLOBAL__N_127rocblas_gemm_batched_kernelI19rocblas_complex_numIfELi16ELi16ELi32ELi32ELi8ELi32ELi8ELi8ELi32ELc84ELc78EKS2_S3_S2_EEvlllT_PT11_llS6_llS4_PT12_llPT13_lli.has_recursion, 0
	.set _ZN12_GLOBAL__N_127rocblas_gemm_batched_kernelI19rocblas_complex_numIfELi16ELi16ELi32ELi32ELi8ELi32ELi8ELi8ELi32ELc84ELc78EKS2_S3_S2_EEvlllT_PT11_llS6_llS4_PT12_llPT13_lli.has_indirect_call, 0
	.section	.AMDGPU.csdata,"",@progbits
; Kernel info:
; codeLenInByte = 2824
; TotalNumSgprs: 40
; NumVgprs: 100
; ScratchSize: 0
; MemoryBound: 0
; FloatMode: 240
; IeeeMode: 1
; LDSByteSize: 4096 bytes/workgroup (compile time only)
; SGPRBlocks: 0
; VGPRBlocks: 12
; NumSGPRsForWavesPerEU: 40
; NumVGPRsForWavesPerEU: 100
; Occupancy: 12
; WaveLimiterHint : 1
; COMPUTE_PGM_RSRC2:SCRATCH_EN: 0
; COMPUTE_PGM_RSRC2:USER_SGPR: 2
; COMPUTE_PGM_RSRC2:TRAP_HANDLER: 0
; COMPUTE_PGM_RSRC2:TGID_X_EN: 1
; COMPUTE_PGM_RSRC2:TGID_Y_EN: 1
; COMPUTE_PGM_RSRC2:TGID_Z_EN: 1
; COMPUTE_PGM_RSRC2:TIDIG_COMP_CNT: 1
	.section	.text._ZN12_GLOBAL__N_127rocblas_gemm_batched_kernelI19rocblas_complex_numIfELi16ELi16ELi32ELi32ELi8ELi32ELi8ELi8ELi32ELc78ELc84EKS2_S3_S2_EEvlllT_PT11_llS6_llS4_PT12_llPT13_lli,"axG",@progbits,_ZN12_GLOBAL__N_127rocblas_gemm_batched_kernelI19rocblas_complex_numIfELi16ELi16ELi32ELi32ELi8ELi32ELi8ELi8ELi32ELc78ELc84EKS2_S3_S2_EEvlllT_PT11_llS6_llS4_PT12_llPT13_lli,comdat
	.globl	_ZN12_GLOBAL__N_127rocblas_gemm_batched_kernelI19rocblas_complex_numIfELi16ELi16ELi32ELi32ELi8ELi32ELi8ELi8ELi32ELc78ELc84EKS2_S3_S2_EEvlllT_PT11_llS6_llS4_PT12_llPT13_lli ; -- Begin function _ZN12_GLOBAL__N_127rocblas_gemm_batched_kernelI19rocblas_complex_numIfELi16ELi16ELi32ELi32ELi8ELi32ELi8ELi8ELi32ELc78ELc84EKS2_S3_S2_EEvlllT_PT11_llS6_llS4_PT12_llPT13_lli
	.p2align	8
	.type	_ZN12_GLOBAL__N_127rocblas_gemm_batched_kernelI19rocblas_complex_numIfELi16ELi16ELi32ELi32ELi8ELi32ELi8ELi8ELi32ELc78ELc84EKS2_S3_S2_EEvlllT_PT11_llS6_llS4_PT12_llPT13_lli,@function
_ZN12_GLOBAL__N_127rocblas_gemm_batched_kernelI19rocblas_complex_numIfELi16ELi16ELi32ELi32ELi8ELi32ELi8ELi8ELi32ELc78ELc84EKS2_S3_S2_EEvlllT_PT11_llS6_llS4_PT12_llPT13_lli: ; @_ZN12_GLOBAL__N_127rocblas_gemm_batched_kernelI19rocblas_complex_numIfELi16ELi16ELi32ELi32ELi8ELi32ELi8ELi8ELi32ELc78ELc84EKS2_S3_S2_EEvlllT_PT11_llS6_llS4_PT12_llPT13_lli
; %bb.0:
	s_load_b32 s33, s[0:1], 0x88
	s_lshr_b32 s28, ttmp7, 16
	s_wait_kmcnt 0x0
	s_cmp_ge_i32 s28, s33
	s_cbranch_scc1 .LBB100_10
; %bb.1:
	v_and_b32_e32 v16, 0x3ff, v0
	v_bfe_u32 v10, v0, 10, 10
	s_clause 0x3
	s_load_b128 s[24:27], s[0:1], 0x40
	s_load_b128 s[16:19], s[0:1], 0x10
	s_load_b256 s[8:15], s[0:1], 0x20
	s_load_b64 s[30:31], s[0:1], 0x50
	s_lshl_b32 s2, ttmp7, 5
	v_and_b32_e32 v6, 7, v0
	v_lshl_add_u32 v4, v10, 4, v16
	s_and_b32 s36, s2, 0x1fffe0
	s_mov_b32 s34, ttmp9
	s_ashr_i32 s35, ttmp9, 31
	v_add_nc_u32_e32 v18, s36, v10
	v_lshrrev_b32_e32 v5, 3, v4
	v_lshrrev_b32_e32 v11, 5, v4
	s_lshl_b64 s[34:35], s[34:35], 5
	v_lshl_add_u32 v15, v10, 6, 0x800
	s_mov_b32 s29, 0
	v_add_co_u32 v0, s2, v5, s36
	s_delay_alu instid0(VALU_DEP_1)
	v_add_co_ci_u32_e64 v1, null, 0, 0, s2
	s_clause 0x1
	s_load_b128 s[20:23], s[0:1], 0x78
	s_load_b256 s[0:7], s[0:1], 0x58
	s_wait_kmcnt 0x0
	v_mad_co_u64_u32 v[8:9], null, s10, v11, s[34:35]
	v_mad_co_u64_u32 v[2:3], null, s24, v6, v[0:1]
	v_and_b32_e32 v17, 31, v4
	v_lshlrev_b32_e32 v0, 3, v6
	s_or_b32 s36, s30, s31
	s_wait_alu 0xfffe
	s_bitset0_b32 s36, 31
	s_delay_alu instid0(VALU_DEP_1) | instskip(NEXT) | instid1(VALU_DEP_4)
	v_lshl_or_b32 v4, v5, 6, v0
	v_dual_mov_b32 v0, v3 :: v_dual_lshlrev_b32 v1, 3, v17
	v_add_co_u32 v8, vcc_lo, v8, v17
	s_delay_alu instid0(VALU_DEP_3)
	v_add_nc_u32_e32 v13, 0x800, v4
	s_wait_alu 0xfffe
	s_cmp_eq_u32 s36, 0
	v_lshl_or_b32 v12, v11, 8, v1
	v_mad_co_u64_u32 v[0:1], null, s25, v6, v[0:1]
	v_mad_co_u64_u32 v[4:5], null, v18, s20, 0
	;; [unrolled: 1-line block ×3, first 2 shown]
	s_cselect_b32 s36, -1, 0
	v_mov_b32_e32 v3, v0
	v_mov_b32_e32 v1, v5
	v_dual_mov_b32 v5, v9 :: v_dual_mov_b32 v0, v7
	s_delay_alu instid0(VALU_DEP_1) | instskip(NEXT) | instid1(VALU_DEP_2)
	v_mad_co_u64_u32 v[9:10], null, v18, s3, v[0:1]
	v_mad_co_u64_u32 v[10:11], null, s11, v11, v[5:6]
	s_delay_alu instid0(VALU_DEP_2) | instskip(SKIP_1) | instid1(VALU_DEP_3)
	v_mov_b32_e32 v7, v9
	v_mad_co_u64_u32 v[0:1], null, v18, s21, v[1:2]
	v_add_co_ci_u32_e64 v9, null, 0, v10, vcc_lo
	s_delay_alu instid0(VALU_DEP_3)
	v_lshlrev_b64_e32 v[6:7], 3, v[6:7]
	v_lshlrev_b32_e32 v14, 3, v16
	v_add_co_u32 v18, s34, s34, v16
	v_mov_b32_e32 v5, v0
	v_lshlrev_b64_e32 v[0:1], 3, v[8:9]
	v_add_co_u32 v16, vcc_lo, s0, v6
	v_cmp_gt_i64_e64 s0, s[16:17], 0
	v_lshlrev_b64_e32 v[2:3], 3, v[2:3]
	s_wait_alu 0xf1ff
	v_add_co_ci_u32_e64 v19, null, s35, 0, s34
	s_wait_alu 0xfffe
	v_cndmask_b32_e64 v8, 0, 1, s36
	s_wait_alu 0xfffd
	v_add_co_ci_u32_e64 v17, null, s1, v7, vcc_lo
	v_cndmask_b32_e64 v6, 0, 1, s0
	v_add_co_u32 v0, vcc_lo, s8, v0
	s_wait_alu 0xfffd
	v_add_co_ci_u32_e64 v1, null, s9, v1, vcc_lo
	v_add_co_u32 v2, vcc_lo, s14, v2
	v_cmp_ne_u32_e64 s0, 1, v6
	v_lshlrev_b64_e32 v[4:5], 3, v[4:5]
	v_lshlrev_b64_e32 v[6:7], 3, v[18:19]
	s_wait_alu 0xfffd
	v_add_co_ci_u32_e64 v3, null, s15, v3, vcc_lo
	v_cmp_ne_u32_e64 s1, 1, v8
	s_lshl_b64 s[20:21], s[20:21], 4
	s_lshl_b64 s[34:35], s[2:3], 4
	;; [unrolled: 1-line block ×6, first 2 shown]
	s_wait_alu 0xfffe
	s_lshl_b64 s[14:15], s[34:35], 3
	s_lshl_b64 s[20:21], s[20:21], 3
	s_branch .LBB100_3
.LBB100_2:                              ;   in Loop: Header=BB100_3 Depth=1
	s_add_co_i32 s28, s28, 0x10000
	global_store_b32 v[8:9], v10, off offset:4
	s_wait_alu 0xfffe
	s_cmp_lt_i32 s28, s33
	s_cbranch_scc0 .LBB100_10
.LBB100_3:                              ; =>This Loop Header: Depth=1
                                        ;     Child Loop BB100_5 Depth 2
	v_dual_mov_b32 v24, 0 :: v_dual_mov_b32 v25, 0
	v_dual_mov_b32 v22, 0 :: v_dual_mov_b32 v23, 0
	;; [unrolled: 1-line block ×4, first 2 shown]
	s_and_b32 vcc_lo, exec_lo, s0
	s_wait_alu 0xfffe
	s_cbranch_vccnz .LBB100_6
; %bb.4:                                ;   in Loop: Header=BB100_3 Depth=1
	v_mad_co_u64_u32 v[8:9], null, s2, s28, v[0:1]
	v_mad_co_u64_u32 v[10:11], null, s10, s28, v[2:3]
	v_dual_mov_b32 v18, 0 :: v_dual_mov_b32 v19, 0
	v_dual_mov_b32 v21, 0 :: v_dual_mov_b32 v20, 0
	;; [unrolled: 1-line block ×3, first 2 shown]
	s_delay_alu instid0(VALU_DEP_4) | instskip(SKIP_3) | instid1(VALU_DEP_3)
	v_mad_co_u64_u32 v[24:25], null, s3, s28, v[9:10]
	v_mad_co_u64_u32 v[26:27], null, s11, s28, v[11:12]
	v_mov_b32_e32 v25, 0
	s_mov_b64 s[24:25], 0
	v_dual_mov_b32 v9, v24 :: v_dual_mov_b32 v24, 0
	s_delay_alu instid0(VALU_DEP_3)
	v_mov_b32_e32 v11, v26
.LBB100_5:                              ;   Parent Loop BB100_3 Depth=1
                                        ; =>  This Inner Loop Header: Depth=2
	global_load_b64 v[26:27], v[8:9], off
	global_load_b64 v[28:29], v[10:11], off
	s_wait_alu 0xfffe
	s_add_nc_u64 s[24:25], s[24:25], 8
	v_add_co_u32 v8, vcc_lo, v8, s8
	s_wait_alu 0xfffe
	v_cmp_lt_i64_e64 s26, s[24:25], s[16:17]
	s_wait_alu 0xfffd
	v_add_co_ci_u32_e64 v9, null, s9, v9, vcc_lo
	v_add_co_u32 v10, vcc_lo, v10, s12
	s_wait_alu 0xfffd
	v_add_co_ci_u32_e64 v11, null, s13, v11, vcc_lo
	s_and_b32 vcc_lo, exec_lo, s26
	s_wait_loadcnt 0x1
	ds_store_b64 v12, v[26:27]
	s_wait_loadcnt 0x0
	ds_store_b64 v13, v[28:29]
	s_wait_dscnt 0x0
	s_barrier_signal -1
	s_barrier_wait -1
	global_inv scope:SCOPE_SE
	ds_load_2addr_b64 v[26:29], v14 offset1:16
	ds_load_b128 v[30:33], v15
	ds_load_b128 v[34:37], v15 offset:1024
	ds_load_2addr_b64 v[38:41], v14 offset0:32 offset1:48
	ds_load_b128 v[42:45], v15 offset:16
	ds_load_b128 v[46:49], v15 offset:32
	;; [unrolled: 1-line block ×3, first 2 shown]
	ds_load_2addr_b64 v[54:57], v14 offset0:64 offset1:80
	ds_load_b128 v[58:61], v15 offset:1040
	ds_load_2addr_b64 v[62:65], v14 offset0:96 offset1:112
	ds_load_2addr_b64 v[66:69], v14 offset0:128 offset1:144
	;; [unrolled: 1-line block ×4, first 2 shown]
	ds_load_b128 v[78:81], v15 offset:1056
	ds_load_b128 v[82:85], v15 offset:1072
	ds_load_2addr_b64 v[86:89], v14 offset0:224 offset1:240
	s_wait_loadcnt_dscnt 0x0
	s_barrier_signal -1
	s_barrier_wait -1
	global_inv scope:SCOPE_SE
	v_dual_mul_f32 v90, v31, v27 :: v_dual_mul_f32 v93, v30, v29
	v_dual_mul_f32 v91, v30, v27 :: v_dual_mul_f32 v92, v31, v29
	v_mul_f32_e32 v94, v35, v27
	v_dual_mul_f32 v27, v34, v27 :: v_dual_mul_f32 v98, v33, v41
	v_dual_mul_f32 v95, v35, v29 :: v_dual_mul_f32 v96, v33, v39
	v_mul_f32_e32 v29, v34, v29
	v_mul_f32_e32 v97, v32, v39
	;; [unrolled: 1-line block ×3, first 2 shown]
	v_fma_f32 v90, v30, v26, -v90
	v_fmac_f32_e32 v91, v31, v26
	v_fma_f32 v30, v30, v28, -v92
	v_dual_fmac_f32 v93, v31, v28 :: v_dual_mul_f32 v92, v42, v55
	v_fma_f32 v31, v34, v26, -v94
	v_fmac_f32_e32 v27, v35, v26
	v_fma_f32 v26, v34, v28, -v95
	v_dual_mul_f32 v34, v36, v39 :: v_dual_fmac_f32 v29, v35, v28
	v_mul_f32_e32 v28, v37, v39
	v_mul_f32_e32 v35, v37, v41
	v_dual_mul_f32 v39, v36, v41 :: v_dual_fmac_f32 v92, v43, v54
	v_fma_f32 v41, v32, v38, -v96
	v_fma_f32 v32, v32, v40, -v98
	v_dual_fmac_f32 v99, v33, v40 :: v_dual_mul_f32 v98, v44, v65
	v_dual_mul_f32 v94, v43, v57 :: v_dual_fmac_f32 v97, v33, v38
	v_dual_mul_f32 v33, v43, v55 :: v_dual_mul_f32 v96, v45, v65
	v_fma_f32 v28, v36, v38, -v28
	v_fmac_f32_e32 v34, v37, v38
	v_fma_f32 v35, v36, v40, -v35
	v_dual_fmac_f32 v39, v37, v40 :: v_dual_mul_f32 v36, v59, v55
	v_dual_mul_f32 v37, v58, v55 :: v_dual_mul_f32 v38, v59, v57
	v_mul_f32_e32 v40, v58, v57
	v_mul_f32_e32 v95, v42, v57
	;; [unrolled: 1-line block ×3, first 2 shown]
	v_dual_mul_f32 v57, v44, v63 :: v_dual_fmac_f32 v98, v45, v64
	v_fma_f32 v33, v42, v54, -v33
	v_fma_f32 v42, v42, v56, -v94
	;; [unrolled: 1-line block ×4, first 2 shown]
	v_fmac_f32_e32 v40, v59, v56
	v_fmac_f32_e32 v95, v43, v56
	v_mul_f32_e32 v43, v61, v63
	v_mul_f32_e32 v56, v61, v65
	v_dual_mul_f32 v58, v60, v65 :: v_dual_fmac_f32 v37, v59, v54
	v_mul_f32_e32 v54, v60, v63
	v_fma_f32 v55, v44, v62, -v55
	v_fmac_f32_e32 v57, v45, v62
	v_fma_f32 v44, v44, v64, -v96
	v_mul_f32_e32 v45, v47, v67
	v_dual_mul_f32 v59, v46, v67 :: v_dual_mul_f32 v94, v49, v73
	v_mul_f32_e32 v63, v47, v69
	v_fma_f32 v43, v60, v62, -v43
	v_fmac_f32_e32 v54, v61, v62
	v_fma_f32 v56, v60, v64, -v56
	v_fmac_f32_e32 v58, v61, v64
	v_mul_f32_e32 v60, v79, v67
	v_dual_mul_f32 v61, v78, v67 :: v_dual_mul_f32 v96, v48, v73
	v_mul_f32_e32 v62, v79, v69
	v_mul_f32_e32 v64, v78, v69
	;; [unrolled: 1-line block ×5, first 2 shown]
	v_fma_f32 v45, v46, v66, -v45
	v_dual_fmac_f32 v59, v47, v66 :: v_dual_fmac_f32 v96, v49, v72
	v_fmac_f32_e32 v64, v79, v68
	v_fmac_f32_e32 v65, v47, v68
	v_fma_f32 v47, v78, v66, -v60
	v_fma_f32 v60, v78, v68, -v62
	v_mul_f32_e32 v62, v81, v71
	v_fma_f32 v46, v46, v68, -v63
	v_dual_mul_f32 v68, v80, v73 :: v_dual_fmac_f32 v61, v79, v66
	v_mul_f32_e32 v66, v81, v73
	v_dual_mul_f32 v78, v50, v77 :: v_dual_mul_f32 v63, v80, v71
	v_fma_f32 v67, v48, v70, -v67
	v_fmac_f32_e32 v69, v49, v70
	v_fma_f32 v48, v48, v72, -v94
	v_dual_mul_f32 v49, v51, v75 :: v_dual_mul_f32 v94, v52, v89
	v_mul_f32_e32 v73, v51, v77
	v_fma_f32 v62, v80, v70, -v62
	v_fma_f32 v66, v80, v72, -v66
	v_fmac_f32_e32 v68, v81, v72
	v_mul_f32_e32 v72, v82, v75
	v_mul_f32_e32 v71, v50, v75
	;; [unrolled: 1-line block ×3, first 2 shown]
	v_dual_fmac_f32 v78, v51, v76 :: v_dual_fmac_f32 v63, v81, v70
	v_mul_f32_e32 v70, v83, v75
	v_mul_f32_e32 v75, v83, v77
	s_delay_alu instid0(VALU_DEP_4)
	v_dual_mul_f32 v77, v82, v77 :: v_dual_fmac_f32 v80, v53, v86
	v_mul_f32_e32 v79, v53, v87
	v_fma_f32 v49, v50, v74, -v49
	v_fma_f32 v50, v50, v76, -v73
	v_fmac_f32_e32 v72, v83, v74
	v_dual_fmac_f32 v71, v51, v74 :: v_dual_fmac_f32 v94, v53, v88
	v_fma_f32 v51, v82, v74, -v70
	v_mul_f32_e32 v74, v84, v87
	v_fma_f32 v70, v82, v76, -v75
	v_dual_fmac_f32 v77, v83, v76 :: v_dual_mul_f32 v76, v84, v89
	v_dual_mul_f32 v81, v53, v89 :: v_dual_add_f32 v24, v24, v90
	v_dual_mul_f32 v73, v85, v87 :: v_dual_add_f32 v22, v22, v30
	;; [unrolled: 1-line block ×3, first 2 shown]
	s_delay_alu instid0(VALU_DEP_4) | instskip(SKIP_3) | instid1(VALU_DEP_3)
	v_dual_fmac_f32 v76, v85, v88 :: v_dual_add_f32 v23, v23, v93
	v_dual_add_f32 v25, v25, v91 :: v_dual_add_f32 v18, v18, v29
	v_dual_add_f32 v21, v21, v27 :: v_dual_add_f32 v24, v24, v41
	;; [unrolled: 1-line block ×4, first 2 shown]
	s_delay_alu instid0(VALU_DEP_3) | instskip(NEXT) | instid1(VALU_DEP_4)
	v_dual_add_f32 v23, v23, v99 :: v_dual_add_f32 v24, v24, v33
	v_dual_add_f32 v21, v21, v34 :: v_dual_add_f32 v18, v18, v39
	s_delay_alu instid0(VALU_DEP_4) | instskip(NEXT) | instid1(VALU_DEP_3)
	v_dual_add_f32 v19, v19, v35 :: v_dual_add_f32 v22, v22, v42
	v_dual_add_f32 v25, v25, v92 :: v_dual_add_f32 v24, v24, v55
	s_delay_alu instid0(VALU_DEP_4) | instskip(NEXT) | instid1(VALU_DEP_4)
	v_dual_add_f32 v23, v23, v95 :: v_dual_add_f32 v20, v20, v36
	v_dual_add_f32 v21, v21, v37 :: v_dual_add_f32 v18, v18, v40
	s_delay_alu instid0(VALU_DEP_4) | instskip(NEXT) | instid1(VALU_DEP_3)
	v_dual_add_f32 v19, v19, v38 :: v_dual_add_f32 v22, v22, v44
	v_dual_add_f32 v25, v25, v57 :: v_dual_add_f32 v20, v20, v43
	s_delay_alu instid0(VALU_DEP_4) | instskip(NEXT) | instid1(VALU_DEP_4)
	v_dual_add_f32 v23, v23, v98 :: v_dual_add_f32 v24, v24, v45
	v_add_f32_e32 v21, v21, v54
	s_delay_alu instid0(VALU_DEP_4) | instskip(NEXT) | instid1(VALU_DEP_4)
	v_dual_add_f32 v19, v19, v56 :: v_dual_add_f32 v18, v18, v58
	v_dual_add_f32 v25, v25, v59 :: v_dual_add_f32 v22, v22, v46
	s_delay_alu instid0(VALU_DEP_4) | instskip(NEXT) | instid1(VALU_DEP_4)
	v_dual_add_f32 v23, v23, v65 :: v_dual_add_f32 v20, v20, v47
	v_dual_add_f32 v21, v21, v61 :: v_dual_add_f32 v24, v24, v67
	s_delay_alu instid0(VALU_DEP_4) | instskip(NEXT) | instid1(VALU_DEP_4)
	v_add_f32_e32 v19, v19, v60
	v_dual_add_f32 v18, v18, v64 :: v_dual_add_f32 v25, v25, v69
	v_add_f32_e32 v22, v22, v48
	s_delay_alu instid0(VALU_DEP_4) | instskip(SKIP_1) | instid1(VALU_DEP_4)
	v_dual_add_f32 v23, v23, v96 :: v_dual_add_f32 v24, v24, v49
	v_dual_add_f32 v20, v20, v62 :: v_dual_add_f32 v21, v21, v63
	;; [unrolled: 1-line block ×3, first 2 shown]
	v_fma_f32 v79, v52, v86, -v79
	v_fma_f32 v52, v52, v88, -v81
	;; [unrolled: 1-line block ×3, first 2 shown]
	v_fmac_f32_e32 v74, v85, v86
	v_fma_f32 v73, v84, v88, -v75
	v_dual_add_f32 v25, v25, v71 :: v_dual_add_f32 v22, v22, v50
	v_dual_add_f32 v23, v23, v78 :: v_dual_add_f32 v18, v18, v77
	;; [unrolled: 1-line block ×4, first 2 shown]
	s_delay_alu instid0(VALU_DEP_4) | instskip(NEXT) | instid1(VALU_DEP_3)
	v_add_f32_e32 v22, v22, v52
	v_dual_add_f32 v25, v25, v80 :: v_dual_add_f32 v20, v20, v53
	v_dual_add_f32 v23, v23, v94 :: v_dual_add_f32 v18, v18, v76
	v_add_f32_e32 v21, v21, v74
	v_add_f32_e32 v19, v19, v73
	s_wait_alu 0xfffe
	s_cbranch_vccnz .LBB100_5
.LBB100_6:                              ;   in Loop: Header=BB100_3 Depth=1
	s_mul_u64 s[24:25], s[22:23], s[28:29]
	s_and_b32 vcc_lo, exec_lo, s1
	s_wait_alu 0xfffe
	s_lshl_b64 s[24:25], s[24:25], 3
	s_mov_b32 s26, -1
	s_wait_alu 0xfffe
	s_add_nc_u64 s[24:25], s[6:7], s[24:25]
                                        ; implicit-def: $vgpr10
                                        ; implicit-def: $vgpr8_vgpr9
	s_cbranch_vccz .LBB100_8
; %bb.7:                                ;   in Loop: Header=BB100_3 Depth=1
	s_and_not1_b32 vcc_lo, exec_lo, s26
	s_wait_alu 0xfffe
	s_cbranch_vccnz .LBB100_2
	s_branch .LBB100_9
.LBB100_8:                              ;   in Loop: Header=BB100_3 Depth=1
	v_mul_f32_e32 v27, s18, v25
	v_mul_f32_e32 v8, s19, v25
	s_wait_alu 0xfffe
	v_add_co_u32 v9, vcc_lo, s24, v4
	s_wait_alu 0xfffd
	v_add_co_ci_u32_e64 v10, null, s25, v5, vcc_lo
	v_fmac_f32_e32 v27, s19, v24
	v_fma_f32 v26, v24, s18, -v8
	v_mul_f32_e32 v8, s19, v23
	v_add_co_u32 v30, vcc_lo, v9, v6
	v_mul_f32_e32 v29, s18, v23
	s_wait_alu 0xfffd
	v_add_co_ci_u32_e64 v31, null, v10, v7, vcc_lo
	v_fma_f32 v28, v22, s18, -v8
	v_mul_f32_e32 v8, s19, v21
	v_add_co_u32 v9, vcc_lo, v9, s20
	v_mul_f32_e32 v33, s18, v21
	s_wait_alu 0xfffd
	v_add_co_ci_u32_e64 v11, null, s21, v10, vcc_lo
	v_fma_f32 v32, v20, s18, -v8
	v_mul_f32_e32 v8, s19, v18
	v_add_co_u32 v34, vcc_lo, v9, v6
	v_dual_fmac_f32 v33, s19, v20 :: v_dual_mul_f32 v10, s18, v18
	s_wait_alu 0xfffd
	v_add_co_ci_u32_e64 v35, null, v11, v7, vcc_lo
	v_fma_f32 v11, v19, s18, -v8
	v_add_co_u32 v8, vcc_lo, 0x80, v34
	v_dual_fmac_f32 v29, s19, v22 :: v_dual_fmac_f32 v10, s19, v19
	s_wait_alu 0xfffd
	v_add_co_ci_u32_e64 v9, null, 0, v35, vcc_lo
	s_clause 0x3
	global_store_b64 v[30:31], v[26:27], off
	global_store_b64 v[30:31], v[28:29], off offset:128
	global_store_b64 v[34:35], v[32:33], off
	global_store_b32 v[34:35], v11, off offset:128
	s_cbranch_execnz .LBB100_2
.LBB100_9:                              ;   in Loop: Header=BB100_3 Depth=1
	s_mul_u64 s[26:27], s[4:5], s[28:29]
	s_wait_alu 0xfffe
	s_lshl_b64 s[26:27], s[26:27], 3
	s_wait_alu 0xfffe
	v_add_co_u32 v26, vcc_lo, v16, s26
	s_wait_alu 0xfffd
	v_add_co_ci_u32_e64 v27, null, s27, v17, vcc_lo
	s_delay_alu instid0(VALU_DEP_2) | instskip(SKIP_1) | instid1(VALU_DEP_2)
	v_add_co_u32 v8, vcc_lo, v26, v6
	s_wait_alu 0xfffd
	v_add_co_ci_u32_e64 v9, null, v27, v7, vcc_lo
	v_add_co_u32 v31, vcc_lo, s24, v4
	s_wait_alu 0xfffd
	v_add_co_ci_u32_e64 v32, null, s25, v5, vcc_lo
	global_load_b64 v[10:11], v[8:9], off
	v_mul_f32_e32 v28, s19, v25
	s_wait_loadcnt 0x0
	v_dual_mul_f32 v25, s18, v25 :: v_dual_mul_f32 v30, s30, v11
	v_mul_f32_e32 v29, s31, v11
	s_delay_alu instid0(VALU_DEP_3) | instskip(NEXT) | instid1(VALU_DEP_3)
	v_fma_f32 v28, v24, s18, -v28
	v_dual_fmac_f32 v25, s19, v24 :: v_dual_fmac_f32 v30, s31, v10
	s_delay_alu instid0(VALU_DEP_3) | instskip(SKIP_3) | instid1(VALU_DEP_3)
	v_fma_f32 v24, v10, s30, -v29
	v_add_co_u32 v10, vcc_lo, v31, v6
	s_wait_alu 0xfffd
	v_add_co_ci_u32_e64 v11, null, v32, v7, vcc_lo
	v_dual_add_f32 v24, v28, v24 :: v_dual_add_f32 v25, v25, v30
	global_store_b64 v[10:11], v[24:25], off
	global_load_b64 v[8:9], v[8:9], off offset:128
	s_wait_loadcnt 0x0
	v_dual_mul_f32 v24, s19, v23 :: v_dual_mul_f32 v25, s31, v9
	s_delay_alu instid0(VALU_DEP_1) | instskip(SKIP_2) | instid1(VALU_DEP_2)
	v_fma_f32 v24, v22, s18, -v24
	v_mul_f32_e32 v23, s18, v23
	v_mul_f32_e32 v9, s30, v9
	v_fmac_f32_e32 v23, s19, v22
	v_fma_f32 v22, v8, s30, -v25
	v_add_co_u32 v25, vcc_lo, v26, s14
	s_delay_alu instid0(VALU_DEP_4)
	v_fmac_f32_e32 v9, s31, v8
	s_wait_alu 0xfffd
	v_add_co_ci_u32_e64 v26, null, s15, v27, vcc_lo
	v_add_f32_e32 v8, v24, v22
	v_add_co_u32 v22, vcc_lo, v25, v6
	v_add_f32_e32 v9, v23, v9
	s_wait_alu 0xfffd
	v_add_co_ci_u32_e64 v23, null, v26, v7, vcc_lo
	v_add_co_u32 v24, vcc_lo, v31, s20
	global_store_b64 v[10:11], v[8:9], off offset:128
	global_load_b64 v[8:9], v[22:23], off
	v_mul_f32_e32 v10, s19, v21
	v_mul_f32_e32 v11, s18, v21
	s_wait_alu 0xfffd
	v_add_co_ci_u32_e64 v25, null, s21, v32, vcc_lo
	s_delay_alu instid0(VALU_DEP_3) | instskip(NEXT) | instid1(VALU_DEP_3)
	v_fma_f32 v10, v20, s18, -v10
	v_fmac_f32_e32 v11, s19, v20
	v_add_co_u32 v20, vcc_lo, v24, v6
	s_wait_loadcnt 0x0
	v_mul_f32_e32 v21, s31, v9
	v_mul_f32_e32 v9, s30, v9
	s_delay_alu instid0(VALU_DEP_2) | instskip(NEXT) | instid1(VALU_DEP_2)
	v_fma_f32 v26, v8, s30, -v21
	v_fmac_f32_e32 v9, s31, v8
	s_wait_alu 0xfffd
	v_add_co_ci_u32_e64 v21, null, v25, v7, vcc_lo
	s_delay_alu instid0(VALU_DEP_2)
	v_dual_add_f32 v8, v10, v26 :: v_dual_add_f32 v9, v11, v9
	v_mul_f32_e32 v10, s19, v18
	v_mul_f32_e32 v11, s18, v18
	global_store_b64 v[20:21], v[8:9], off
	global_load_b64 v[8:9], v[22:23], off offset:128
	v_fma_f32 v10, v19, s18, -v10
	s_wait_loadcnt 0x0
	v_dual_fmac_f32 v11, s19, v19 :: v_dual_mul_f32 v18, s31, v9
	v_mul_f32_e32 v9, s30, v9
	s_delay_alu instid0(VALU_DEP_2) | instskip(NEXT) | instid1(VALU_DEP_2)
	v_fma_f32 v18, v8, s30, -v18
	v_fmac_f32_e32 v9, s31, v8
	v_add_co_u32 v8, vcc_lo, 0x80, v20
	s_delay_alu instid0(VALU_DEP_3) | instskip(NEXT) | instid1(VALU_DEP_3)
	v_add_f32_e32 v18, v10, v18
	v_add_f32_e32 v10, v11, v9
	s_wait_alu 0xfffd
	v_add_co_ci_u32_e64 v9, null, 0, v21, vcc_lo
	global_store_b32 v[20:21], v18, off offset:128
	s_branch .LBB100_2
.LBB100_10:
	s_nop 0
	s_sendmsg sendmsg(MSG_DEALLOC_VGPRS)
	s_endpgm
	.section	.rodata,"a",@progbits
	.p2align	6, 0x0
	.amdhsa_kernel _ZN12_GLOBAL__N_127rocblas_gemm_batched_kernelI19rocblas_complex_numIfELi16ELi16ELi32ELi32ELi8ELi32ELi8ELi8ELi32ELc78ELc84EKS2_S3_S2_EEvlllT_PT11_llS6_llS4_PT12_llPT13_lli
		.amdhsa_group_segment_fixed_size 4096
		.amdhsa_private_segment_fixed_size 0
		.amdhsa_kernarg_size 140
		.amdhsa_user_sgpr_count 2
		.amdhsa_user_sgpr_dispatch_ptr 0
		.amdhsa_user_sgpr_queue_ptr 0
		.amdhsa_user_sgpr_kernarg_segment_ptr 1
		.amdhsa_user_sgpr_dispatch_id 0
		.amdhsa_user_sgpr_private_segment_size 0
		.amdhsa_wavefront_size32 1
		.amdhsa_uses_dynamic_stack 0
		.amdhsa_enable_private_segment 0
		.amdhsa_system_sgpr_workgroup_id_x 1
		.amdhsa_system_sgpr_workgroup_id_y 1
		.amdhsa_system_sgpr_workgroup_id_z 1
		.amdhsa_system_sgpr_workgroup_info 0
		.amdhsa_system_vgpr_workitem_id 1
		.amdhsa_next_free_vgpr 100
		.amdhsa_next_free_sgpr 37
		.amdhsa_reserve_vcc 1
		.amdhsa_float_round_mode_32 0
		.amdhsa_float_round_mode_16_64 0
		.amdhsa_float_denorm_mode_32 3
		.amdhsa_float_denorm_mode_16_64 3
		.amdhsa_fp16_overflow 0
		.amdhsa_workgroup_processor_mode 1
		.amdhsa_memory_ordered 1
		.amdhsa_forward_progress 1
		.amdhsa_inst_pref_size 22
		.amdhsa_round_robin_scheduling 0
		.amdhsa_exception_fp_ieee_invalid_op 0
		.amdhsa_exception_fp_denorm_src 0
		.amdhsa_exception_fp_ieee_div_zero 0
		.amdhsa_exception_fp_ieee_overflow 0
		.amdhsa_exception_fp_ieee_underflow 0
		.amdhsa_exception_fp_ieee_inexact 0
		.amdhsa_exception_int_div_zero 0
	.end_amdhsa_kernel
	.section	.text._ZN12_GLOBAL__N_127rocblas_gemm_batched_kernelI19rocblas_complex_numIfELi16ELi16ELi32ELi32ELi8ELi32ELi8ELi8ELi32ELc78ELc84EKS2_S3_S2_EEvlllT_PT11_llS6_llS4_PT12_llPT13_lli,"axG",@progbits,_ZN12_GLOBAL__N_127rocblas_gemm_batched_kernelI19rocblas_complex_numIfELi16ELi16ELi32ELi32ELi8ELi32ELi8ELi8ELi32ELc78ELc84EKS2_S3_S2_EEvlllT_PT11_llS6_llS4_PT12_llPT13_lli,comdat
.Lfunc_end100:
	.size	_ZN12_GLOBAL__N_127rocblas_gemm_batched_kernelI19rocblas_complex_numIfELi16ELi16ELi32ELi32ELi8ELi32ELi8ELi8ELi32ELc78ELc84EKS2_S3_S2_EEvlllT_PT11_llS6_llS4_PT12_llPT13_lli, .Lfunc_end100-_ZN12_GLOBAL__N_127rocblas_gemm_batched_kernelI19rocblas_complex_numIfELi16ELi16ELi32ELi32ELi8ELi32ELi8ELi8ELi32ELc78ELc84EKS2_S3_S2_EEvlllT_PT11_llS6_llS4_PT12_llPT13_lli
                                        ; -- End function
	.set _ZN12_GLOBAL__N_127rocblas_gemm_batched_kernelI19rocblas_complex_numIfELi16ELi16ELi32ELi32ELi8ELi32ELi8ELi8ELi32ELc78ELc84EKS2_S3_S2_EEvlllT_PT11_llS6_llS4_PT12_llPT13_lli.num_vgpr, 100
	.set _ZN12_GLOBAL__N_127rocblas_gemm_batched_kernelI19rocblas_complex_numIfELi16ELi16ELi32ELi32ELi8ELi32ELi8ELi8ELi32ELc78ELc84EKS2_S3_S2_EEvlllT_PT11_llS6_llS4_PT12_llPT13_lli.num_agpr, 0
	.set _ZN12_GLOBAL__N_127rocblas_gemm_batched_kernelI19rocblas_complex_numIfELi16ELi16ELi32ELi32ELi8ELi32ELi8ELi8ELi32ELc78ELc84EKS2_S3_S2_EEvlllT_PT11_llS6_llS4_PT12_llPT13_lli.numbered_sgpr, 37
	.set _ZN12_GLOBAL__N_127rocblas_gemm_batched_kernelI19rocblas_complex_numIfELi16ELi16ELi32ELi32ELi8ELi32ELi8ELi8ELi32ELc78ELc84EKS2_S3_S2_EEvlllT_PT11_llS6_llS4_PT12_llPT13_lli.num_named_barrier, 0
	.set _ZN12_GLOBAL__N_127rocblas_gemm_batched_kernelI19rocblas_complex_numIfELi16ELi16ELi32ELi32ELi8ELi32ELi8ELi8ELi32ELc78ELc84EKS2_S3_S2_EEvlllT_PT11_llS6_llS4_PT12_llPT13_lli.private_seg_size, 0
	.set _ZN12_GLOBAL__N_127rocblas_gemm_batched_kernelI19rocblas_complex_numIfELi16ELi16ELi32ELi32ELi8ELi32ELi8ELi8ELi32ELc78ELc84EKS2_S3_S2_EEvlllT_PT11_llS6_llS4_PT12_llPT13_lli.uses_vcc, 1
	.set _ZN12_GLOBAL__N_127rocblas_gemm_batched_kernelI19rocblas_complex_numIfELi16ELi16ELi32ELi32ELi8ELi32ELi8ELi8ELi32ELc78ELc84EKS2_S3_S2_EEvlllT_PT11_llS6_llS4_PT12_llPT13_lli.uses_flat_scratch, 0
	.set _ZN12_GLOBAL__N_127rocblas_gemm_batched_kernelI19rocblas_complex_numIfELi16ELi16ELi32ELi32ELi8ELi32ELi8ELi8ELi32ELc78ELc84EKS2_S3_S2_EEvlllT_PT11_llS6_llS4_PT12_llPT13_lli.has_dyn_sized_stack, 0
	.set _ZN12_GLOBAL__N_127rocblas_gemm_batched_kernelI19rocblas_complex_numIfELi16ELi16ELi32ELi32ELi8ELi32ELi8ELi8ELi32ELc78ELc84EKS2_S3_S2_EEvlllT_PT11_llS6_llS4_PT12_llPT13_lli.has_recursion, 0
	.set _ZN12_GLOBAL__N_127rocblas_gemm_batched_kernelI19rocblas_complex_numIfELi16ELi16ELi32ELi32ELi8ELi32ELi8ELi8ELi32ELc78ELc84EKS2_S3_S2_EEvlllT_PT11_llS6_llS4_PT12_llPT13_lli.has_indirect_call, 0
	.section	.AMDGPU.csdata,"",@progbits
; Kernel info:
; codeLenInByte = 2812
; TotalNumSgprs: 39
; NumVgprs: 100
; ScratchSize: 0
; MemoryBound: 0
; FloatMode: 240
; IeeeMode: 1
; LDSByteSize: 4096 bytes/workgroup (compile time only)
; SGPRBlocks: 0
; VGPRBlocks: 12
; NumSGPRsForWavesPerEU: 39
; NumVGPRsForWavesPerEU: 100
; Occupancy: 12
; WaveLimiterHint : 1
; COMPUTE_PGM_RSRC2:SCRATCH_EN: 0
; COMPUTE_PGM_RSRC2:USER_SGPR: 2
; COMPUTE_PGM_RSRC2:TRAP_HANDLER: 0
; COMPUTE_PGM_RSRC2:TGID_X_EN: 1
; COMPUTE_PGM_RSRC2:TGID_Y_EN: 1
; COMPUTE_PGM_RSRC2:TGID_Z_EN: 1
; COMPUTE_PGM_RSRC2:TIDIG_COMP_CNT: 1
	.section	.text._ZN12_GLOBAL__N_127rocblas_gemm_batched_kernelI19rocblas_complex_numIfELi16ELi16ELi32ELi32ELi8ELi32ELi8ELi8ELi32ELc84ELc84EKS2_S3_S2_EEvlllT_PT11_llS6_llS4_PT12_llPT13_lli,"axG",@progbits,_ZN12_GLOBAL__N_127rocblas_gemm_batched_kernelI19rocblas_complex_numIfELi16ELi16ELi32ELi32ELi8ELi32ELi8ELi8ELi32ELc84ELc84EKS2_S3_S2_EEvlllT_PT11_llS6_llS4_PT12_llPT13_lli,comdat
	.globl	_ZN12_GLOBAL__N_127rocblas_gemm_batched_kernelI19rocblas_complex_numIfELi16ELi16ELi32ELi32ELi8ELi32ELi8ELi8ELi32ELc84ELc84EKS2_S3_S2_EEvlllT_PT11_llS6_llS4_PT12_llPT13_lli ; -- Begin function _ZN12_GLOBAL__N_127rocblas_gemm_batched_kernelI19rocblas_complex_numIfELi16ELi16ELi32ELi32ELi8ELi32ELi8ELi8ELi32ELc84ELc84EKS2_S3_S2_EEvlllT_PT11_llS6_llS4_PT12_llPT13_lli
	.p2align	8
	.type	_ZN12_GLOBAL__N_127rocblas_gemm_batched_kernelI19rocblas_complex_numIfELi16ELi16ELi32ELi32ELi8ELi32ELi8ELi8ELi32ELc84ELc84EKS2_S3_S2_EEvlllT_PT11_llS6_llS4_PT12_llPT13_lli,@function
_ZN12_GLOBAL__N_127rocblas_gemm_batched_kernelI19rocblas_complex_numIfELi16ELi16ELi32ELi32ELi8ELi32ELi8ELi8ELi32ELc84ELc84EKS2_S3_S2_EEvlllT_PT11_llS6_llS4_PT12_llPT13_lli: ; @_ZN12_GLOBAL__N_127rocblas_gemm_batched_kernelI19rocblas_complex_numIfELi16ELi16ELi32ELi32ELi8ELi32ELi8ELi8ELi32ELc84ELc84EKS2_S3_S2_EEvlllT_PT11_llS6_llS4_PT12_llPT13_lli
; %bb.0:
	s_load_b32 s33, s[0:1], 0x88
	s_lshr_b32 s2, ttmp7, 16
	s_wait_kmcnt 0x0
	s_cmp_ge_i32 s2, s33
	s_cbranch_scc1 .LBB101_10
; %bb.1:
	v_and_b32_e32 v11, 0x3ff, v0
	v_bfe_u32 v6, v0, 10, 10
	s_clause 0x2
	s_load_b128 s[28:31], s[0:1], 0x40
	s_load_b128 s[20:23], s[0:1], 0x10
	s_load_b256 s[4:11], s[0:1], 0x58
	s_lshl_b32 s3, ttmp7, 5
	s_clause 0x2
	s_load_b256 s[12:19], s[0:1], 0x20
	s_load_b128 s[24:27], s[0:1], 0x78
	s_load_b64 s[34:35], s[0:1], 0x50
	v_lshl_add_u32 v2, v6, 4, v11
	s_and_b32 s38, s3, 0x1fffe0
	v_and_b32_e32 v4, 7, v0
	v_add_nc_u32_e32 v9, s38, v6
	s_mov_b32 s36, ttmp9
	v_lshrrev_b32_e32 v3, 3, v2
	v_and_b32_e32 v7, 31, v2
	v_lshlrev_b32_e32 v5, 3, v4
	v_lshrrev_b32_e32 v16, 5, v2
	s_ashr_i32 s37, ttmp9, 31
	v_add_co_u32 v0, s3, v3, s38
	s_delay_alu instid0(VALU_DEP_1)
	v_add_co_ci_u32_e64 v1, null, 0, 0, s3
	v_lshl_or_b32 v5, v3, 6, v5
	v_lshlrev_b32_e32 v8, 3, v7
	s_lshl_b64 s[0:1], s[36:37], 5
	s_wait_kmcnt 0x0
	v_mad_co_u64_u32 v[0:1], null, s28, v4, v[0:1]
	v_add_nc_u32_e32 v14, 0x800, v5
	v_lshl_or_b32 v13, v16, 8, v8
	v_or_b32_e32 v8, s0, v7
	v_lshl_add_u32 v15, v6, 6, 0x800
	s_or_b32 s36, s34, s35
	s_mov_b32 s3, 0
	v_mad_co_u64_u32 v[1:2], null, s29, v4, v[1:2]
	v_mad_co_u64_u32 v[2:3], null, v9, s6, 0
	;; [unrolled: 1-line block ×3, first 2 shown]
	s_bitset0_b32 s36, 31
	s_delay_alu instid0(SALU_CYCLE_1)
	s_cmp_eq_u32 s36, 0
	s_cselect_b32 s36, -1, 0
	v_mad_co_u64_u32 v[6:7], null, v9, s7, v[3:4]
	v_mov_b32_e32 v3, v5
	v_mul_lo_u32 v5, s15, v8
	v_mad_co_u64_u32 v[7:8], null, s14, v8, 0
	v_lshlrev_b32_e32 v12, 3, v11
	s_delay_alu instid0(VALU_DEP_4)
	v_mad_co_u64_u32 v[9:10], null, v9, s25, v[3:4]
	v_mov_b32_e32 v3, v6
	s_mul_i32 s14, s14, s1
	v_add_co_u32 v10, s0, s0, v11
	s_wait_alu 0xfffe
	v_add3_u32 v8, v8, s14, v5
	v_lshlrev_b64_e32 v[2:3], 3, v[2:3]
	s_wait_alu 0xf1ff
	v_add_co_ci_u32_e64 v11, null, s1, 0, s0
	v_cmp_gt_i64_e64 s0, s[20:21], 0
	v_lshlrev_b64_e32 v[6:7], 3, v[7:8]
	v_lshlrev_b32_e32 v8, 3, v16
	v_add_co_u32 v16, vcc_lo, s4, v2
	s_delay_alu instid0(VALU_DEP_1) | instskip(NEXT) | instid1(VALU_DEP_3)
	v_add_co_ci_u32_e64 v17, null, s5, v3, vcc_lo
	v_add_co_u32 v6, vcc_lo, v6, v8
	v_lshlrev_b64_e32 v[2:3], 3, v[0:1]
	s_wait_alu 0xfffd
	v_add_co_ci_u32_e64 v7, null, 0, v7, vcc_lo
	v_mov_b32_e32 v5, v9
	v_add_co_u32 v0, vcc_lo, s12, v6
	s_wait_alu 0xf1ff
	v_cndmask_b32_e64 v6, 0, 1, s0
	v_cndmask_b32_e64 v8, 0, 1, s36
	s_wait_alu 0xfffd
	v_add_co_ci_u32_e64 v1, null, s13, v7, vcc_lo
	v_add_co_u32 v2, vcc_lo, s18, v2
	v_cmp_ne_u32_e64 s0, 1, v6
	v_lshlrev_b64_e32 v[4:5], 3, v[4:5]
	v_lshlrev_b64_e32 v[6:7], 3, v[10:11]
	s_wait_alu 0xfffd
	v_add_co_ci_u32_e64 v3, null, s19, v3, vcc_lo
	v_cmp_ne_u32_e64 s1, 1, v8
	s_lshl_b64 s[24:25], s[24:25], 4
	s_lshl_b64 s[14:15], s[6:7], 4
	;; [unrolled: 1-line block ×5, first 2 shown]
	s_wait_alu 0xfffe
	s_lshl_b64 s[14:15], s[14:15], 3
	s_lshl_b64 s[16:17], s[24:25], 3
	s_branch .LBB101_3
.LBB101_2:                              ;   in Loop: Header=BB101_3 Depth=1
	s_add_co_i32 s2, s2, 0x10000
	global_store_b32 v[8:9], v10, off offset:4
	s_wait_alu 0xfffe
	s_cmp_lt_i32 s2, s33
	s_cbranch_scc0 .LBB101_10
.LBB101_3:                              ; =>This Loop Header: Depth=1
                                        ;     Child Loop BB101_5 Depth 2
	v_dual_mov_b32 v24, 0 :: v_dual_mov_b32 v25, 0
	v_dual_mov_b32 v22, 0 :: v_dual_mov_b32 v23, 0
	;; [unrolled: 1-line block ×4, first 2 shown]
	s_and_b32 vcc_lo, exec_lo, s0
	s_wait_alu 0xfffe
	s_cbranch_vccnz .LBB101_6
; %bb.4:                                ;   in Loop: Header=BB101_3 Depth=1
	v_mad_co_u64_u32 v[8:9], null, s4, s2, v[0:1]
	v_mad_co_u64_u32 v[10:11], null, s6, s2, v[2:3]
	v_dual_mov_b32 v18, 0 :: v_dual_mov_b32 v19, 0
	v_dual_mov_b32 v21, 0 :: v_dual_mov_b32 v20, 0
	;; [unrolled: 1-line block ×3, first 2 shown]
	s_delay_alu instid0(VALU_DEP_4) | instskip(SKIP_3) | instid1(VALU_DEP_3)
	v_mad_co_u64_u32 v[24:25], null, s5, s2, v[9:10]
	v_mad_co_u64_u32 v[26:27], null, s7, s2, v[11:12]
	v_mov_b32_e32 v25, 0
	s_mov_b64 s[18:19], 0
	v_dual_mov_b32 v9, v24 :: v_dual_mov_b32 v24, 0
	s_delay_alu instid0(VALU_DEP_3)
	v_mov_b32_e32 v11, v26
.LBB101_5:                              ;   Parent Loop BB101_3 Depth=1
                                        ; =>  This Inner Loop Header: Depth=2
	global_load_b64 v[26:27], v[8:9], off
	global_load_b64 v[28:29], v[10:11], off
	s_wait_alu 0xfffe
	s_add_nc_u64 s[18:19], s[18:19], 8
	v_add_co_u32 v8, vcc_lo, v8, 64
	s_wait_alu 0xfffe
	v_cmp_lt_i64_e64 s24, s[18:19], s[20:21]
	s_wait_alu 0xfffd
	v_add_co_ci_u32_e64 v9, null, 0, v9, vcc_lo
	v_add_co_u32 v10, vcc_lo, v10, s12
	s_wait_alu 0xfffd
	v_add_co_ci_u32_e64 v11, null, s13, v11, vcc_lo
	s_and_b32 vcc_lo, exec_lo, s24
	s_wait_loadcnt 0x1
	ds_store_b64 v13, v[26:27]
	s_wait_loadcnt 0x0
	ds_store_b64 v14, v[28:29]
	s_wait_dscnt 0x0
	s_barrier_signal -1
	s_barrier_wait -1
	global_inv scope:SCOPE_SE
	ds_load_2addr_b64 v[26:29], v12 offset1:16
	ds_load_b128 v[30:33], v15
	ds_load_b128 v[34:37], v15 offset:1024
	ds_load_2addr_b64 v[38:41], v12 offset0:32 offset1:48
	ds_load_b128 v[42:45], v15 offset:16
	ds_load_b128 v[46:49], v15 offset:32
	;; [unrolled: 1-line block ×3, first 2 shown]
	ds_load_2addr_b64 v[54:57], v12 offset0:64 offset1:80
	ds_load_b128 v[58:61], v15 offset:1040
	ds_load_2addr_b64 v[62:65], v12 offset0:96 offset1:112
	ds_load_2addr_b64 v[66:69], v12 offset0:128 offset1:144
	;; [unrolled: 1-line block ×4, first 2 shown]
	ds_load_b128 v[78:81], v15 offset:1056
	ds_load_b128 v[82:85], v15 offset:1072
	ds_load_2addr_b64 v[86:89], v12 offset0:224 offset1:240
	s_wait_loadcnt_dscnt 0x0
	s_barrier_signal -1
	s_barrier_wait -1
	global_inv scope:SCOPE_SE
	v_dual_mul_f32 v90, v31, v27 :: v_dual_mul_f32 v93, v30, v29
	v_dual_mul_f32 v91, v30, v27 :: v_dual_mul_f32 v92, v31, v29
	v_mul_f32_e32 v94, v35, v27
	v_dual_mul_f32 v27, v34, v27 :: v_dual_mul_f32 v98, v33, v41
	v_dual_mul_f32 v95, v35, v29 :: v_dual_mul_f32 v96, v33, v39
	v_mul_f32_e32 v29, v34, v29
	v_mul_f32_e32 v97, v32, v39
	;; [unrolled: 1-line block ×3, first 2 shown]
	v_fma_f32 v90, v30, v26, -v90
	v_fmac_f32_e32 v91, v31, v26
	v_fma_f32 v30, v30, v28, -v92
	v_dual_fmac_f32 v93, v31, v28 :: v_dual_mul_f32 v92, v42, v55
	v_fma_f32 v31, v34, v26, -v94
	v_fmac_f32_e32 v27, v35, v26
	v_fma_f32 v26, v34, v28, -v95
	v_dual_mul_f32 v34, v36, v39 :: v_dual_fmac_f32 v29, v35, v28
	v_mul_f32_e32 v28, v37, v39
	v_mul_f32_e32 v35, v37, v41
	v_dual_mul_f32 v39, v36, v41 :: v_dual_fmac_f32 v92, v43, v54
	v_fma_f32 v41, v32, v38, -v96
	v_fma_f32 v32, v32, v40, -v98
	v_dual_fmac_f32 v99, v33, v40 :: v_dual_mul_f32 v98, v44, v65
	v_dual_mul_f32 v94, v43, v57 :: v_dual_fmac_f32 v97, v33, v38
	v_dual_mul_f32 v33, v43, v55 :: v_dual_mul_f32 v96, v45, v65
	v_fma_f32 v28, v36, v38, -v28
	v_fmac_f32_e32 v34, v37, v38
	v_fma_f32 v35, v36, v40, -v35
	v_dual_fmac_f32 v39, v37, v40 :: v_dual_mul_f32 v36, v59, v55
	v_dual_mul_f32 v37, v58, v55 :: v_dual_mul_f32 v38, v59, v57
	v_mul_f32_e32 v40, v58, v57
	v_mul_f32_e32 v95, v42, v57
	;; [unrolled: 1-line block ×3, first 2 shown]
	v_dual_mul_f32 v57, v44, v63 :: v_dual_fmac_f32 v98, v45, v64
	v_fma_f32 v33, v42, v54, -v33
	v_fma_f32 v42, v42, v56, -v94
	;; [unrolled: 1-line block ×4, first 2 shown]
	v_fmac_f32_e32 v40, v59, v56
	v_fmac_f32_e32 v95, v43, v56
	v_mul_f32_e32 v43, v61, v63
	v_mul_f32_e32 v56, v61, v65
	v_dual_mul_f32 v58, v60, v65 :: v_dual_fmac_f32 v37, v59, v54
	v_mul_f32_e32 v54, v60, v63
	v_fma_f32 v55, v44, v62, -v55
	v_fmac_f32_e32 v57, v45, v62
	v_fma_f32 v44, v44, v64, -v96
	v_mul_f32_e32 v45, v47, v67
	v_dual_mul_f32 v59, v46, v67 :: v_dual_mul_f32 v94, v49, v73
	v_mul_f32_e32 v63, v47, v69
	v_fma_f32 v43, v60, v62, -v43
	v_fmac_f32_e32 v54, v61, v62
	v_fma_f32 v56, v60, v64, -v56
	v_fmac_f32_e32 v58, v61, v64
	v_mul_f32_e32 v60, v79, v67
	v_dual_mul_f32 v61, v78, v67 :: v_dual_mul_f32 v96, v48, v73
	v_mul_f32_e32 v62, v79, v69
	v_mul_f32_e32 v64, v78, v69
	v_mul_f32_e32 v65, v46, v69
	v_mul_f32_e32 v67, v49, v71
	v_mul_f32_e32 v69, v48, v71
	v_fma_f32 v45, v46, v66, -v45
	v_dual_fmac_f32 v59, v47, v66 :: v_dual_fmac_f32 v96, v49, v72
	v_fmac_f32_e32 v64, v79, v68
	v_fmac_f32_e32 v65, v47, v68
	v_fma_f32 v47, v78, v66, -v60
	v_fma_f32 v60, v78, v68, -v62
	v_mul_f32_e32 v62, v81, v71
	v_fma_f32 v46, v46, v68, -v63
	v_dual_mul_f32 v68, v80, v73 :: v_dual_fmac_f32 v61, v79, v66
	v_mul_f32_e32 v66, v81, v73
	v_dual_mul_f32 v78, v50, v77 :: v_dual_mul_f32 v63, v80, v71
	v_fma_f32 v67, v48, v70, -v67
	v_fmac_f32_e32 v69, v49, v70
	v_fma_f32 v48, v48, v72, -v94
	v_dual_mul_f32 v49, v51, v75 :: v_dual_mul_f32 v94, v52, v89
	v_mul_f32_e32 v73, v51, v77
	v_fma_f32 v62, v80, v70, -v62
	v_fma_f32 v66, v80, v72, -v66
	v_fmac_f32_e32 v68, v81, v72
	v_mul_f32_e32 v72, v82, v75
	v_mul_f32_e32 v71, v50, v75
	;; [unrolled: 1-line block ×3, first 2 shown]
	v_dual_fmac_f32 v78, v51, v76 :: v_dual_fmac_f32 v63, v81, v70
	v_mul_f32_e32 v70, v83, v75
	v_mul_f32_e32 v75, v83, v77
	s_delay_alu instid0(VALU_DEP_4)
	v_dual_mul_f32 v77, v82, v77 :: v_dual_fmac_f32 v80, v53, v86
	v_mul_f32_e32 v79, v53, v87
	v_fma_f32 v49, v50, v74, -v49
	v_fma_f32 v50, v50, v76, -v73
	v_fmac_f32_e32 v72, v83, v74
	v_dual_fmac_f32 v71, v51, v74 :: v_dual_fmac_f32 v94, v53, v88
	v_fma_f32 v51, v82, v74, -v70
	v_mul_f32_e32 v74, v84, v87
	v_fma_f32 v70, v82, v76, -v75
	v_dual_fmac_f32 v77, v83, v76 :: v_dual_mul_f32 v76, v84, v89
	v_dual_mul_f32 v81, v53, v89 :: v_dual_add_f32 v24, v24, v90
	v_dual_mul_f32 v73, v85, v87 :: v_dual_add_f32 v22, v22, v30
	v_dual_mul_f32 v75, v85, v89 :: v_dual_add_f32 v20, v20, v31
	s_delay_alu instid0(VALU_DEP_4) | instskip(SKIP_3) | instid1(VALU_DEP_3)
	v_dual_fmac_f32 v76, v85, v88 :: v_dual_add_f32 v23, v23, v93
	v_dual_add_f32 v25, v25, v91 :: v_dual_add_f32 v18, v18, v29
	v_dual_add_f32 v21, v21, v27 :: v_dual_add_f32 v24, v24, v41
	;; [unrolled: 1-line block ×4, first 2 shown]
	s_delay_alu instid0(VALU_DEP_3) | instskip(NEXT) | instid1(VALU_DEP_4)
	v_dual_add_f32 v23, v23, v99 :: v_dual_add_f32 v24, v24, v33
	v_dual_add_f32 v21, v21, v34 :: v_dual_add_f32 v18, v18, v39
	s_delay_alu instid0(VALU_DEP_4) | instskip(NEXT) | instid1(VALU_DEP_3)
	v_dual_add_f32 v19, v19, v35 :: v_dual_add_f32 v22, v22, v42
	v_dual_add_f32 v25, v25, v92 :: v_dual_add_f32 v24, v24, v55
	s_delay_alu instid0(VALU_DEP_4) | instskip(NEXT) | instid1(VALU_DEP_4)
	v_dual_add_f32 v23, v23, v95 :: v_dual_add_f32 v20, v20, v36
	v_dual_add_f32 v21, v21, v37 :: v_dual_add_f32 v18, v18, v40
	s_delay_alu instid0(VALU_DEP_4) | instskip(NEXT) | instid1(VALU_DEP_3)
	v_dual_add_f32 v19, v19, v38 :: v_dual_add_f32 v22, v22, v44
	v_dual_add_f32 v25, v25, v57 :: v_dual_add_f32 v20, v20, v43
	s_delay_alu instid0(VALU_DEP_4) | instskip(NEXT) | instid1(VALU_DEP_4)
	v_dual_add_f32 v23, v23, v98 :: v_dual_add_f32 v24, v24, v45
	v_add_f32_e32 v21, v21, v54
	s_delay_alu instid0(VALU_DEP_4) | instskip(NEXT) | instid1(VALU_DEP_4)
	v_dual_add_f32 v19, v19, v56 :: v_dual_add_f32 v18, v18, v58
	v_dual_add_f32 v25, v25, v59 :: v_dual_add_f32 v22, v22, v46
	s_delay_alu instid0(VALU_DEP_4) | instskip(NEXT) | instid1(VALU_DEP_4)
	v_dual_add_f32 v23, v23, v65 :: v_dual_add_f32 v20, v20, v47
	v_dual_add_f32 v21, v21, v61 :: v_dual_add_f32 v24, v24, v67
	s_delay_alu instid0(VALU_DEP_4) | instskip(NEXT) | instid1(VALU_DEP_4)
	v_add_f32_e32 v19, v19, v60
	v_dual_add_f32 v18, v18, v64 :: v_dual_add_f32 v25, v25, v69
	v_add_f32_e32 v22, v22, v48
	s_delay_alu instid0(VALU_DEP_4) | instskip(SKIP_1) | instid1(VALU_DEP_4)
	v_dual_add_f32 v23, v23, v96 :: v_dual_add_f32 v24, v24, v49
	v_dual_add_f32 v20, v20, v62 :: v_dual_add_f32 v21, v21, v63
	;; [unrolled: 1-line block ×3, first 2 shown]
	v_fma_f32 v79, v52, v86, -v79
	v_fma_f32 v52, v52, v88, -v81
	;; [unrolled: 1-line block ×3, first 2 shown]
	v_fmac_f32_e32 v74, v85, v86
	v_fma_f32 v73, v84, v88, -v75
	v_dual_add_f32 v25, v25, v71 :: v_dual_add_f32 v22, v22, v50
	v_dual_add_f32 v23, v23, v78 :: v_dual_add_f32 v18, v18, v77
	;; [unrolled: 1-line block ×4, first 2 shown]
	s_delay_alu instid0(VALU_DEP_4) | instskip(NEXT) | instid1(VALU_DEP_3)
	v_add_f32_e32 v22, v22, v52
	v_dual_add_f32 v25, v25, v80 :: v_dual_add_f32 v20, v20, v53
	v_dual_add_f32 v23, v23, v94 :: v_dual_add_f32 v18, v18, v76
	v_add_f32_e32 v21, v21, v74
	v_add_f32_e32 v19, v19, v73
	s_wait_alu 0xfffe
	s_cbranch_vccnz .LBB101_5
.LBB101_6:                              ;   in Loop: Header=BB101_3 Depth=1
	s_mul_u64 s[18:19], s[26:27], s[2:3]
	s_and_b32 vcc_lo, exec_lo, s1
	s_wait_alu 0xfffe
	s_lshl_b64 s[18:19], s[18:19], 3
	s_mov_b32 s24, -1
	s_wait_alu 0xfffe
	s_add_nc_u64 s[18:19], s[10:11], s[18:19]
                                        ; implicit-def: $vgpr10
                                        ; implicit-def: $vgpr8_vgpr9
	s_cbranch_vccz .LBB101_8
; %bb.7:                                ;   in Loop: Header=BB101_3 Depth=1
	s_and_not1_b32 vcc_lo, exec_lo, s24
	s_wait_alu 0xfffe
	s_cbranch_vccnz .LBB101_2
	s_branch .LBB101_9
.LBB101_8:                              ;   in Loop: Header=BB101_3 Depth=1
	v_mul_f32_e32 v27, s22, v25
	v_mul_f32_e32 v8, s23, v25
	s_wait_alu 0xfffe
	v_add_co_u32 v9, vcc_lo, s18, v4
	s_wait_alu 0xfffd
	v_add_co_ci_u32_e64 v10, null, s19, v5, vcc_lo
	v_fmac_f32_e32 v27, s23, v24
	v_fma_f32 v26, v24, s22, -v8
	v_mul_f32_e32 v8, s23, v23
	v_add_co_u32 v30, vcc_lo, v9, v6
	v_mul_f32_e32 v29, s22, v23
	s_wait_alu 0xfffd
	v_add_co_ci_u32_e64 v31, null, v10, v7, vcc_lo
	v_fma_f32 v28, v22, s22, -v8
	v_mul_f32_e32 v8, s23, v21
	v_add_co_u32 v9, vcc_lo, v9, s16
	v_mul_f32_e32 v33, s22, v21
	s_wait_alu 0xfffd
	v_add_co_ci_u32_e64 v11, null, s17, v10, vcc_lo
	v_fma_f32 v32, v20, s22, -v8
	v_mul_f32_e32 v8, s23, v18
	v_add_co_u32 v34, vcc_lo, v9, v6
	v_dual_fmac_f32 v33, s23, v20 :: v_dual_mul_f32 v10, s22, v18
	s_wait_alu 0xfffd
	v_add_co_ci_u32_e64 v35, null, v11, v7, vcc_lo
	v_fma_f32 v11, v19, s22, -v8
	v_add_co_u32 v8, vcc_lo, 0x80, v34
	v_dual_fmac_f32 v29, s23, v22 :: v_dual_fmac_f32 v10, s23, v19
	s_wait_alu 0xfffd
	v_add_co_ci_u32_e64 v9, null, 0, v35, vcc_lo
	s_clause 0x3
	global_store_b64 v[30:31], v[26:27], off
	global_store_b64 v[30:31], v[28:29], off offset:128
	global_store_b64 v[34:35], v[32:33], off
	global_store_b32 v[34:35], v11, off offset:128
	s_cbranch_execnz .LBB101_2
.LBB101_9:                              ;   in Loop: Header=BB101_3 Depth=1
	s_mul_u64 s[24:25], s[8:9], s[2:3]
	s_wait_alu 0xfffe
	s_lshl_b64 s[24:25], s[24:25], 3
	s_wait_alu 0xfffe
	v_add_co_u32 v26, vcc_lo, v16, s24
	s_wait_alu 0xfffd
	v_add_co_ci_u32_e64 v27, null, s25, v17, vcc_lo
	s_delay_alu instid0(VALU_DEP_2) | instskip(SKIP_1) | instid1(VALU_DEP_2)
	v_add_co_u32 v8, vcc_lo, v26, v6
	s_wait_alu 0xfffd
	v_add_co_ci_u32_e64 v9, null, v27, v7, vcc_lo
	v_add_co_u32 v31, vcc_lo, s18, v4
	s_wait_alu 0xfffd
	v_add_co_ci_u32_e64 v32, null, s19, v5, vcc_lo
	global_load_b64 v[10:11], v[8:9], off
	v_mul_f32_e32 v28, s23, v25
	s_wait_loadcnt 0x0
	v_dual_mul_f32 v25, s22, v25 :: v_dual_mul_f32 v30, s34, v11
	v_mul_f32_e32 v29, s35, v11
	s_delay_alu instid0(VALU_DEP_3) | instskip(NEXT) | instid1(VALU_DEP_3)
	v_fma_f32 v28, v24, s22, -v28
	v_dual_fmac_f32 v25, s23, v24 :: v_dual_fmac_f32 v30, s35, v10
	s_delay_alu instid0(VALU_DEP_3) | instskip(SKIP_3) | instid1(VALU_DEP_3)
	v_fma_f32 v24, v10, s34, -v29
	v_add_co_u32 v10, vcc_lo, v31, v6
	s_wait_alu 0xfffd
	v_add_co_ci_u32_e64 v11, null, v32, v7, vcc_lo
	v_dual_add_f32 v24, v28, v24 :: v_dual_add_f32 v25, v25, v30
	global_store_b64 v[10:11], v[24:25], off
	global_load_b64 v[8:9], v[8:9], off offset:128
	s_wait_loadcnt 0x0
	v_dual_mul_f32 v24, s23, v23 :: v_dual_mul_f32 v25, s35, v9
	s_delay_alu instid0(VALU_DEP_1) | instskip(SKIP_2) | instid1(VALU_DEP_2)
	v_fma_f32 v24, v22, s22, -v24
	v_mul_f32_e32 v23, s22, v23
	v_mul_f32_e32 v9, s34, v9
	v_fmac_f32_e32 v23, s23, v22
	v_fma_f32 v22, v8, s34, -v25
	v_add_co_u32 v25, vcc_lo, v26, s14
	s_delay_alu instid0(VALU_DEP_4)
	v_fmac_f32_e32 v9, s35, v8
	s_wait_alu 0xfffd
	v_add_co_ci_u32_e64 v26, null, s15, v27, vcc_lo
	v_add_f32_e32 v8, v24, v22
	v_add_co_u32 v22, vcc_lo, v25, v6
	v_add_f32_e32 v9, v23, v9
	s_wait_alu 0xfffd
	v_add_co_ci_u32_e64 v23, null, v26, v7, vcc_lo
	v_add_co_u32 v24, vcc_lo, v31, s16
	global_store_b64 v[10:11], v[8:9], off offset:128
	global_load_b64 v[8:9], v[22:23], off
	v_mul_f32_e32 v10, s23, v21
	v_mul_f32_e32 v11, s22, v21
	s_wait_alu 0xfffd
	v_add_co_ci_u32_e64 v25, null, s17, v32, vcc_lo
	s_delay_alu instid0(VALU_DEP_3) | instskip(NEXT) | instid1(VALU_DEP_3)
	v_fma_f32 v10, v20, s22, -v10
	v_fmac_f32_e32 v11, s23, v20
	v_add_co_u32 v20, vcc_lo, v24, v6
	s_wait_loadcnt 0x0
	v_mul_f32_e32 v21, s35, v9
	v_mul_f32_e32 v9, s34, v9
	s_delay_alu instid0(VALU_DEP_2) | instskip(NEXT) | instid1(VALU_DEP_2)
	v_fma_f32 v26, v8, s34, -v21
	v_fmac_f32_e32 v9, s35, v8
	s_wait_alu 0xfffd
	v_add_co_ci_u32_e64 v21, null, v25, v7, vcc_lo
	s_delay_alu instid0(VALU_DEP_2)
	v_dual_add_f32 v8, v10, v26 :: v_dual_add_f32 v9, v11, v9
	v_mul_f32_e32 v10, s23, v18
	v_mul_f32_e32 v11, s22, v18
	global_store_b64 v[20:21], v[8:9], off
	global_load_b64 v[8:9], v[22:23], off offset:128
	v_fma_f32 v10, v19, s22, -v10
	s_wait_loadcnt 0x0
	v_dual_fmac_f32 v11, s23, v19 :: v_dual_mul_f32 v18, s35, v9
	v_mul_f32_e32 v9, s34, v9
	s_delay_alu instid0(VALU_DEP_2) | instskip(NEXT) | instid1(VALU_DEP_2)
	v_fma_f32 v18, v8, s34, -v18
	v_fmac_f32_e32 v9, s35, v8
	v_add_co_u32 v8, vcc_lo, 0x80, v20
	s_delay_alu instid0(VALU_DEP_3) | instskip(NEXT) | instid1(VALU_DEP_3)
	v_add_f32_e32 v18, v10, v18
	v_add_f32_e32 v10, v11, v9
	s_wait_alu 0xfffd
	v_add_co_ci_u32_e64 v9, null, 0, v21, vcc_lo
	global_store_b32 v[20:21], v18, off offset:128
	s_branch .LBB101_2
.LBB101_10:
	s_nop 0
	s_sendmsg sendmsg(MSG_DEALLOC_VGPRS)
	s_endpgm
	.section	.rodata,"a",@progbits
	.p2align	6, 0x0
	.amdhsa_kernel _ZN12_GLOBAL__N_127rocblas_gemm_batched_kernelI19rocblas_complex_numIfELi16ELi16ELi32ELi32ELi8ELi32ELi8ELi8ELi32ELc84ELc84EKS2_S3_S2_EEvlllT_PT11_llS6_llS4_PT12_llPT13_lli
		.amdhsa_group_segment_fixed_size 4096
		.amdhsa_private_segment_fixed_size 0
		.amdhsa_kernarg_size 140
		.amdhsa_user_sgpr_count 2
		.amdhsa_user_sgpr_dispatch_ptr 0
		.amdhsa_user_sgpr_queue_ptr 0
		.amdhsa_user_sgpr_kernarg_segment_ptr 1
		.amdhsa_user_sgpr_dispatch_id 0
		.amdhsa_user_sgpr_private_segment_size 0
		.amdhsa_wavefront_size32 1
		.amdhsa_uses_dynamic_stack 0
		.amdhsa_enable_private_segment 0
		.amdhsa_system_sgpr_workgroup_id_x 1
		.amdhsa_system_sgpr_workgroup_id_y 1
		.amdhsa_system_sgpr_workgroup_id_z 1
		.amdhsa_system_sgpr_workgroup_info 0
		.amdhsa_system_vgpr_workitem_id 1
		.amdhsa_next_free_vgpr 100
		.amdhsa_next_free_sgpr 39
		.amdhsa_reserve_vcc 1
		.amdhsa_float_round_mode_32 0
		.amdhsa_float_round_mode_16_64 0
		.amdhsa_float_denorm_mode_32 3
		.amdhsa_float_denorm_mode_16_64 3
		.amdhsa_fp16_overflow 0
		.amdhsa_workgroup_processor_mode 1
		.amdhsa_memory_ordered 1
		.amdhsa_forward_progress 1
		.amdhsa_inst_pref_size 22
		.amdhsa_round_robin_scheduling 0
		.amdhsa_exception_fp_ieee_invalid_op 0
		.amdhsa_exception_fp_denorm_src 0
		.amdhsa_exception_fp_ieee_div_zero 0
		.amdhsa_exception_fp_ieee_overflow 0
		.amdhsa_exception_fp_ieee_underflow 0
		.amdhsa_exception_fp_ieee_inexact 0
		.amdhsa_exception_int_div_zero 0
	.end_amdhsa_kernel
	.section	.text._ZN12_GLOBAL__N_127rocblas_gemm_batched_kernelI19rocblas_complex_numIfELi16ELi16ELi32ELi32ELi8ELi32ELi8ELi8ELi32ELc84ELc84EKS2_S3_S2_EEvlllT_PT11_llS6_llS4_PT12_llPT13_lli,"axG",@progbits,_ZN12_GLOBAL__N_127rocblas_gemm_batched_kernelI19rocblas_complex_numIfELi16ELi16ELi32ELi32ELi8ELi32ELi8ELi8ELi32ELc84ELc84EKS2_S3_S2_EEvlllT_PT11_llS6_llS4_PT12_llPT13_lli,comdat
.Lfunc_end101:
	.size	_ZN12_GLOBAL__N_127rocblas_gemm_batched_kernelI19rocblas_complex_numIfELi16ELi16ELi32ELi32ELi8ELi32ELi8ELi8ELi32ELc84ELc84EKS2_S3_S2_EEvlllT_PT11_llS6_llS4_PT12_llPT13_lli, .Lfunc_end101-_ZN12_GLOBAL__N_127rocblas_gemm_batched_kernelI19rocblas_complex_numIfELi16ELi16ELi32ELi32ELi8ELi32ELi8ELi8ELi32ELc84ELc84EKS2_S3_S2_EEvlllT_PT11_llS6_llS4_PT12_llPT13_lli
                                        ; -- End function
	.set _ZN12_GLOBAL__N_127rocblas_gemm_batched_kernelI19rocblas_complex_numIfELi16ELi16ELi32ELi32ELi8ELi32ELi8ELi8ELi32ELc84ELc84EKS2_S3_S2_EEvlllT_PT11_llS6_llS4_PT12_llPT13_lli.num_vgpr, 100
	.set _ZN12_GLOBAL__N_127rocblas_gemm_batched_kernelI19rocblas_complex_numIfELi16ELi16ELi32ELi32ELi8ELi32ELi8ELi8ELi32ELc84ELc84EKS2_S3_S2_EEvlllT_PT11_llS6_llS4_PT12_llPT13_lli.num_agpr, 0
	.set _ZN12_GLOBAL__N_127rocblas_gemm_batched_kernelI19rocblas_complex_numIfELi16ELi16ELi32ELi32ELi8ELi32ELi8ELi8ELi32ELc84ELc84EKS2_S3_S2_EEvlllT_PT11_llS6_llS4_PT12_llPT13_lli.numbered_sgpr, 39
	.set _ZN12_GLOBAL__N_127rocblas_gemm_batched_kernelI19rocblas_complex_numIfELi16ELi16ELi32ELi32ELi8ELi32ELi8ELi8ELi32ELc84ELc84EKS2_S3_S2_EEvlllT_PT11_llS6_llS4_PT12_llPT13_lli.num_named_barrier, 0
	.set _ZN12_GLOBAL__N_127rocblas_gemm_batched_kernelI19rocblas_complex_numIfELi16ELi16ELi32ELi32ELi8ELi32ELi8ELi8ELi32ELc84ELc84EKS2_S3_S2_EEvlllT_PT11_llS6_llS4_PT12_llPT13_lli.private_seg_size, 0
	.set _ZN12_GLOBAL__N_127rocblas_gemm_batched_kernelI19rocblas_complex_numIfELi16ELi16ELi32ELi32ELi8ELi32ELi8ELi8ELi32ELc84ELc84EKS2_S3_S2_EEvlllT_PT11_llS6_llS4_PT12_llPT13_lli.uses_vcc, 1
	.set _ZN12_GLOBAL__N_127rocblas_gemm_batched_kernelI19rocblas_complex_numIfELi16ELi16ELi32ELi32ELi8ELi32ELi8ELi8ELi32ELc84ELc84EKS2_S3_S2_EEvlllT_PT11_llS6_llS4_PT12_llPT13_lli.uses_flat_scratch, 0
	.set _ZN12_GLOBAL__N_127rocblas_gemm_batched_kernelI19rocblas_complex_numIfELi16ELi16ELi32ELi32ELi8ELi32ELi8ELi8ELi32ELc84ELc84EKS2_S3_S2_EEvlllT_PT11_llS6_llS4_PT12_llPT13_lli.has_dyn_sized_stack, 0
	.set _ZN12_GLOBAL__N_127rocblas_gemm_batched_kernelI19rocblas_complex_numIfELi16ELi16ELi32ELi32ELi8ELi32ELi8ELi8ELi32ELc84ELc84EKS2_S3_S2_EEvlllT_PT11_llS6_llS4_PT12_llPT13_lli.has_recursion, 0
	.set _ZN12_GLOBAL__N_127rocblas_gemm_batched_kernelI19rocblas_complex_numIfELi16ELi16ELi32ELi32ELi8ELi32ELi8ELi8ELi32ELc84ELc84EKS2_S3_S2_EEvlllT_PT11_llS6_llS4_PT12_llPT13_lli.has_indirect_call, 0
	.section	.AMDGPU.csdata,"",@progbits
; Kernel info:
; codeLenInByte = 2800
; TotalNumSgprs: 41
; NumVgprs: 100
; ScratchSize: 0
; MemoryBound: 0
; FloatMode: 240
; IeeeMode: 1
; LDSByteSize: 4096 bytes/workgroup (compile time only)
; SGPRBlocks: 0
; VGPRBlocks: 12
; NumSGPRsForWavesPerEU: 41
; NumVGPRsForWavesPerEU: 100
; Occupancy: 12
; WaveLimiterHint : 1
; COMPUTE_PGM_RSRC2:SCRATCH_EN: 0
; COMPUTE_PGM_RSRC2:USER_SGPR: 2
; COMPUTE_PGM_RSRC2:TRAP_HANDLER: 0
; COMPUTE_PGM_RSRC2:TGID_X_EN: 1
; COMPUTE_PGM_RSRC2:TGID_Y_EN: 1
; COMPUTE_PGM_RSRC2:TGID_Z_EN: 1
; COMPUTE_PGM_RSRC2:TIDIG_COMP_CNT: 1
	.section	.text._ZN12_GLOBAL__N_127rocblas_gemm_batched_kernelI19rocblas_complex_numIfELi16ELi16ELi32ELi32ELi8ELi32ELi8ELi8ELi32ELc67ELc67EKS2_S3_S2_EEvlllT_PT11_llS6_llS4_PT12_llPT13_lli,"axG",@progbits,_ZN12_GLOBAL__N_127rocblas_gemm_batched_kernelI19rocblas_complex_numIfELi16ELi16ELi32ELi32ELi8ELi32ELi8ELi8ELi32ELc67ELc67EKS2_S3_S2_EEvlllT_PT11_llS6_llS4_PT12_llPT13_lli,comdat
	.globl	_ZN12_GLOBAL__N_127rocblas_gemm_batched_kernelI19rocblas_complex_numIfELi16ELi16ELi32ELi32ELi8ELi32ELi8ELi8ELi32ELc67ELc67EKS2_S3_S2_EEvlllT_PT11_llS6_llS4_PT12_llPT13_lli ; -- Begin function _ZN12_GLOBAL__N_127rocblas_gemm_batched_kernelI19rocblas_complex_numIfELi16ELi16ELi32ELi32ELi8ELi32ELi8ELi8ELi32ELc67ELc67EKS2_S3_S2_EEvlllT_PT11_llS6_llS4_PT12_llPT13_lli
	.p2align	8
	.type	_ZN12_GLOBAL__N_127rocblas_gemm_batched_kernelI19rocblas_complex_numIfELi16ELi16ELi32ELi32ELi8ELi32ELi8ELi8ELi32ELc67ELc67EKS2_S3_S2_EEvlllT_PT11_llS6_llS4_PT12_llPT13_lli,@function
_ZN12_GLOBAL__N_127rocblas_gemm_batched_kernelI19rocblas_complex_numIfELi16ELi16ELi32ELi32ELi8ELi32ELi8ELi8ELi32ELc67ELc67EKS2_S3_S2_EEvlllT_PT11_llS6_llS4_PT12_llPT13_lli: ; @_ZN12_GLOBAL__N_127rocblas_gemm_batched_kernelI19rocblas_complex_numIfELi16ELi16ELi32ELi32ELi8ELi32ELi8ELi8ELi32ELc67ELc67EKS2_S3_S2_EEvlllT_PT11_llS6_llS4_PT12_llPT13_lli
; %bb.0:
	s_load_b32 s33, s[0:1], 0x88
	s_lshr_b32 s2, ttmp7, 16
	s_wait_kmcnt 0x0
	s_cmp_ge_i32 s2, s33
	s_cbranch_scc1 .LBB102_10
; %bb.1:
	v_and_b32_e32 v11, 0x3ff, v0
	v_bfe_u32 v6, v0, 10, 10
	s_clause 0x2
	s_load_b128 s[28:31], s[0:1], 0x40
	s_load_b128 s[20:23], s[0:1], 0x10
	s_load_b256 s[4:11], s[0:1], 0x58
	s_lshl_b32 s3, ttmp7, 5
	s_clause 0x2
	s_load_b256 s[12:19], s[0:1], 0x20
	s_load_b128 s[24:27], s[0:1], 0x78
	s_load_b64 s[34:35], s[0:1], 0x50
	v_lshl_add_u32 v2, v6, 4, v11
	s_and_b32 s38, s3, 0x1fffe0
	v_and_b32_e32 v4, 7, v0
	v_add_nc_u32_e32 v9, s38, v6
	s_mov_b32 s36, ttmp9
	v_lshrrev_b32_e32 v3, 3, v2
	v_and_b32_e32 v7, 31, v2
	v_lshlrev_b32_e32 v5, 3, v4
	v_lshrrev_b32_e32 v16, 5, v2
	s_ashr_i32 s37, ttmp9, 31
	v_add_co_u32 v0, s3, v3, s38
	s_delay_alu instid0(VALU_DEP_1)
	v_add_co_ci_u32_e64 v1, null, 0, 0, s3
	v_lshl_or_b32 v5, v3, 6, v5
	v_lshlrev_b32_e32 v8, 3, v7
	s_lshl_b64 s[0:1], s[36:37], 5
	s_wait_kmcnt 0x0
	v_mad_co_u64_u32 v[0:1], null, s28, v4, v[0:1]
	v_add_nc_u32_e32 v14, 0x800, v5
	v_lshl_or_b32 v13, v16, 8, v8
	v_or_b32_e32 v8, s0, v7
	v_lshl_add_u32 v15, v6, 6, 0x800
	s_or_b32 s36, s34, s35
	s_mov_b32 s3, 0
	v_mad_co_u64_u32 v[1:2], null, s29, v4, v[1:2]
	v_mad_co_u64_u32 v[2:3], null, v9, s6, 0
	v_mad_co_u64_u32 v[4:5], null, v9, s24, 0
	s_bitset0_b32 s36, 31
	s_delay_alu instid0(SALU_CYCLE_1)
	s_cmp_eq_u32 s36, 0
	s_cselect_b32 s36, -1, 0
	v_mad_co_u64_u32 v[6:7], null, v9, s7, v[3:4]
	v_mov_b32_e32 v3, v5
	v_mul_lo_u32 v5, s15, v8
	v_mad_co_u64_u32 v[7:8], null, s14, v8, 0
	v_lshlrev_b32_e32 v12, 3, v11
	s_delay_alu instid0(VALU_DEP_4)
	v_mad_co_u64_u32 v[9:10], null, v9, s25, v[3:4]
	v_mov_b32_e32 v3, v6
	s_mul_i32 s14, s14, s1
	v_add_co_u32 v10, s0, s0, v11
	s_wait_alu 0xfffe
	v_add3_u32 v8, v8, s14, v5
	v_lshlrev_b64_e32 v[2:3], 3, v[2:3]
	s_wait_alu 0xf1ff
	v_add_co_ci_u32_e64 v11, null, s1, 0, s0
	v_cmp_gt_i64_e64 s0, s[20:21], 0
	v_lshlrev_b64_e32 v[6:7], 3, v[7:8]
	v_lshlrev_b32_e32 v8, 3, v16
	v_add_co_u32 v16, vcc_lo, s4, v2
	s_delay_alu instid0(VALU_DEP_1) | instskip(NEXT) | instid1(VALU_DEP_3)
	v_add_co_ci_u32_e64 v17, null, s5, v3, vcc_lo
	v_add_co_u32 v6, vcc_lo, v6, v8
	v_lshlrev_b64_e32 v[2:3], 3, v[0:1]
	s_wait_alu 0xfffd
	v_add_co_ci_u32_e64 v7, null, 0, v7, vcc_lo
	s_delay_alu instid0(VALU_DEP_3) | instskip(SKIP_2) | instid1(VALU_DEP_3)
	v_add_co_u32 v0, vcc_lo, s12, v6
	v_mov_b32_e32 v5, v9
	s_wait_alu 0xfffd
	v_add_co_ci_u32_e64 v1, null, s13, v7, vcc_lo
	v_add_co_u32 v2, vcc_lo, s18, v2
	s_wait_alu 0xf1ff
	v_cndmask_b32_e64 v6, 0, 1, s0
	s_wait_alu 0xfffd
	v_add_co_ci_u32_e64 v3, null, s19, v3, vcc_lo
	v_cndmask_b32_e64 v8, 0, 1, s36
	v_add_co_u32 v2, vcc_lo, v2, 4
	v_cmp_ne_u32_e64 s0, 1, v6
	v_lshlrev_b64_e32 v[4:5], 3, v[4:5]
	v_lshlrev_b64_e32 v[6:7], 3, v[10:11]
	s_wait_alu 0xfffd
	v_add_co_ci_u32_e64 v3, null, 0, v3, vcc_lo
	v_cmp_ne_u32_e64 s1, 1, v8
	s_lshl_b64 s[24:25], s[24:25], 4
	s_lshl_b64 s[14:15], s[6:7], 4
	;; [unrolled: 1-line block ×5, first 2 shown]
	s_wait_alu 0xfffe
	s_lshl_b64 s[14:15], s[14:15], 3
	s_lshl_b64 s[16:17], s[24:25], 3
	s_branch .LBB102_3
.LBB102_2:                              ;   in Loop: Header=BB102_3 Depth=1
	s_add_co_i32 s2, s2, 0x10000
	global_store_b32 v[8:9], v10, off offset:4
	s_wait_alu 0xfffe
	s_cmp_lt_i32 s2, s33
	s_cbranch_scc0 .LBB102_10
.LBB102_3:                              ; =>This Loop Header: Depth=1
                                        ;     Child Loop BB102_5 Depth 2
	v_dual_mov_b32 v24, 0 :: v_dual_mov_b32 v25, 0
	v_dual_mov_b32 v22, 0 :: v_dual_mov_b32 v23, 0
	;; [unrolled: 1-line block ×4, first 2 shown]
	s_and_b32 vcc_lo, exec_lo, s0
	s_wait_alu 0xfffe
	s_cbranch_vccnz .LBB102_6
; %bb.4:                                ;   in Loop: Header=BB102_3 Depth=1
	v_mad_co_u64_u32 v[8:9], null, s4, s2, v[0:1]
	v_mad_co_u64_u32 v[10:11], null, s6, s2, v[2:3]
	v_dual_mov_b32 v18, 0 :: v_dual_mov_b32 v19, 0
	v_dual_mov_b32 v21, 0 :: v_dual_mov_b32 v20, 0
	;; [unrolled: 1-line block ×3, first 2 shown]
	s_delay_alu instid0(VALU_DEP_4) | instskip(SKIP_3) | instid1(VALU_DEP_3)
	v_mad_co_u64_u32 v[24:25], null, s5, s2, v[9:10]
	v_mad_co_u64_u32 v[26:27], null, s7, s2, v[11:12]
	v_mov_b32_e32 v25, 0
	s_mov_b64 s[18:19], 0
	v_dual_mov_b32 v9, v24 :: v_dual_mov_b32 v24, 0
	s_delay_alu instid0(VALU_DEP_3)
	v_mov_b32_e32 v11, v26
.LBB102_5:                              ;   Parent Loop BB102_3 Depth=1
                                        ; =>  This Inner Loop Header: Depth=2
	global_load_b64 v[26:27], v[8:9], off
	global_load_b64 v[28:29], v[10:11], off offset:-4
	s_wait_alu 0xfffe
	s_add_nc_u64 s[18:19], s[18:19], 8
	v_add_co_u32 v8, vcc_lo, v8, 64
	s_wait_alu 0xfffe
	v_cmp_lt_i64_e64 s24, s[18:19], s[20:21]
	s_wait_alu 0xfffd
	v_add_co_ci_u32_e64 v9, null, 0, v9, vcc_lo
	v_add_co_u32 v10, vcc_lo, v10, s12
	s_wait_alu 0xfffd
	v_add_co_ci_u32_e64 v11, null, s13, v11, vcc_lo
	s_and_b32 vcc_lo, exec_lo, s24
	s_wait_loadcnt 0x1
	v_xor_b32_e32 v27, 0x80000000, v27
	s_wait_loadcnt 0x0
	v_xor_b32_e32 v29, 0x80000000, v29
	ds_store_b64 v13, v[26:27]
	ds_store_b64 v14, v[28:29]
	s_wait_dscnt 0x0
	s_barrier_signal -1
	s_barrier_wait -1
	global_inv scope:SCOPE_SE
	ds_load_2addr_b64 v[26:29], v12 offset1:16
	ds_load_b128 v[30:33], v15
	ds_load_b128 v[34:37], v15 offset:1024
	ds_load_2addr_b64 v[38:41], v12 offset0:32 offset1:48
	ds_load_b128 v[42:45], v15 offset:16
	ds_load_b128 v[46:49], v15 offset:32
	;; [unrolled: 1-line block ×3, first 2 shown]
	ds_load_2addr_b64 v[54:57], v12 offset0:64 offset1:80
	ds_load_b128 v[58:61], v15 offset:1040
	ds_load_2addr_b64 v[62:65], v12 offset0:96 offset1:112
	ds_load_2addr_b64 v[66:69], v12 offset0:128 offset1:144
	;; [unrolled: 1-line block ×4, first 2 shown]
	ds_load_b128 v[78:81], v15 offset:1056
	ds_load_b128 v[82:85], v15 offset:1072
	ds_load_2addr_b64 v[86:89], v12 offset0:224 offset1:240
	s_wait_loadcnt_dscnt 0x0
	s_barrier_signal -1
	s_barrier_wait -1
	global_inv scope:SCOPE_SE
	v_dual_mul_f32 v90, v31, v27 :: v_dual_mul_f32 v93, v30, v29
	v_dual_mul_f32 v91, v30, v27 :: v_dual_mul_f32 v92, v31, v29
	v_mul_f32_e32 v94, v35, v27
	v_dual_mul_f32 v27, v34, v27 :: v_dual_mul_f32 v98, v33, v41
	v_dual_mul_f32 v95, v35, v29 :: v_dual_mul_f32 v96, v33, v39
	v_mul_f32_e32 v29, v34, v29
	v_mul_f32_e32 v97, v32, v39
	v_mul_f32_e32 v99, v32, v41
	v_fma_f32 v90, v30, v26, -v90
	v_fmac_f32_e32 v91, v31, v26
	v_fma_f32 v30, v30, v28, -v92
	v_dual_fmac_f32 v93, v31, v28 :: v_dual_mul_f32 v92, v42, v55
	v_fma_f32 v31, v34, v26, -v94
	v_fmac_f32_e32 v27, v35, v26
	v_fma_f32 v26, v34, v28, -v95
	v_dual_mul_f32 v34, v36, v39 :: v_dual_fmac_f32 v29, v35, v28
	v_mul_f32_e32 v28, v37, v39
	v_mul_f32_e32 v35, v37, v41
	v_dual_mul_f32 v39, v36, v41 :: v_dual_fmac_f32 v92, v43, v54
	v_fma_f32 v41, v32, v38, -v96
	v_fma_f32 v32, v32, v40, -v98
	v_dual_fmac_f32 v99, v33, v40 :: v_dual_mul_f32 v98, v44, v65
	v_dual_mul_f32 v94, v43, v57 :: v_dual_fmac_f32 v97, v33, v38
	v_dual_mul_f32 v33, v43, v55 :: v_dual_mul_f32 v96, v45, v65
	v_fma_f32 v28, v36, v38, -v28
	v_fmac_f32_e32 v34, v37, v38
	v_fma_f32 v35, v36, v40, -v35
	v_dual_fmac_f32 v39, v37, v40 :: v_dual_mul_f32 v36, v59, v55
	v_dual_mul_f32 v37, v58, v55 :: v_dual_mul_f32 v38, v59, v57
	v_mul_f32_e32 v40, v58, v57
	v_mul_f32_e32 v95, v42, v57
	;; [unrolled: 1-line block ×3, first 2 shown]
	v_dual_mul_f32 v57, v44, v63 :: v_dual_fmac_f32 v98, v45, v64
	v_fma_f32 v33, v42, v54, -v33
	v_fma_f32 v42, v42, v56, -v94
	;; [unrolled: 1-line block ×4, first 2 shown]
	v_fmac_f32_e32 v40, v59, v56
	v_fmac_f32_e32 v95, v43, v56
	v_mul_f32_e32 v43, v61, v63
	v_mul_f32_e32 v56, v61, v65
	v_dual_mul_f32 v58, v60, v65 :: v_dual_fmac_f32 v37, v59, v54
	v_mul_f32_e32 v54, v60, v63
	v_fma_f32 v55, v44, v62, -v55
	v_fmac_f32_e32 v57, v45, v62
	v_fma_f32 v44, v44, v64, -v96
	v_mul_f32_e32 v45, v47, v67
	v_dual_mul_f32 v59, v46, v67 :: v_dual_mul_f32 v94, v49, v73
	v_mul_f32_e32 v63, v47, v69
	v_fma_f32 v43, v60, v62, -v43
	v_fmac_f32_e32 v54, v61, v62
	v_fma_f32 v56, v60, v64, -v56
	v_fmac_f32_e32 v58, v61, v64
	v_mul_f32_e32 v60, v79, v67
	v_dual_mul_f32 v61, v78, v67 :: v_dual_mul_f32 v96, v48, v73
	v_mul_f32_e32 v62, v79, v69
	v_mul_f32_e32 v64, v78, v69
	;; [unrolled: 1-line block ×5, first 2 shown]
	v_fma_f32 v45, v46, v66, -v45
	v_dual_fmac_f32 v59, v47, v66 :: v_dual_fmac_f32 v96, v49, v72
	v_fmac_f32_e32 v64, v79, v68
	v_fmac_f32_e32 v65, v47, v68
	v_fma_f32 v47, v78, v66, -v60
	v_fma_f32 v60, v78, v68, -v62
	v_mul_f32_e32 v62, v81, v71
	v_fma_f32 v46, v46, v68, -v63
	v_dual_mul_f32 v68, v80, v73 :: v_dual_fmac_f32 v61, v79, v66
	v_mul_f32_e32 v66, v81, v73
	v_dual_mul_f32 v78, v50, v77 :: v_dual_mul_f32 v63, v80, v71
	v_fma_f32 v67, v48, v70, -v67
	v_fmac_f32_e32 v69, v49, v70
	v_fma_f32 v48, v48, v72, -v94
	v_dual_mul_f32 v49, v51, v75 :: v_dual_mul_f32 v94, v52, v89
	v_mul_f32_e32 v73, v51, v77
	v_fma_f32 v62, v80, v70, -v62
	v_fma_f32 v66, v80, v72, -v66
	v_fmac_f32_e32 v68, v81, v72
	v_mul_f32_e32 v72, v82, v75
	v_mul_f32_e32 v71, v50, v75
	;; [unrolled: 1-line block ×3, first 2 shown]
	v_dual_fmac_f32 v78, v51, v76 :: v_dual_fmac_f32 v63, v81, v70
	v_mul_f32_e32 v70, v83, v75
	v_mul_f32_e32 v75, v83, v77
	s_delay_alu instid0(VALU_DEP_4)
	v_dual_mul_f32 v77, v82, v77 :: v_dual_fmac_f32 v80, v53, v86
	v_mul_f32_e32 v79, v53, v87
	v_fma_f32 v49, v50, v74, -v49
	v_fma_f32 v50, v50, v76, -v73
	v_fmac_f32_e32 v72, v83, v74
	v_dual_fmac_f32 v71, v51, v74 :: v_dual_fmac_f32 v94, v53, v88
	v_fma_f32 v51, v82, v74, -v70
	v_mul_f32_e32 v74, v84, v87
	v_fma_f32 v70, v82, v76, -v75
	v_dual_fmac_f32 v77, v83, v76 :: v_dual_mul_f32 v76, v84, v89
	v_dual_mul_f32 v81, v53, v89 :: v_dual_add_f32 v24, v24, v90
	v_dual_mul_f32 v73, v85, v87 :: v_dual_add_f32 v22, v22, v30
	;; [unrolled: 1-line block ×3, first 2 shown]
	s_delay_alu instid0(VALU_DEP_4) | instskip(SKIP_3) | instid1(VALU_DEP_3)
	v_dual_fmac_f32 v76, v85, v88 :: v_dual_add_f32 v23, v23, v93
	v_dual_add_f32 v25, v25, v91 :: v_dual_add_f32 v18, v18, v29
	v_dual_add_f32 v21, v21, v27 :: v_dual_add_f32 v24, v24, v41
	;; [unrolled: 1-line block ×4, first 2 shown]
	s_delay_alu instid0(VALU_DEP_3) | instskip(NEXT) | instid1(VALU_DEP_4)
	v_dual_add_f32 v23, v23, v99 :: v_dual_add_f32 v24, v24, v33
	v_dual_add_f32 v21, v21, v34 :: v_dual_add_f32 v18, v18, v39
	s_delay_alu instid0(VALU_DEP_4) | instskip(NEXT) | instid1(VALU_DEP_3)
	v_dual_add_f32 v19, v19, v35 :: v_dual_add_f32 v22, v22, v42
	v_dual_add_f32 v25, v25, v92 :: v_dual_add_f32 v24, v24, v55
	s_delay_alu instid0(VALU_DEP_4) | instskip(NEXT) | instid1(VALU_DEP_4)
	v_dual_add_f32 v23, v23, v95 :: v_dual_add_f32 v20, v20, v36
	v_dual_add_f32 v21, v21, v37 :: v_dual_add_f32 v18, v18, v40
	s_delay_alu instid0(VALU_DEP_4) | instskip(NEXT) | instid1(VALU_DEP_3)
	v_dual_add_f32 v19, v19, v38 :: v_dual_add_f32 v22, v22, v44
	v_dual_add_f32 v25, v25, v57 :: v_dual_add_f32 v20, v20, v43
	s_delay_alu instid0(VALU_DEP_4) | instskip(NEXT) | instid1(VALU_DEP_4)
	v_dual_add_f32 v23, v23, v98 :: v_dual_add_f32 v24, v24, v45
	v_add_f32_e32 v21, v21, v54
	s_delay_alu instid0(VALU_DEP_4) | instskip(NEXT) | instid1(VALU_DEP_4)
	v_dual_add_f32 v19, v19, v56 :: v_dual_add_f32 v18, v18, v58
	v_dual_add_f32 v25, v25, v59 :: v_dual_add_f32 v22, v22, v46
	s_delay_alu instid0(VALU_DEP_4) | instskip(NEXT) | instid1(VALU_DEP_4)
	v_dual_add_f32 v23, v23, v65 :: v_dual_add_f32 v20, v20, v47
	v_dual_add_f32 v21, v21, v61 :: v_dual_add_f32 v24, v24, v67
	s_delay_alu instid0(VALU_DEP_4) | instskip(NEXT) | instid1(VALU_DEP_4)
	v_add_f32_e32 v19, v19, v60
	v_dual_add_f32 v18, v18, v64 :: v_dual_add_f32 v25, v25, v69
	v_add_f32_e32 v22, v22, v48
	s_delay_alu instid0(VALU_DEP_4) | instskip(SKIP_1) | instid1(VALU_DEP_4)
	v_dual_add_f32 v23, v23, v96 :: v_dual_add_f32 v24, v24, v49
	v_dual_add_f32 v20, v20, v62 :: v_dual_add_f32 v21, v21, v63
	;; [unrolled: 1-line block ×3, first 2 shown]
	v_fma_f32 v79, v52, v86, -v79
	v_fma_f32 v52, v52, v88, -v81
	;; [unrolled: 1-line block ×3, first 2 shown]
	v_fmac_f32_e32 v74, v85, v86
	v_fma_f32 v73, v84, v88, -v75
	v_dual_add_f32 v25, v25, v71 :: v_dual_add_f32 v22, v22, v50
	v_dual_add_f32 v23, v23, v78 :: v_dual_add_f32 v18, v18, v77
	v_dual_add_f32 v20, v20, v51 :: v_dual_add_f32 v21, v21, v72
	v_dual_add_f32 v24, v24, v79 :: v_dual_add_f32 v19, v19, v70
	s_delay_alu instid0(VALU_DEP_4) | instskip(NEXT) | instid1(VALU_DEP_3)
	v_add_f32_e32 v22, v22, v52
	v_dual_add_f32 v25, v25, v80 :: v_dual_add_f32 v20, v20, v53
	v_dual_add_f32 v23, v23, v94 :: v_dual_add_f32 v18, v18, v76
	v_add_f32_e32 v21, v21, v74
	v_add_f32_e32 v19, v19, v73
	s_wait_alu 0xfffe
	s_cbranch_vccnz .LBB102_5
.LBB102_6:                              ;   in Loop: Header=BB102_3 Depth=1
	s_mul_u64 s[18:19], s[26:27], s[2:3]
	s_and_b32 vcc_lo, exec_lo, s1
	s_wait_alu 0xfffe
	s_lshl_b64 s[18:19], s[18:19], 3
	s_mov_b32 s24, -1
	s_wait_alu 0xfffe
	s_add_nc_u64 s[18:19], s[10:11], s[18:19]
                                        ; implicit-def: $vgpr10
                                        ; implicit-def: $vgpr8_vgpr9
	s_cbranch_vccz .LBB102_8
; %bb.7:                                ;   in Loop: Header=BB102_3 Depth=1
	s_and_not1_b32 vcc_lo, exec_lo, s24
	s_wait_alu 0xfffe
	s_cbranch_vccnz .LBB102_2
	s_branch .LBB102_9
.LBB102_8:                              ;   in Loop: Header=BB102_3 Depth=1
	v_mul_f32_e32 v27, s22, v25
	v_mul_f32_e32 v8, s23, v25
	s_wait_alu 0xfffe
	v_add_co_u32 v9, vcc_lo, s18, v4
	s_wait_alu 0xfffd
	v_add_co_ci_u32_e64 v10, null, s19, v5, vcc_lo
	v_fmac_f32_e32 v27, s23, v24
	v_fma_f32 v26, v24, s22, -v8
	v_mul_f32_e32 v8, s23, v23
	v_add_co_u32 v30, vcc_lo, v9, v6
	v_mul_f32_e32 v29, s22, v23
	s_wait_alu 0xfffd
	v_add_co_ci_u32_e64 v31, null, v10, v7, vcc_lo
	v_fma_f32 v28, v22, s22, -v8
	v_mul_f32_e32 v8, s23, v21
	v_add_co_u32 v9, vcc_lo, v9, s16
	v_mul_f32_e32 v33, s22, v21
	s_wait_alu 0xfffd
	v_add_co_ci_u32_e64 v11, null, s17, v10, vcc_lo
	v_fma_f32 v32, v20, s22, -v8
	v_mul_f32_e32 v8, s23, v18
	v_add_co_u32 v34, vcc_lo, v9, v6
	v_dual_fmac_f32 v33, s23, v20 :: v_dual_mul_f32 v10, s22, v18
	s_wait_alu 0xfffd
	v_add_co_ci_u32_e64 v35, null, v11, v7, vcc_lo
	v_fma_f32 v11, v19, s22, -v8
	v_add_co_u32 v8, vcc_lo, 0x80, v34
	v_dual_fmac_f32 v29, s23, v22 :: v_dual_fmac_f32 v10, s23, v19
	s_wait_alu 0xfffd
	v_add_co_ci_u32_e64 v9, null, 0, v35, vcc_lo
	s_clause 0x3
	global_store_b64 v[30:31], v[26:27], off
	global_store_b64 v[30:31], v[28:29], off offset:128
	global_store_b64 v[34:35], v[32:33], off
	global_store_b32 v[34:35], v11, off offset:128
	s_cbranch_execnz .LBB102_2
.LBB102_9:                              ;   in Loop: Header=BB102_3 Depth=1
	s_mul_u64 s[24:25], s[8:9], s[2:3]
	s_wait_alu 0xfffe
	s_lshl_b64 s[24:25], s[24:25], 3
	s_wait_alu 0xfffe
	v_add_co_u32 v26, vcc_lo, v16, s24
	s_wait_alu 0xfffd
	v_add_co_ci_u32_e64 v27, null, s25, v17, vcc_lo
	s_delay_alu instid0(VALU_DEP_2) | instskip(SKIP_1) | instid1(VALU_DEP_2)
	v_add_co_u32 v8, vcc_lo, v26, v6
	s_wait_alu 0xfffd
	v_add_co_ci_u32_e64 v9, null, v27, v7, vcc_lo
	v_add_co_u32 v31, vcc_lo, s18, v4
	s_wait_alu 0xfffd
	v_add_co_ci_u32_e64 v32, null, s19, v5, vcc_lo
	global_load_b64 v[10:11], v[8:9], off
	v_mul_f32_e32 v28, s23, v25
	s_wait_loadcnt 0x0
	v_dual_mul_f32 v25, s22, v25 :: v_dual_mul_f32 v30, s34, v11
	v_mul_f32_e32 v29, s35, v11
	s_delay_alu instid0(VALU_DEP_3) | instskip(NEXT) | instid1(VALU_DEP_3)
	v_fma_f32 v28, v24, s22, -v28
	v_dual_fmac_f32 v25, s23, v24 :: v_dual_fmac_f32 v30, s35, v10
	s_delay_alu instid0(VALU_DEP_3) | instskip(SKIP_3) | instid1(VALU_DEP_3)
	v_fma_f32 v24, v10, s34, -v29
	v_add_co_u32 v10, vcc_lo, v31, v6
	s_wait_alu 0xfffd
	v_add_co_ci_u32_e64 v11, null, v32, v7, vcc_lo
	v_dual_add_f32 v24, v28, v24 :: v_dual_add_f32 v25, v25, v30
	global_store_b64 v[10:11], v[24:25], off
	global_load_b64 v[8:9], v[8:9], off offset:128
	s_wait_loadcnt 0x0
	v_dual_mul_f32 v24, s23, v23 :: v_dual_mul_f32 v25, s35, v9
	s_delay_alu instid0(VALU_DEP_1) | instskip(SKIP_2) | instid1(VALU_DEP_2)
	v_fma_f32 v24, v22, s22, -v24
	v_mul_f32_e32 v23, s22, v23
	v_mul_f32_e32 v9, s34, v9
	v_fmac_f32_e32 v23, s23, v22
	v_fma_f32 v22, v8, s34, -v25
	v_add_co_u32 v25, vcc_lo, v26, s14
	s_delay_alu instid0(VALU_DEP_4)
	v_fmac_f32_e32 v9, s35, v8
	s_wait_alu 0xfffd
	v_add_co_ci_u32_e64 v26, null, s15, v27, vcc_lo
	v_add_f32_e32 v8, v24, v22
	v_add_co_u32 v22, vcc_lo, v25, v6
	v_add_f32_e32 v9, v23, v9
	s_wait_alu 0xfffd
	v_add_co_ci_u32_e64 v23, null, v26, v7, vcc_lo
	v_add_co_u32 v24, vcc_lo, v31, s16
	global_store_b64 v[10:11], v[8:9], off offset:128
	global_load_b64 v[8:9], v[22:23], off
	v_mul_f32_e32 v10, s23, v21
	v_mul_f32_e32 v11, s22, v21
	s_wait_alu 0xfffd
	v_add_co_ci_u32_e64 v25, null, s17, v32, vcc_lo
	s_delay_alu instid0(VALU_DEP_3) | instskip(NEXT) | instid1(VALU_DEP_3)
	v_fma_f32 v10, v20, s22, -v10
	v_fmac_f32_e32 v11, s23, v20
	v_add_co_u32 v20, vcc_lo, v24, v6
	s_wait_loadcnt 0x0
	v_mul_f32_e32 v21, s35, v9
	v_mul_f32_e32 v9, s34, v9
	s_delay_alu instid0(VALU_DEP_2) | instskip(NEXT) | instid1(VALU_DEP_2)
	v_fma_f32 v26, v8, s34, -v21
	v_fmac_f32_e32 v9, s35, v8
	s_wait_alu 0xfffd
	v_add_co_ci_u32_e64 v21, null, v25, v7, vcc_lo
	s_delay_alu instid0(VALU_DEP_2)
	v_dual_add_f32 v8, v10, v26 :: v_dual_add_f32 v9, v11, v9
	v_mul_f32_e32 v10, s23, v18
	v_mul_f32_e32 v11, s22, v18
	global_store_b64 v[20:21], v[8:9], off
	global_load_b64 v[8:9], v[22:23], off offset:128
	v_fma_f32 v10, v19, s22, -v10
	s_wait_loadcnt 0x0
	v_dual_fmac_f32 v11, s23, v19 :: v_dual_mul_f32 v18, s35, v9
	v_mul_f32_e32 v9, s34, v9
	s_delay_alu instid0(VALU_DEP_2) | instskip(NEXT) | instid1(VALU_DEP_2)
	v_fma_f32 v18, v8, s34, -v18
	v_fmac_f32_e32 v9, s35, v8
	v_add_co_u32 v8, vcc_lo, 0x80, v20
	s_delay_alu instid0(VALU_DEP_3) | instskip(NEXT) | instid1(VALU_DEP_3)
	v_add_f32_e32 v18, v10, v18
	v_add_f32_e32 v10, v11, v9
	s_wait_alu 0xfffd
	v_add_co_ci_u32_e64 v9, null, 0, v21, vcc_lo
	global_store_b32 v[20:21], v18, off offset:128
	s_branch .LBB102_2
.LBB102_10:
	s_nop 0
	s_sendmsg sendmsg(MSG_DEALLOC_VGPRS)
	s_endpgm
	.section	.rodata,"a",@progbits
	.p2align	6, 0x0
	.amdhsa_kernel _ZN12_GLOBAL__N_127rocblas_gemm_batched_kernelI19rocblas_complex_numIfELi16ELi16ELi32ELi32ELi8ELi32ELi8ELi8ELi32ELc67ELc67EKS2_S3_S2_EEvlllT_PT11_llS6_llS4_PT12_llPT13_lli
		.amdhsa_group_segment_fixed_size 4096
		.amdhsa_private_segment_fixed_size 0
		.amdhsa_kernarg_size 140
		.amdhsa_user_sgpr_count 2
		.amdhsa_user_sgpr_dispatch_ptr 0
		.amdhsa_user_sgpr_queue_ptr 0
		.amdhsa_user_sgpr_kernarg_segment_ptr 1
		.amdhsa_user_sgpr_dispatch_id 0
		.amdhsa_user_sgpr_private_segment_size 0
		.amdhsa_wavefront_size32 1
		.amdhsa_uses_dynamic_stack 0
		.amdhsa_enable_private_segment 0
		.amdhsa_system_sgpr_workgroup_id_x 1
		.amdhsa_system_sgpr_workgroup_id_y 1
		.amdhsa_system_sgpr_workgroup_id_z 1
		.amdhsa_system_sgpr_workgroup_info 0
		.amdhsa_system_vgpr_workitem_id 1
		.amdhsa_next_free_vgpr 100
		.amdhsa_next_free_sgpr 39
		.amdhsa_reserve_vcc 1
		.amdhsa_float_round_mode_32 0
		.amdhsa_float_round_mode_16_64 0
		.amdhsa_float_denorm_mode_32 3
		.amdhsa_float_denorm_mode_16_64 3
		.amdhsa_fp16_overflow 0
		.amdhsa_workgroup_processor_mode 1
		.amdhsa_memory_ordered 1
		.amdhsa_forward_progress 1
		.amdhsa_inst_pref_size 23
		.amdhsa_round_robin_scheduling 0
		.amdhsa_exception_fp_ieee_invalid_op 0
		.amdhsa_exception_fp_denorm_src 0
		.amdhsa_exception_fp_ieee_div_zero 0
		.amdhsa_exception_fp_ieee_overflow 0
		.amdhsa_exception_fp_ieee_underflow 0
		.amdhsa_exception_fp_ieee_inexact 0
		.amdhsa_exception_int_div_zero 0
	.end_amdhsa_kernel
	.section	.text._ZN12_GLOBAL__N_127rocblas_gemm_batched_kernelI19rocblas_complex_numIfELi16ELi16ELi32ELi32ELi8ELi32ELi8ELi8ELi32ELc67ELc67EKS2_S3_S2_EEvlllT_PT11_llS6_llS4_PT12_llPT13_lli,"axG",@progbits,_ZN12_GLOBAL__N_127rocblas_gemm_batched_kernelI19rocblas_complex_numIfELi16ELi16ELi32ELi32ELi8ELi32ELi8ELi8ELi32ELc67ELc67EKS2_S3_S2_EEvlllT_PT11_llS6_llS4_PT12_llPT13_lli,comdat
.Lfunc_end102:
	.size	_ZN12_GLOBAL__N_127rocblas_gemm_batched_kernelI19rocblas_complex_numIfELi16ELi16ELi32ELi32ELi8ELi32ELi8ELi8ELi32ELc67ELc67EKS2_S3_S2_EEvlllT_PT11_llS6_llS4_PT12_llPT13_lli, .Lfunc_end102-_ZN12_GLOBAL__N_127rocblas_gemm_batched_kernelI19rocblas_complex_numIfELi16ELi16ELi32ELi32ELi8ELi32ELi8ELi8ELi32ELc67ELc67EKS2_S3_S2_EEvlllT_PT11_llS6_llS4_PT12_llPT13_lli
                                        ; -- End function
	.set _ZN12_GLOBAL__N_127rocblas_gemm_batched_kernelI19rocblas_complex_numIfELi16ELi16ELi32ELi32ELi8ELi32ELi8ELi8ELi32ELc67ELc67EKS2_S3_S2_EEvlllT_PT11_llS6_llS4_PT12_llPT13_lli.num_vgpr, 100
	.set _ZN12_GLOBAL__N_127rocblas_gemm_batched_kernelI19rocblas_complex_numIfELi16ELi16ELi32ELi32ELi8ELi32ELi8ELi8ELi32ELc67ELc67EKS2_S3_S2_EEvlllT_PT11_llS6_llS4_PT12_llPT13_lli.num_agpr, 0
	.set _ZN12_GLOBAL__N_127rocblas_gemm_batched_kernelI19rocblas_complex_numIfELi16ELi16ELi32ELi32ELi8ELi32ELi8ELi8ELi32ELc67ELc67EKS2_S3_S2_EEvlllT_PT11_llS6_llS4_PT12_llPT13_lli.numbered_sgpr, 39
	.set _ZN12_GLOBAL__N_127rocblas_gemm_batched_kernelI19rocblas_complex_numIfELi16ELi16ELi32ELi32ELi8ELi32ELi8ELi8ELi32ELc67ELc67EKS2_S3_S2_EEvlllT_PT11_llS6_llS4_PT12_llPT13_lli.num_named_barrier, 0
	.set _ZN12_GLOBAL__N_127rocblas_gemm_batched_kernelI19rocblas_complex_numIfELi16ELi16ELi32ELi32ELi8ELi32ELi8ELi8ELi32ELc67ELc67EKS2_S3_S2_EEvlllT_PT11_llS6_llS4_PT12_llPT13_lli.private_seg_size, 0
	.set _ZN12_GLOBAL__N_127rocblas_gemm_batched_kernelI19rocblas_complex_numIfELi16ELi16ELi32ELi32ELi8ELi32ELi8ELi8ELi32ELc67ELc67EKS2_S3_S2_EEvlllT_PT11_llS6_llS4_PT12_llPT13_lli.uses_vcc, 1
	.set _ZN12_GLOBAL__N_127rocblas_gemm_batched_kernelI19rocblas_complex_numIfELi16ELi16ELi32ELi32ELi8ELi32ELi8ELi8ELi32ELc67ELc67EKS2_S3_S2_EEvlllT_PT11_llS6_llS4_PT12_llPT13_lli.uses_flat_scratch, 0
	.set _ZN12_GLOBAL__N_127rocblas_gemm_batched_kernelI19rocblas_complex_numIfELi16ELi16ELi32ELi32ELi8ELi32ELi8ELi8ELi32ELc67ELc67EKS2_S3_S2_EEvlllT_PT11_llS6_llS4_PT12_llPT13_lli.has_dyn_sized_stack, 0
	.set _ZN12_GLOBAL__N_127rocblas_gemm_batched_kernelI19rocblas_complex_numIfELi16ELi16ELi32ELi32ELi8ELi32ELi8ELi8ELi32ELc67ELc67EKS2_S3_S2_EEvlllT_PT11_llS6_llS4_PT12_llPT13_lli.has_recursion, 0
	.set _ZN12_GLOBAL__N_127rocblas_gemm_batched_kernelI19rocblas_complex_numIfELi16ELi16ELi32ELi32ELi8ELi32ELi8ELi8ELi32ELc67ELc67EKS2_S3_S2_EEvlllT_PT11_llS6_llS4_PT12_llPT13_lli.has_indirect_call, 0
	.section	.AMDGPU.csdata,"",@progbits
; Kernel info:
; codeLenInByte = 2840
; TotalNumSgprs: 41
; NumVgprs: 100
; ScratchSize: 0
; MemoryBound: 0
; FloatMode: 240
; IeeeMode: 1
; LDSByteSize: 4096 bytes/workgroup (compile time only)
; SGPRBlocks: 0
; VGPRBlocks: 12
; NumSGPRsForWavesPerEU: 41
; NumVGPRsForWavesPerEU: 100
; Occupancy: 12
; WaveLimiterHint : 1
; COMPUTE_PGM_RSRC2:SCRATCH_EN: 0
; COMPUTE_PGM_RSRC2:USER_SGPR: 2
; COMPUTE_PGM_RSRC2:TRAP_HANDLER: 0
; COMPUTE_PGM_RSRC2:TGID_X_EN: 1
; COMPUTE_PGM_RSRC2:TGID_Y_EN: 1
; COMPUTE_PGM_RSRC2:TGID_Z_EN: 1
; COMPUTE_PGM_RSRC2:TIDIG_COMP_CNT: 1
	.section	.text._ZN12_GLOBAL__N_127rocblas_gemm_batched_kernelI19rocblas_complex_numIfELi16ELi16ELi32ELi32ELi8ELi32ELi8ELi8ELi32ELc67ELc78EKS2_S3_S2_EEvlllT_PT11_llS6_llS4_PT12_llPT13_lli,"axG",@progbits,_ZN12_GLOBAL__N_127rocblas_gemm_batched_kernelI19rocblas_complex_numIfELi16ELi16ELi32ELi32ELi8ELi32ELi8ELi8ELi32ELc67ELc78EKS2_S3_S2_EEvlllT_PT11_llS6_llS4_PT12_llPT13_lli,comdat
	.globl	_ZN12_GLOBAL__N_127rocblas_gemm_batched_kernelI19rocblas_complex_numIfELi16ELi16ELi32ELi32ELi8ELi32ELi8ELi8ELi32ELc67ELc78EKS2_S3_S2_EEvlllT_PT11_llS6_llS4_PT12_llPT13_lli ; -- Begin function _ZN12_GLOBAL__N_127rocblas_gemm_batched_kernelI19rocblas_complex_numIfELi16ELi16ELi32ELi32ELi8ELi32ELi8ELi8ELi32ELc67ELc78EKS2_S3_S2_EEvlllT_PT11_llS6_llS4_PT12_llPT13_lli
	.p2align	8
	.type	_ZN12_GLOBAL__N_127rocblas_gemm_batched_kernelI19rocblas_complex_numIfELi16ELi16ELi32ELi32ELi8ELi32ELi8ELi8ELi32ELc67ELc78EKS2_S3_S2_EEvlllT_PT11_llS6_llS4_PT12_llPT13_lli,@function
_ZN12_GLOBAL__N_127rocblas_gemm_batched_kernelI19rocblas_complex_numIfELi16ELi16ELi32ELi32ELi8ELi32ELi8ELi8ELi32ELc67ELc78EKS2_S3_S2_EEvlllT_PT11_llS6_llS4_PT12_llPT13_lli: ; @_ZN12_GLOBAL__N_127rocblas_gemm_batched_kernelI19rocblas_complex_numIfELi16ELi16ELi32ELi32ELi8ELi32ELi8ELi8ELi32ELc67ELc78EKS2_S3_S2_EEvlllT_PT11_llS6_llS4_PT12_llPT13_lli
; %bb.0:
	s_load_b32 s33, s[0:1], 0x88
	s_lshr_b32 s2, ttmp7, 16
	s_wait_kmcnt 0x0
	s_cmp_ge_i32 s2, s33
	s_cbranch_scc1 .LBB103_10
; %bb.1:
	v_and_b32_e32 v11, 0x3ff, v0
	v_bfe_u32 v2, v0, 10, 10
	s_clause 0x2
	s_load_b128 s[20:23], s[0:1], 0x10
	s_load_b256 s[12:19], s[0:1], 0x20
	s_load_b128 s[24:27], s[0:1], 0x78
	v_lshlrev_b32_e32 v0, 3, v0
	s_clause 0x2
	s_load_b256 s[4:11], s[0:1], 0x58
	s_load_b128 s[28:31], s[0:1], 0x40
	s_load_b64 s[34:35], s[0:1], 0x50
	v_lshl_add_u32 v1, v2, 4, v11
	s_lshl_b32 s0, ttmp7, 5
	v_and_b32_e32 v20, 56, v0
	s_and_b32 s3, s0, 0x1fffe0
	v_lshl_add_u32 v15, v2, 6, 0x800
	v_and_b32_e32 v3, 31, v1
	v_lshrrev_b32_e32 v16, 5, v1
	v_lshrrev_b32_e32 v1, 3, v1
	v_add_nc_u32_e32 v6, s3, v2
	s_mov_b32 s36, ttmp9
	v_lshlrev_b32_e32 v0, 3, v3
	s_ashr_i32 s37, ttmp9, 31
	v_lshl_or_b32 v4, v1, 6, v20
	s_lshl_b64 s[0:1], s[36:37], 5
	v_add_nc_u32_e32 v17, s3, v1
	v_lshl_or_b32 v12, v16, 8, v0
	s_delay_alu instid0(VALU_DEP_3)
	v_add_nc_u32_e32 v13, 0x800, v4
	s_wait_kmcnt 0x0
	v_mad_co_u64_u32 v[4:5], null, v6, s24, 0
	v_mad_co_u64_u32 v[0:1], null, v6, s6, 0
	;; [unrolled: 1-line block ×3, first 2 shown]
	s_or_b32 s3, s34, s35
	v_mov_b32_e32 v2, v5
	v_or_b32_e32 v5, s0, v3
	v_add_co_u32 v18, s0, s0, v11
	s_wait_alu 0xf1ff
	v_add_co_ci_u32_e64 v19, null, s1, 0, s0
	v_mad_co_u64_u32 v[2:3], null, v6, s25, v[2:3]
	v_mul_lo_u32 v3, s15, v5
	s_mul_i32 s0, s14, s1
	s_wait_alu 0xfffe
	s_and_b32 s36, s3, 0x7fffffff
	v_lshlrev_b32_e32 v14, 3, v11
	s_cmp_eq_u32 s36, 0
	s_mov_b32 s3, 0
	v_mad_co_u64_u32 v[6:7], null, v6, s7, v[1:2]
	v_mad_co_u64_u32 v[7:8], null, s14, v5, 0
	v_dual_mov_b32 v5, v2 :: v_dual_mov_b32 v2, v10
	s_cselect_b32 s36, -1, 0
	s_lshl_b64 s[14:15], s[24:25], 4
	s_delay_alu instid0(VALU_DEP_3) | instskip(NEXT) | instid1(VALU_DEP_2)
	v_mov_b32_e32 v1, v6
	v_lshlrev_b64_e32 v[4:5], 3, v[4:5]
	s_delay_alu instid0(VALU_DEP_4) | instskip(SKIP_1) | instid1(VALU_DEP_4)
	v_add3_u32 v8, v8, s0, v3
	v_mad_co_u64_u32 v[2:3], null, s29, v17, v[2:3]
	v_lshlrev_b64_e32 v[0:1], 3, v[0:1]
	v_cmp_gt_i64_e64 s0, s[20:21], 0
	s_delay_alu instid0(VALU_DEP_4) | instskip(SKIP_4) | instid1(VALU_DEP_1)
	v_lshlrev_b64_e32 v[6:7], 3, v[7:8]
	v_lshlrev_b32_e32 v8, 3, v16
	s_lshl_b64 s[24:25], s[6:7], 4
	s_lshl_b64 s[6:7], s[30:31], 3
	v_add_co_u32 v16, vcc_lo, s4, v0
	v_add_co_ci_u32_e64 v17, null, s5, v1, vcc_lo
	v_add_co_u32 v0, vcc_lo, v6, v8
	v_mov_b32_e32 v10, v2
	s_wait_alu 0xfffd
	v_add_co_ci_u32_e64 v1, null, 0, v7, vcc_lo
	s_delay_alu instid0(VALU_DEP_3) | instskip(NEXT) | instid1(VALU_DEP_3)
	v_add_co_u32 v0, vcc_lo, s12, v0
	v_lshlrev_b64_e32 v[2:3], 3, v[9:10]
	s_wait_alu 0xfffd
	s_delay_alu instid0(VALU_DEP_3) | instskip(NEXT) | instid1(VALU_DEP_3)
	v_add_co_ci_u32_e64 v1, null, s13, v1, vcc_lo
	v_add_co_u32 v0, vcc_lo, v0, 4
	v_cndmask_b32_e64 v6, 0, 1, s0
	s_wait_alu 0xfffd
	s_delay_alu instid0(VALU_DEP_3) | instskip(SKIP_4) | instid1(VALU_DEP_3)
	v_add_co_ci_u32_e64 v1, null, 0, v1, vcc_lo
	v_add_co_u32 v2, vcc_lo, v2, v20
	s_wait_alu 0xfffd
	v_add_co_ci_u32_e64 v3, null, 0, v3, vcc_lo
	v_cndmask_b32_e64 v8, 0, 1, s36
	v_add_co_u32 v2, vcc_lo, s18, v2
	v_cmp_ne_u32_e64 s0, 1, v6
	v_lshlrev_b64_e32 v[6:7], 3, v[18:19]
	s_wait_alu 0xfffd
	v_add_co_ci_u32_e64 v3, null, s19, v3, vcc_lo
	v_cmp_ne_u32_e64 s1, 1, v8
	s_lshl_b64 s[4:5], s[16:17], 3
	s_wait_alu 0xfffe
	s_lshl_b64 s[12:13], s[24:25], 3
	s_lshl_b64 s[14:15], s[14:15], 3
	s_branch .LBB103_3
.LBB103_2:                              ;   in Loop: Header=BB103_3 Depth=1
	s_add_co_i32 s2, s2, 0x10000
	global_store_b32 v[8:9], v10, off offset:4
	s_wait_alu 0xfffe
	s_cmp_lt_i32 s2, s33
	s_cbranch_scc0 .LBB103_10
.LBB103_3:                              ; =>This Loop Header: Depth=1
                                        ;     Child Loop BB103_5 Depth 2
	v_dual_mov_b32 v24, 0 :: v_dual_mov_b32 v25, 0
	v_dual_mov_b32 v22, 0 :: v_dual_mov_b32 v23, 0
	;; [unrolled: 1-line block ×4, first 2 shown]
	s_and_b32 vcc_lo, exec_lo, s0
	s_wait_alu 0xfffe
	s_cbranch_vccnz .LBB103_6
; %bb.4:                                ;   in Loop: Header=BB103_3 Depth=1
	v_mad_co_u64_u32 v[8:9], null, s4, s2, v[0:1]
	v_mad_co_u64_u32 v[10:11], null, s6, s2, v[2:3]
	v_dual_mov_b32 v18, 0 :: v_dual_mov_b32 v19, 0
	v_dual_mov_b32 v21, 0 :: v_dual_mov_b32 v20, 0
	;; [unrolled: 1-line block ×3, first 2 shown]
	s_delay_alu instid0(VALU_DEP_4) | instskip(SKIP_3) | instid1(VALU_DEP_3)
	v_mad_co_u64_u32 v[24:25], null, s5, s2, v[9:10]
	v_mad_co_u64_u32 v[26:27], null, s7, s2, v[11:12]
	v_mov_b32_e32 v25, 0
	s_mov_b64 s[16:17], 0
	v_dual_mov_b32 v9, v24 :: v_dual_mov_b32 v24, 0
	s_delay_alu instid0(VALU_DEP_3)
	v_mov_b32_e32 v11, v26
.LBB103_5:                              ;   Parent Loop BB103_3 Depth=1
                                        ; =>  This Inner Loop Header: Depth=2
	global_load_b64 v[26:27], v[8:9], off offset:-4
	global_load_b64 v[28:29], v[10:11], off
	s_wait_alu 0xfffe
	s_add_nc_u64 s[16:17], s[16:17], 8
	v_add_co_u32 v8, vcc_lo, v8, 64
	s_wait_alu 0xfffe
	v_cmp_lt_i64_e64 s18, s[16:17], s[20:21]
	s_wait_alu 0xfffd
	v_add_co_ci_u32_e64 v9, null, 0, v9, vcc_lo
	v_add_co_u32 v10, vcc_lo, v10, 64
	s_wait_alu 0xfffd
	v_add_co_ci_u32_e64 v11, null, 0, v11, vcc_lo
	s_and_b32 vcc_lo, exec_lo, s18
	s_wait_loadcnt 0x1
	v_xor_b32_e32 v27, 0x80000000, v27
	s_wait_loadcnt 0x0
	ds_store_b64 v13, v[28:29]
	ds_store_b64 v12, v[26:27]
	s_wait_dscnt 0x0
	s_barrier_signal -1
	s_barrier_wait -1
	global_inv scope:SCOPE_SE
	ds_load_2addr_b64 v[26:29], v14 offset1:16
	ds_load_b128 v[30:33], v15
	ds_load_b128 v[34:37], v15 offset:1024
	ds_load_2addr_b64 v[38:41], v14 offset0:32 offset1:48
	ds_load_b128 v[42:45], v15 offset:16
	ds_load_b128 v[46:49], v15 offset:32
	;; [unrolled: 1-line block ×3, first 2 shown]
	ds_load_2addr_b64 v[54:57], v14 offset0:64 offset1:80
	ds_load_b128 v[58:61], v15 offset:1040
	ds_load_2addr_b64 v[62:65], v14 offset0:96 offset1:112
	ds_load_2addr_b64 v[66:69], v14 offset0:128 offset1:144
	;; [unrolled: 1-line block ×4, first 2 shown]
	ds_load_b128 v[78:81], v15 offset:1056
	ds_load_b128 v[82:85], v15 offset:1072
	ds_load_2addr_b64 v[86:89], v14 offset0:224 offset1:240
	s_wait_loadcnt_dscnt 0x0
	s_barrier_signal -1
	s_barrier_wait -1
	global_inv scope:SCOPE_SE
	v_dual_mul_f32 v90, v31, v27 :: v_dual_mul_f32 v93, v30, v29
	v_dual_mul_f32 v91, v30, v27 :: v_dual_mul_f32 v92, v31, v29
	v_mul_f32_e32 v94, v35, v27
	v_dual_mul_f32 v27, v34, v27 :: v_dual_mul_f32 v98, v33, v41
	v_dual_mul_f32 v95, v35, v29 :: v_dual_mul_f32 v96, v33, v39
	v_mul_f32_e32 v29, v34, v29
	v_mul_f32_e32 v97, v32, v39
	;; [unrolled: 1-line block ×3, first 2 shown]
	v_fma_f32 v90, v30, v26, -v90
	v_fmac_f32_e32 v91, v31, v26
	v_fma_f32 v30, v30, v28, -v92
	v_dual_fmac_f32 v93, v31, v28 :: v_dual_mul_f32 v92, v42, v55
	v_fma_f32 v31, v34, v26, -v94
	v_fmac_f32_e32 v27, v35, v26
	v_fma_f32 v26, v34, v28, -v95
	v_dual_mul_f32 v34, v36, v39 :: v_dual_fmac_f32 v29, v35, v28
	v_mul_f32_e32 v28, v37, v39
	v_mul_f32_e32 v35, v37, v41
	v_dual_mul_f32 v39, v36, v41 :: v_dual_fmac_f32 v92, v43, v54
	v_fma_f32 v41, v32, v38, -v96
	v_fma_f32 v32, v32, v40, -v98
	v_dual_fmac_f32 v99, v33, v40 :: v_dual_mul_f32 v98, v44, v65
	v_dual_mul_f32 v94, v43, v57 :: v_dual_fmac_f32 v97, v33, v38
	v_dual_mul_f32 v33, v43, v55 :: v_dual_mul_f32 v96, v45, v65
	v_fma_f32 v28, v36, v38, -v28
	v_fmac_f32_e32 v34, v37, v38
	v_fma_f32 v35, v36, v40, -v35
	v_dual_fmac_f32 v39, v37, v40 :: v_dual_mul_f32 v36, v59, v55
	v_dual_mul_f32 v37, v58, v55 :: v_dual_mul_f32 v38, v59, v57
	v_mul_f32_e32 v40, v58, v57
	v_mul_f32_e32 v95, v42, v57
	;; [unrolled: 1-line block ×3, first 2 shown]
	v_dual_mul_f32 v57, v44, v63 :: v_dual_fmac_f32 v98, v45, v64
	v_fma_f32 v33, v42, v54, -v33
	v_fma_f32 v42, v42, v56, -v94
	v_fma_f32 v36, v58, v54, -v36
	v_fma_f32 v38, v58, v56, -v38
	v_fmac_f32_e32 v40, v59, v56
	v_fmac_f32_e32 v95, v43, v56
	v_mul_f32_e32 v43, v61, v63
	v_mul_f32_e32 v56, v61, v65
	v_dual_mul_f32 v58, v60, v65 :: v_dual_fmac_f32 v37, v59, v54
	v_mul_f32_e32 v54, v60, v63
	v_fma_f32 v55, v44, v62, -v55
	v_fmac_f32_e32 v57, v45, v62
	v_fma_f32 v44, v44, v64, -v96
	v_mul_f32_e32 v45, v47, v67
	v_dual_mul_f32 v59, v46, v67 :: v_dual_mul_f32 v94, v49, v73
	v_mul_f32_e32 v63, v47, v69
	v_fma_f32 v43, v60, v62, -v43
	v_fmac_f32_e32 v54, v61, v62
	v_fma_f32 v56, v60, v64, -v56
	v_fmac_f32_e32 v58, v61, v64
	v_mul_f32_e32 v60, v79, v67
	v_dual_mul_f32 v61, v78, v67 :: v_dual_mul_f32 v96, v48, v73
	v_mul_f32_e32 v62, v79, v69
	v_mul_f32_e32 v64, v78, v69
	v_mul_f32_e32 v65, v46, v69
	v_mul_f32_e32 v67, v49, v71
	v_mul_f32_e32 v69, v48, v71
	v_fma_f32 v45, v46, v66, -v45
	v_dual_fmac_f32 v59, v47, v66 :: v_dual_fmac_f32 v96, v49, v72
	v_fmac_f32_e32 v64, v79, v68
	v_fmac_f32_e32 v65, v47, v68
	v_fma_f32 v47, v78, v66, -v60
	v_fma_f32 v60, v78, v68, -v62
	v_mul_f32_e32 v62, v81, v71
	v_fma_f32 v46, v46, v68, -v63
	v_dual_mul_f32 v68, v80, v73 :: v_dual_fmac_f32 v61, v79, v66
	v_mul_f32_e32 v66, v81, v73
	v_dual_mul_f32 v78, v50, v77 :: v_dual_mul_f32 v63, v80, v71
	v_fma_f32 v67, v48, v70, -v67
	v_fmac_f32_e32 v69, v49, v70
	v_fma_f32 v48, v48, v72, -v94
	v_dual_mul_f32 v49, v51, v75 :: v_dual_mul_f32 v94, v52, v89
	v_mul_f32_e32 v73, v51, v77
	v_fma_f32 v62, v80, v70, -v62
	v_fma_f32 v66, v80, v72, -v66
	v_fmac_f32_e32 v68, v81, v72
	v_mul_f32_e32 v72, v82, v75
	v_mul_f32_e32 v71, v50, v75
	;; [unrolled: 1-line block ×3, first 2 shown]
	v_dual_fmac_f32 v78, v51, v76 :: v_dual_fmac_f32 v63, v81, v70
	v_mul_f32_e32 v70, v83, v75
	v_mul_f32_e32 v75, v83, v77
	s_delay_alu instid0(VALU_DEP_4)
	v_dual_mul_f32 v77, v82, v77 :: v_dual_fmac_f32 v80, v53, v86
	v_mul_f32_e32 v79, v53, v87
	v_fma_f32 v49, v50, v74, -v49
	v_fma_f32 v50, v50, v76, -v73
	v_fmac_f32_e32 v72, v83, v74
	v_dual_fmac_f32 v71, v51, v74 :: v_dual_fmac_f32 v94, v53, v88
	v_fma_f32 v51, v82, v74, -v70
	v_mul_f32_e32 v74, v84, v87
	v_fma_f32 v70, v82, v76, -v75
	v_dual_fmac_f32 v77, v83, v76 :: v_dual_mul_f32 v76, v84, v89
	v_dual_mul_f32 v81, v53, v89 :: v_dual_add_f32 v24, v24, v90
	v_dual_mul_f32 v73, v85, v87 :: v_dual_add_f32 v22, v22, v30
	;; [unrolled: 1-line block ×3, first 2 shown]
	s_delay_alu instid0(VALU_DEP_4) | instskip(SKIP_3) | instid1(VALU_DEP_3)
	v_dual_fmac_f32 v76, v85, v88 :: v_dual_add_f32 v23, v23, v93
	v_dual_add_f32 v25, v25, v91 :: v_dual_add_f32 v18, v18, v29
	v_dual_add_f32 v21, v21, v27 :: v_dual_add_f32 v24, v24, v41
	;; [unrolled: 1-line block ×4, first 2 shown]
	s_delay_alu instid0(VALU_DEP_3) | instskip(NEXT) | instid1(VALU_DEP_4)
	v_dual_add_f32 v23, v23, v99 :: v_dual_add_f32 v24, v24, v33
	v_dual_add_f32 v21, v21, v34 :: v_dual_add_f32 v18, v18, v39
	s_delay_alu instid0(VALU_DEP_4) | instskip(NEXT) | instid1(VALU_DEP_3)
	v_dual_add_f32 v19, v19, v35 :: v_dual_add_f32 v22, v22, v42
	v_dual_add_f32 v25, v25, v92 :: v_dual_add_f32 v24, v24, v55
	s_delay_alu instid0(VALU_DEP_4) | instskip(NEXT) | instid1(VALU_DEP_4)
	v_dual_add_f32 v23, v23, v95 :: v_dual_add_f32 v20, v20, v36
	v_dual_add_f32 v21, v21, v37 :: v_dual_add_f32 v18, v18, v40
	s_delay_alu instid0(VALU_DEP_4) | instskip(NEXT) | instid1(VALU_DEP_3)
	v_dual_add_f32 v19, v19, v38 :: v_dual_add_f32 v22, v22, v44
	v_dual_add_f32 v25, v25, v57 :: v_dual_add_f32 v20, v20, v43
	s_delay_alu instid0(VALU_DEP_4) | instskip(NEXT) | instid1(VALU_DEP_4)
	v_dual_add_f32 v23, v23, v98 :: v_dual_add_f32 v24, v24, v45
	v_add_f32_e32 v21, v21, v54
	s_delay_alu instid0(VALU_DEP_4) | instskip(NEXT) | instid1(VALU_DEP_4)
	v_dual_add_f32 v19, v19, v56 :: v_dual_add_f32 v18, v18, v58
	v_dual_add_f32 v25, v25, v59 :: v_dual_add_f32 v22, v22, v46
	s_delay_alu instid0(VALU_DEP_4) | instskip(NEXT) | instid1(VALU_DEP_4)
	v_dual_add_f32 v23, v23, v65 :: v_dual_add_f32 v20, v20, v47
	v_dual_add_f32 v21, v21, v61 :: v_dual_add_f32 v24, v24, v67
	s_delay_alu instid0(VALU_DEP_4) | instskip(NEXT) | instid1(VALU_DEP_4)
	v_add_f32_e32 v19, v19, v60
	v_dual_add_f32 v18, v18, v64 :: v_dual_add_f32 v25, v25, v69
	v_add_f32_e32 v22, v22, v48
	s_delay_alu instid0(VALU_DEP_4) | instskip(SKIP_1) | instid1(VALU_DEP_4)
	v_dual_add_f32 v23, v23, v96 :: v_dual_add_f32 v24, v24, v49
	v_dual_add_f32 v20, v20, v62 :: v_dual_add_f32 v21, v21, v63
	v_dual_add_f32 v18, v18, v68 :: v_dual_add_f32 v19, v19, v66
	v_fma_f32 v79, v52, v86, -v79
	v_fma_f32 v52, v52, v88, -v81
	;; [unrolled: 1-line block ×3, first 2 shown]
	v_fmac_f32_e32 v74, v85, v86
	v_fma_f32 v73, v84, v88, -v75
	v_dual_add_f32 v25, v25, v71 :: v_dual_add_f32 v22, v22, v50
	v_dual_add_f32 v23, v23, v78 :: v_dual_add_f32 v18, v18, v77
	;; [unrolled: 1-line block ×4, first 2 shown]
	s_delay_alu instid0(VALU_DEP_4) | instskip(NEXT) | instid1(VALU_DEP_3)
	v_add_f32_e32 v22, v22, v52
	v_dual_add_f32 v25, v25, v80 :: v_dual_add_f32 v20, v20, v53
	v_dual_add_f32 v23, v23, v94 :: v_dual_add_f32 v18, v18, v76
	v_add_f32_e32 v21, v21, v74
	v_add_f32_e32 v19, v19, v73
	s_wait_alu 0xfffe
	s_cbranch_vccnz .LBB103_5
.LBB103_6:                              ;   in Loop: Header=BB103_3 Depth=1
	s_mul_u64 s[16:17], s[26:27], s[2:3]
	s_and_b32 vcc_lo, exec_lo, s1
	s_wait_alu 0xfffe
	s_lshl_b64 s[16:17], s[16:17], 3
	s_mov_b32 s18, -1
	s_wait_alu 0xfffe
	s_add_nc_u64 s[16:17], s[10:11], s[16:17]
                                        ; implicit-def: $vgpr10
                                        ; implicit-def: $vgpr8_vgpr9
	s_cbranch_vccz .LBB103_8
; %bb.7:                                ;   in Loop: Header=BB103_3 Depth=1
	s_and_not1_b32 vcc_lo, exec_lo, s18
	s_wait_alu 0xfffe
	s_cbranch_vccnz .LBB103_2
	s_branch .LBB103_9
.LBB103_8:                              ;   in Loop: Header=BB103_3 Depth=1
	v_mul_f32_e32 v27, s22, v25
	v_mul_f32_e32 v8, s23, v25
	s_wait_alu 0xfffe
	v_add_co_u32 v9, vcc_lo, s16, v4
	s_wait_alu 0xfffd
	v_add_co_ci_u32_e64 v10, null, s17, v5, vcc_lo
	v_fmac_f32_e32 v27, s23, v24
	v_fma_f32 v26, v24, s22, -v8
	v_mul_f32_e32 v8, s23, v23
	v_add_co_u32 v30, vcc_lo, v9, v6
	v_mul_f32_e32 v29, s22, v23
	s_wait_alu 0xfffd
	v_add_co_ci_u32_e64 v31, null, v10, v7, vcc_lo
	v_fma_f32 v28, v22, s22, -v8
	v_mul_f32_e32 v8, s23, v21
	v_add_co_u32 v9, vcc_lo, v9, s14
	v_mul_f32_e32 v33, s22, v21
	s_wait_alu 0xfffd
	v_add_co_ci_u32_e64 v11, null, s15, v10, vcc_lo
	v_fma_f32 v32, v20, s22, -v8
	v_mul_f32_e32 v8, s23, v18
	v_add_co_u32 v34, vcc_lo, v9, v6
	v_dual_fmac_f32 v33, s23, v20 :: v_dual_mul_f32 v10, s22, v18
	s_wait_alu 0xfffd
	v_add_co_ci_u32_e64 v35, null, v11, v7, vcc_lo
	v_fma_f32 v11, v19, s22, -v8
	v_add_co_u32 v8, vcc_lo, 0x80, v34
	v_dual_fmac_f32 v29, s23, v22 :: v_dual_fmac_f32 v10, s23, v19
	s_wait_alu 0xfffd
	v_add_co_ci_u32_e64 v9, null, 0, v35, vcc_lo
	s_clause 0x3
	global_store_b64 v[30:31], v[26:27], off
	global_store_b64 v[30:31], v[28:29], off offset:128
	global_store_b64 v[34:35], v[32:33], off
	global_store_b32 v[34:35], v11, off offset:128
	s_cbranch_execnz .LBB103_2
.LBB103_9:                              ;   in Loop: Header=BB103_3 Depth=1
	s_mul_u64 s[18:19], s[8:9], s[2:3]
	s_wait_alu 0xfffe
	s_lshl_b64 s[18:19], s[18:19], 3
	s_wait_alu 0xfffe
	v_add_co_u32 v26, vcc_lo, v16, s18
	s_wait_alu 0xfffd
	v_add_co_ci_u32_e64 v27, null, s19, v17, vcc_lo
	s_delay_alu instid0(VALU_DEP_2) | instskip(SKIP_1) | instid1(VALU_DEP_2)
	v_add_co_u32 v8, vcc_lo, v26, v6
	s_wait_alu 0xfffd
	v_add_co_ci_u32_e64 v9, null, v27, v7, vcc_lo
	v_add_co_u32 v31, vcc_lo, s16, v4
	s_wait_alu 0xfffd
	v_add_co_ci_u32_e64 v32, null, s17, v5, vcc_lo
	global_load_b64 v[10:11], v[8:9], off
	v_mul_f32_e32 v28, s23, v25
	s_wait_loadcnt 0x0
	v_dual_mul_f32 v25, s22, v25 :: v_dual_mul_f32 v30, s34, v11
	v_mul_f32_e32 v29, s35, v11
	s_delay_alu instid0(VALU_DEP_3) | instskip(NEXT) | instid1(VALU_DEP_3)
	v_fma_f32 v28, v24, s22, -v28
	v_dual_fmac_f32 v25, s23, v24 :: v_dual_fmac_f32 v30, s35, v10
	s_delay_alu instid0(VALU_DEP_3) | instskip(SKIP_3) | instid1(VALU_DEP_3)
	v_fma_f32 v24, v10, s34, -v29
	v_add_co_u32 v10, vcc_lo, v31, v6
	s_wait_alu 0xfffd
	v_add_co_ci_u32_e64 v11, null, v32, v7, vcc_lo
	v_dual_add_f32 v24, v28, v24 :: v_dual_add_f32 v25, v25, v30
	global_store_b64 v[10:11], v[24:25], off
	global_load_b64 v[8:9], v[8:9], off offset:128
	s_wait_loadcnt 0x0
	v_dual_mul_f32 v24, s23, v23 :: v_dual_mul_f32 v25, s35, v9
	s_delay_alu instid0(VALU_DEP_1) | instskip(SKIP_2) | instid1(VALU_DEP_2)
	v_fma_f32 v24, v22, s22, -v24
	v_mul_f32_e32 v23, s22, v23
	v_mul_f32_e32 v9, s34, v9
	v_fmac_f32_e32 v23, s23, v22
	v_fma_f32 v22, v8, s34, -v25
	v_add_co_u32 v25, vcc_lo, v26, s12
	s_delay_alu instid0(VALU_DEP_4)
	v_fmac_f32_e32 v9, s35, v8
	s_wait_alu 0xfffd
	v_add_co_ci_u32_e64 v26, null, s13, v27, vcc_lo
	v_add_f32_e32 v8, v24, v22
	v_add_co_u32 v22, vcc_lo, v25, v6
	v_add_f32_e32 v9, v23, v9
	s_wait_alu 0xfffd
	v_add_co_ci_u32_e64 v23, null, v26, v7, vcc_lo
	v_add_co_u32 v24, vcc_lo, v31, s14
	global_store_b64 v[10:11], v[8:9], off offset:128
	global_load_b64 v[8:9], v[22:23], off
	v_mul_f32_e32 v10, s23, v21
	v_mul_f32_e32 v11, s22, v21
	s_wait_alu 0xfffd
	v_add_co_ci_u32_e64 v25, null, s15, v32, vcc_lo
	s_delay_alu instid0(VALU_DEP_3) | instskip(NEXT) | instid1(VALU_DEP_3)
	v_fma_f32 v10, v20, s22, -v10
	v_fmac_f32_e32 v11, s23, v20
	v_add_co_u32 v20, vcc_lo, v24, v6
	s_wait_loadcnt 0x0
	v_mul_f32_e32 v21, s35, v9
	v_mul_f32_e32 v9, s34, v9
	s_delay_alu instid0(VALU_DEP_2) | instskip(NEXT) | instid1(VALU_DEP_2)
	v_fma_f32 v26, v8, s34, -v21
	v_fmac_f32_e32 v9, s35, v8
	s_wait_alu 0xfffd
	v_add_co_ci_u32_e64 v21, null, v25, v7, vcc_lo
	s_delay_alu instid0(VALU_DEP_2)
	v_dual_add_f32 v8, v10, v26 :: v_dual_add_f32 v9, v11, v9
	v_mul_f32_e32 v10, s23, v18
	v_mul_f32_e32 v11, s22, v18
	global_store_b64 v[20:21], v[8:9], off
	global_load_b64 v[8:9], v[22:23], off offset:128
	v_fma_f32 v10, v19, s22, -v10
	s_wait_loadcnt 0x0
	v_dual_fmac_f32 v11, s23, v19 :: v_dual_mul_f32 v18, s35, v9
	v_mul_f32_e32 v9, s34, v9
	s_delay_alu instid0(VALU_DEP_2) | instskip(NEXT) | instid1(VALU_DEP_2)
	v_fma_f32 v18, v8, s34, -v18
	v_fmac_f32_e32 v9, s35, v8
	v_add_co_u32 v8, vcc_lo, 0x80, v20
	s_delay_alu instid0(VALU_DEP_3) | instskip(NEXT) | instid1(VALU_DEP_3)
	v_add_f32_e32 v18, v10, v18
	v_add_f32_e32 v10, v11, v9
	s_wait_alu 0xfffd
	v_add_co_ci_u32_e64 v9, null, 0, v21, vcc_lo
	global_store_b32 v[20:21], v18, off offset:128
	s_branch .LBB103_2
.LBB103_10:
	s_nop 0
	s_sendmsg sendmsg(MSG_DEALLOC_VGPRS)
	s_endpgm
	.section	.rodata,"a",@progbits
	.p2align	6, 0x0
	.amdhsa_kernel _ZN12_GLOBAL__N_127rocblas_gemm_batched_kernelI19rocblas_complex_numIfELi16ELi16ELi32ELi32ELi8ELi32ELi8ELi8ELi32ELc67ELc78EKS2_S3_S2_EEvlllT_PT11_llS6_llS4_PT12_llPT13_lli
		.amdhsa_group_segment_fixed_size 4096
		.amdhsa_private_segment_fixed_size 0
		.amdhsa_kernarg_size 140
		.amdhsa_user_sgpr_count 2
		.amdhsa_user_sgpr_dispatch_ptr 0
		.amdhsa_user_sgpr_queue_ptr 0
		.amdhsa_user_sgpr_kernarg_segment_ptr 1
		.amdhsa_user_sgpr_dispatch_id 0
		.amdhsa_user_sgpr_private_segment_size 0
		.amdhsa_wavefront_size32 1
		.amdhsa_uses_dynamic_stack 0
		.amdhsa_enable_private_segment 0
		.amdhsa_system_sgpr_workgroup_id_x 1
		.amdhsa_system_sgpr_workgroup_id_y 1
		.amdhsa_system_sgpr_workgroup_id_z 1
		.amdhsa_system_sgpr_workgroup_info 0
		.amdhsa_system_vgpr_workitem_id 1
		.amdhsa_next_free_vgpr 100
		.amdhsa_next_free_sgpr 38
		.amdhsa_reserve_vcc 1
		.amdhsa_float_round_mode_32 0
		.amdhsa_float_round_mode_16_64 0
		.amdhsa_float_denorm_mode_32 3
		.amdhsa_float_denorm_mode_16_64 3
		.amdhsa_fp16_overflow 0
		.amdhsa_workgroup_processor_mode 1
		.amdhsa_memory_ordered 1
		.amdhsa_forward_progress 1
		.amdhsa_inst_pref_size 23
		.amdhsa_round_robin_scheduling 0
		.amdhsa_exception_fp_ieee_invalid_op 0
		.amdhsa_exception_fp_denorm_src 0
		.amdhsa_exception_fp_ieee_div_zero 0
		.amdhsa_exception_fp_ieee_overflow 0
		.amdhsa_exception_fp_ieee_underflow 0
		.amdhsa_exception_fp_ieee_inexact 0
		.amdhsa_exception_int_div_zero 0
	.end_amdhsa_kernel
	.section	.text._ZN12_GLOBAL__N_127rocblas_gemm_batched_kernelI19rocblas_complex_numIfELi16ELi16ELi32ELi32ELi8ELi32ELi8ELi8ELi32ELc67ELc78EKS2_S3_S2_EEvlllT_PT11_llS6_llS4_PT12_llPT13_lli,"axG",@progbits,_ZN12_GLOBAL__N_127rocblas_gemm_batched_kernelI19rocblas_complex_numIfELi16ELi16ELi32ELi32ELi8ELi32ELi8ELi8ELi32ELc67ELc78EKS2_S3_S2_EEvlllT_PT11_llS6_llS4_PT12_llPT13_lli,comdat
.Lfunc_end103:
	.size	_ZN12_GLOBAL__N_127rocblas_gemm_batched_kernelI19rocblas_complex_numIfELi16ELi16ELi32ELi32ELi8ELi32ELi8ELi8ELi32ELc67ELc78EKS2_S3_S2_EEvlllT_PT11_llS6_llS4_PT12_llPT13_lli, .Lfunc_end103-_ZN12_GLOBAL__N_127rocblas_gemm_batched_kernelI19rocblas_complex_numIfELi16ELi16ELi32ELi32ELi8ELi32ELi8ELi8ELi32ELc67ELc78EKS2_S3_S2_EEvlllT_PT11_llS6_llS4_PT12_llPT13_lli
                                        ; -- End function
	.set _ZN12_GLOBAL__N_127rocblas_gemm_batched_kernelI19rocblas_complex_numIfELi16ELi16ELi32ELi32ELi8ELi32ELi8ELi8ELi32ELc67ELc78EKS2_S3_S2_EEvlllT_PT11_llS6_llS4_PT12_llPT13_lli.num_vgpr, 100
	.set _ZN12_GLOBAL__N_127rocblas_gemm_batched_kernelI19rocblas_complex_numIfELi16ELi16ELi32ELi32ELi8ELi32ELi8ELi8ELi32ELc67ELc78EKS2_S3_S2_EEvlllT_PT11_llS6_llS4_PT12_llPT13_lli.num_agpr, 0
	.set _ZN12_GLOBAL__N_127rocblas_gemm_batched_kernelI19rocblas_complex_numIfELi16ELi16ELi32ELi32ELi8ELi32ELi8ELi8ELi32ELc67ELc78EKS2_S3_S2_EEvlllT_PT11_llS6_llS4_PT12_llPT13_lli.numbered_sgpr, 38
	.set _ZN12_GLOBAL__N_127rocblas_gemm_batched_kernelI19rocblas_complex_numIfELi16ELi16ELi32ELi32ELi8ELi32ELi8ELi8ELi32ELc67ELc78EKS2_S3_S2_EEvlllT_PT11_llS6_llS4_PT12_llPT13_lli.num_named_barrier, 0
	.set _ZN12_GLOBAL__N_127rocblas_gemm_batched_kernelI19rocblas_complex_numIfELi16ELi16ELi32ELi32ELi8ELi32ELi8ELi8ELi32ELc67ELc78EKS2_S3_S2_EEvlllT_PT11_llS6_llS4_PT12_llPT13_lli.private_seg_size, 0
	.set _ZN12_GLOBAL__N_127rocblas_gemm_batched_kernelI19rocblas_complex_numIfELi16ELi16ELi32ELi32ELi8ELi32ELi8ELi8ELi32ELc67ELc78EKS2_S3_S2_EEvlllT_PT11_llS6_llS4_PT12_llPT13_lli.uses_vcc, 1
	.set _ZN12_GLOBAL__N_127rocblas_gemm_batched_kernelI19rocblas_complex_numIfELi16ELi16ELi32ELi32ELi8ELi32ELi8ELi8ELi32ELc67ELc78EKS2_S3_S2_EEvlllT_PT11_llS6_llS4_PT12_llPT13_lli.uses_flat_scratch, 0
	.set _ZN12_GLOBAL__N_127rocblas_gemm_batched_kernelI19rocblas_complex_numIfELi16ELi16ELi32ELi32ELi8ELi32ELi8ELi8ELi32ELc67ELc78EKS2_S3_S2_EEvlllT_PT11_llS6_llS4_PT12_llPT13_lli.has_dyn_sized_stack, 0
	.set _ZN12_GLOBAL__N_127rocblas_gemm_batched_kernelI19rocblas_complex_numIfELi16ELi16ELi32ELi32ELi8ELi32ELi8ELi8ELi32ELc67ELc78EKS2_S3_S2_EEvlllT_PT11_llS6_llS4_PT12_llPT13_lli.has_recursion, 0
	.set _ZN12_GLOBAL__N_127rocblas_gemm_batched_kernelI19rocblas_complex_numIfELi16ELi16ELi32ELi32ELi8ELi32ELi8ELi8ELi32ELc67ELc78EKS2_S3_S2_EEvlllT_PT11_llS6_llS4_PT12_llPT13_lli.has_indirect_call, 0
	.section	.AMDGPU.csdata,"",@progbits
; Kernel info:
; codeLenInByte = 2852
; TotalNumSgprs: 40
; NumVgprs: 100
; ScratchSize: 0
; MemoryBound: 0
; FloatMode: 240
; IeeeMode: 1
; LDSByteSize: 4096 bytes/workgroup (compile time only)
; SGPRBlocks: 0
; VGPRBlocks: 12
; NumSGPRsForWavesPerEU: 40
; NumVGPRsForWavesPerEU: 100
; Occupancy: 12
; WaveLimiterHint : 1
; COMPUTE_PGM_RSRC2:SCRATCH_EN: 0
; COMPUTE_PGM_RSRC2:USER_SGPR: 2
; COMPUTE_PGM_RSRC2:TRAP_HANDLER: 0
; COMPUTE_PGM_RSRC2:TGID_X_EN: 1
; COMPUTE_PGM_RSRC2:TGID_Y_EN: 1
; COMPUTE_PGM_RSRC2:TGID_Z_EN: 1
; COMPUTE_PGM_RSRC2:TIDIG_COMP_CNT: 1
	.section	.text._ZN12_GLOBAL__N_127rocblas_gemm_batched_kernelI19rocblas_complex_numIfELi16ELi16ELi32ELi32ELi8ELi32ELi8ELi8ELi32ELc67ELc84EKS2_S3_S2_EEvlllT_PT11_llS6_llS4_PT12_llPT13_lli,"axG",@progbits,_ZN12_GLOBAL__N_127rocblas_gemm_batched_kernelI19rocblas_complex_numIfELi16ELi16ELi32ELi32ELi8ELi32ELi8ELi8ELi32ELc67ELc84EKS2_S3_S2_EEvlllT_PT11_llS6_llS4_PT12_llPT13_lli,comdat
	.globl	_ZN12_GLOBAL__N_127rocblas_gemm_batched_kernelI19rocblas_complex_numIfELi16ELi16ELi32ELi32ELi8ELi32ELi8ELi8ELi32ELc67ELc84EKS2_S3_S2_EEvlllT_PT11_llS6_llS4_PT12_llPT13_lli ; -- Begin function _ZN12_GLOBAL__N_127rocblas_gemm_batched_kernelI19rocblas_complex_numIfELi16ELi16ELi32ELi32ELi8ELi32ELi8ELi8ELi32ELc67ELc84EKS2_S3_S2_EEvlllT_PT11_llS6_llS4_PT12_llPT13_lli
	.p2align	8
	.type	_ZN12_GLOBAL__N_127rocblas_gemm_batched_kernelI19rocblas_complex_numIfELi16ELi16ELi32ELi32ELi8ELi32ELi8ELi8ELi32ELc67ELc84EKS2_S3_S2_EEvlllT_PT11_llS6_llS4_PT12_llPT13_lli,@function
_ZN12_GLOBAL__N_127rocblas_gemm_batched_kernelI19rocblas_complex_numIfELi16ELi16ELi32ELi32ELi8ELi32ELi8ELi8ELi32ELc67ELc84EKS2_S3_S2_EEvlllT_PT11_llS6_llS4_PT12_llPT13_lli: ; @_ZN12_GLOBAL__N_127rocblas_gemm_batched_kernelI19rocblas_complex_numIfELi16ELi16ELi32ELi32ELi8ELi32ELi8ELi8ELi32ELc67ELc84EKS2_S3_S2_EEvlllT_PT11_llS6_llS4_PT12_llPT13_lli
; %bb.0:
	s_load_b32 s33, s[0:1], 0x88
	s_lshr_b32 s2, ttmp7, 16
	s_wait_kmcnt 0x0
	s_cmp_ge_i32 s2, s33
	s_cbranch_scc1 .LBB104_10
; %bb.1:
	v_and_b32_e32 v11, 0x3ff, v0
	v_bfe_u32 v6, v0, 10, 10
	s_clause 0x3
	s_load_b128 s[28:31], s[0:1], 0x40
	s_load_b128 s[20:23], s[0:1], 0x10
	s_load_b256 s[12:19], s[0:1], 0x20
	s_load_b128 s[24:27], s[0:1], 0x78
	s_lshl_b32 s3, ttmp7, 5
	s_clause 0x1
	s_load_b256 s[4:11], s[0:1], 0x58
	s_load_b64 s[34:35], s[0:1], 0x50
	v_lshl_add_u32 v2, v6, 4, v11
	s_and_b32 s38, s3, 0x1fffe0
	v_and_b32_e32 v4, 7, v0
	s_mov_b32 s36, ttmp9
	s_ashr_i32 s37, ttmp9, 31
	v_lshrrev_b32_e32 v3, 3, v2
	v_and_b32_e32 v7, 31, v2
	s_lshl_b64 s[0:1], s[36:37], 5
	v_lshlrev_b32_e32 v5, 3, v4
	v_add_nc_u32_e32 v10, s38, v6
	v_add_co_u32 v0, s3, v3, s38
	s_delay_alu instid0(VALU_DEP_1)
	v_add_co_ci_u32_e64 v1, null, 0, 0, s3
	v_lshlrev_b32_e32 v8, 3, v7
	v_or_b32_e32 v7, s0, v7
	v_lshrrev_b32_e32 v16, 5, v2
	s_wait_kmcnt 0x0
	v_mad_co_u64_u32 v[0:1], null, s28, v4, v[0:1]
	v_lshl_or_b32 v9, v3, 6, v5
	v_lshl_add_u32 v15, v6, 6, 0x800
	v_mul_lo_u32 v17, s15, v7
	v_mad_co_u64_u32 v[6:7], null, s14, v7, 0
	v_lshl_or_b32 v13, v16, 8, v8
	v_mad_co_u64_u32 v[1:2], null, s29, v4, v[1:2]
	v_mad_co_u64_u32 v[4:5], null, v10, s24, 0
	;; [unrolled: 1-line block ×3, first 2 shown]
	v_add_nc_u32_e32 v14, 0x800, v9
	s_mul_i32 s14, s14, s1
	s_or_b32 s36, s34, s35
	s_wait_alu 0xfffe
	v_add3_u32 v7, v7, s14, v17
	s_delay_alu instid0(VALU_DEP_4) | instskip(NEXT) | instid1(VALU_DEP_4)
	v_mad_co_u64_u32 v[8:9], null, v10, s25, v[5:6]
	v_mad_co_u64_u32 v[9:10], null, v10, s7, v[3:4]
	v_lshlrev_b32_e32 v12, 3, v11
	s_delay_alu instid0(VALU_DEP_4)
	v_lshlrev_b64_e32 v[6:7], 3, v[6:7]
	v_add_co_u32 v10, s0, s0, v11
	v_dual_mov_b32 v5, v8 :: v_dual_lshlrev_b32 v8, 3, v16
	v_mov_b32_e32 v3, v9
	s_wait_alu 0xf1ff
	v_add_co_ci_u32_e64 v11, null, s1, 0, s0
	v_cmp_gt_i64_e64 s0, s[20:21], 0
	v_add_co_u32 v6, vcc_lo, v6, v8
	v_lshlrev_b64_e32 v[2:3], 3, v[2:3]
	v_add_co_ci_u32_e64 v7, null, 0, v7, vcc_lo
	s_bitset0_b32 s36, 31
	v_lshlrev_b64_e32 v[4:5], 3, v[4:5]
	s_cmp_eq_u32 s36, 0
	v_add_co_u32 v16, vcc_lo, s4, v2
	s_wait_alu 0xfffd
	v_add_co_ci_u32_e64 v17, null, s5, v3, vcc_lo
	v_add_co_u32 v6, vcc_lo, s12, v6
	v_lshlrev_b64_e32 v[2:3], 3, v[0:1]
	s_cselect_b32 s36, -1, 0
	s_wait_alu 0xfffd
	v_add_co_ci_u32_e64 v7, null, s13, v7, vcc_lo
	v_add_co_u32 v0, vcc_lo, v6, 4
	s_wait_alu 0xf1ff
	v_cndmask_b32_e64 v6, 0, 1, s0
	v_cndmask_b32_e64 v8, 0, 1, s36
	s_wait_alu 0xfffd
	v_add_co_ci_u32_e64 v1, null, 0, v7, vcc_lo
	v_add_co_u32 v2, vcc_lo, s18, v2
	v_cmp_ne_u32_e64 s0, 1, v6
	v_lshlrev_b64_e32 v[6:7], 3, v[10:11]
	s_wait_alu 0xfffd
	v_add_co_ci_u32_e64 v3, null, s19, v3, vcc_lo
	v_cmp_ne_u32_e64 s1, 1, v8
	s_lshl_b64 s[24:25], s[24:25], 4
	s_lshl_b64 s[14:15], s[6:7], 4
	s_mov_b32 s3, 0
	s_lshl_b64 s[4:5], s[16:17], 3
	s_lshl_b64 s[6:7], s[30:31], 3
	;; [unrolled: 1-line block ×3, first 2 shown]
	s_wait_alu 0xfffe
	s_lshl_b64 s[14:15], s[14:15], 3
	s_lshl_b64 s[16:17], s[24:25], 3
	s_branch .LBB104_3
.LBB104_2:                              ;   in Loop: Header=BB104_3 Depth=1
	s_add_co_i32 s2, s2, 0x10000
	global_store_b32 v[8:9], v10, off offset:4
	s_wait_alu 0xfffe
	s_cmp_lt_i32 s2, s33
	s_cbranch_scc0 .LBB104_10
.LBB104_3:                              ; =>This Loop Header: Depth=1
                                        ;     Child Loop BB104_5 Depth 2
	v_dual_mov_b32 v24, 0 :: v_dual_mov_b32 v25, 0
	v_dual_mov_b32 v22, 0 :: v_dual_mov_b32 v23, 0
	;; [unrolled: 1-line block ×4, first 2 shown]
	s_and_b32 vcc_lo, exec_lo, s0
	s_wait_alu 0xfffe
	s_cbranch_vccnz .LBB104_6
; %bb.4:                                ;   in Loop: Header=BB104_3 Depth=1
	v_mad_co_u64_u32 v[8:9], null, s4, s2, v[0:1]
	v_mad_co_u64_u32 v[10:11], null, s6, s2, v[2:3]
	v_dual_mov_b32 v18, 0 :: v_dual_mov_b32 v19, 0
	v_dual_mov_b32 v21, 0 :: v_dual_mov_b32 v20, 0
	;; [unrolled: 1-line block ×3, first 2 shown]
	s_delay_alu instid0(VALU_DEP_4) | instskip(SKIP_3) | instid1(VALU_DEP_3)
	v_mad_co_u64_u32 v[24:25], null, s5, s2, v[9:10]
	v_mad_co_u64_u32 v[26:27], null, s7, s2, v[11:12]
	v_mov_b32_e32 v25, 0
	s_mov_b64 s[18:19], 0
	v_dual_mov_b32 v9, v24 :: v_dual_mov_b32 v24, 0
	s_delay_alu instid0(VALU_DEP_3)
	v_mov_b32_e32 v11, v26
.LBB104_5:                              ;   Parent Loop BB104_3 Depth=1
                                        ; =>  This Inner Loop Header: Depth=2
	global_load_b64 v[26:27], v[8:9], off offset:-4
	global_load_b64 v[28:29], v[10:11], off
	s_wait_alu 0xfffe
	s_add_nc_u64 s[18:19], s[18:19], 8
	v_add_co_u32 v8, vcc_lo, v8, 64
	s_wait_alu 0xfffe
	v_cmp_lt_i64_e64 s24, s[18:19], s[20:21]
	s_wait_alu 0xfffd
	v_add_co_ci_u32_e64 v9, null, 0, v9, vcc_lo
	v_add_co_u32 v10, vcc_lo, v10, s12
	s_wait_alu 0xfffd
	v_add_co_ci_u32_e64 v11, null, s13, v11, vcc_lo
	s_and_b32 vcc_lo, exec_lo, s24
	s_wait_loadcnt 0x1
	v_xor_b32_e32 v27, 0x80000000, v27
	s_wait_loadcnt 0x0
	ds_store_b64 v14, v[28:29]
	ds_store_b64 v13, v[26:27]
	s_wait_dscnt 0x0
	s_barrier_signal -1
	s_barrier_wait -1
	global_inv scope:SCOPE_SE
	ds_load_2addr_b64 v[26:29], v12 offset1:16
	ds_load_b128 v[30:33], v15
	ds_load_b128 v[34:37], v15 offset:1024
	ds_load_2addr_b64 v[38:41], v12 offset0:32 offset1:48
	ds_load_b128 v[42:45], v15 offset:16
	ds_load_b128 v[46:49], v15 offset:32
	;; [unrolled: 1-line block ×3, first 2 shown]
	ds_load_2addr_b64 v[54:57], v12 offset0:64 offset1:80
	ds_load_b128 v[58:61], v15 offset:1040
	ds_load_2addr_b64 v[62:65], v12 offset0:96 offset1:112
	ds_load_2addr_b64 v[66:69], v12 offset0:128 offset1:144
	;; [unrolled: 1-line block ×4, first 2 shown]
	ds_load_b128 v[78:81], v15 offset:1056
	ds_load_b128 v[82:85], v15 offset:1072
	ds_load_2addr_b64 v[86:89], v12 offset0:224 offset1:240
	s_wait_loadcnt_dscnt 0x0
	s_barrier_signal -1
	s_barrier_wait -1
	global_inv scope:SCOPE_SE
	v_dual_mul_f32 v90, v31, v27 :: v_dual_mul_f32 v93, v30, v29
	v_dual_mul_f32 v91, v30, v27 :: v_dual_mul_f32 v92, v31, v29
	v_mul_f32_e32 v94, v35, v27
	v_dual_mul_f32 v27, v34, v27 :: v_dual_mul_f32 v98, v33, v41
	v_dual_mul_f32 v95, v35, v29 :: v_dual_mul_f32 v96, v33, v39
	v_mul_f32_e32 v29, v34, v29
	v_mul_f32_e32 v97, v32, v39
	;; [unrolled: 1-line block ×3, first 2 shown]
	v_fma_f32 v90, v30, v26, -v90
	v_fmac_f32_e32 v91, v31, v26
	v_fma_f32 v30, v30, v28, -v92
	v_dual_fmac_f32 v93, v31, v28 :: v_dual_mul_f32 v92, v42, v55
	v_fma_f32 v31, v34, v26, -v94
	v_fmac_f32_e32 v27, v35, v26
	v_fma_f32 v26, v34, v28, -v95
	v_dual_mul_f32 v34, v36, v39 :: v_dual_fmac_f32 v29, v35, v28
	v_mul_f32_e32 v28, v37, v39
	v_mul_f32_e32 v35, v37, v41
	v_dual_mul_f32 v39, v36, v41 :: v_dual_fmac_f32 v92, v43, v54
	v_fma_f32 v41, v32, v38, -v96
	v_fma_f32 v32, v32, v40, -v98
	v_dual_fmac_f32 v99, v33, v40 :: v_dual_mul_f32 v98, v44, v65
	v_dual_mul_f32 v94, v43, v57 :: v_dual_fmac_f32 v97, v33, v38
	v_dual_mul_f32 v33, v43, v55 :: v_dual_mul_f32 v96, v45, v65
	v_fma_f32 v28, v36, v38, -v28
	v_fmac_f32_e32 v34, v37, v38
	v_fma_f32 v35, v36, v40, -v35
	v_dual_fmac_f32 v39, v37, v40 :: v_dual_mul_f32 v36, v59, v55
	v_dual_mul_f32 v37, v58, v55 :: v_dual_mul_f32 v38, v59, v57
	v_mul_f32_e32 v40, v58, v57
	v_mul_f32_e32 v95, v42, v57
	;; [unrolled: 1-line block ×3, first 2 shown]
	v_dual_mul_f32 v57, v44, v63 :: v_dual_fmac_f32 v98, v45, v64
	v_fma_f32 v33, v42, v54, -v33
	v_fma_f32 v42, v42, v56, -v94
	;; [unrolled: 1-line block ×4, first 2 shown]
	v_fmac_f32_e32 v40, v59, v56
	v_fmac_f32_e32 v95, v43, v56
	v_mul_f32_e32 v43, v61, v63
	v_mul_f32_e32 v56, v61, v65
	v_dual_mul_f32 v58, v60, v65 :: v_dual_fmac_f32 v37, v59, v54
	v_mul_f32_e32 v54, v60, v63
	v_fma_f32 v55, v44, v62, -v55
	v_fmac_f32_e32 v57, v45, v62
	v_fma_f32 v44, v44, v64, -v96
	v_mul_f32_e32 v45, v47, v67
	v_dual_mul_f32 v59, v46, v67 :: v_dual_mul_f32 v94, v49, v73
	v_mul_f32_e32 v63, v47, v69
	v_fma_f32 v43, v60, v62, -v43
	v_fmac_f32_e32 v54, v61, v62
	v_fma_f32 v56, v60, v64, -v56
	v_fmac_f32_e32 v58, v61, v64
	v_mul_f32_e32 v60, v79, v67
	v_dual_mul_f32 v61, v78, v67 :: v_dual_mul_f32 v96, v48, v73
	v_mul_f32_e32 v62, v79, v69
	v_mul_f32_e32 v64, v78, v69
	;; [unrolled: 1-line block ×5, first 2 shown]
	v_fma_f32 v45, v46, v66, -v45
	v_dual_fmac_f32 v59, v47, v66 :: v_dual_fmac_f32 v96, v49, v72
	v_fmac_f32_e32 v64, v79, v68
	v_fmac_f32_e32 v65, v47, v68
	v_fma_f32 v47, v78, v66, -v60
	v_fma_f32 v60, v78, v68, -v62
	v_mul_f32_e32 v62, v81, v71
	v_fma_f32 v46, v46, v68, -v63
	v_dual_mul_f32 v68, v80, v73 :: v_dual_fmac_f32 v61, v79, v66
	v_mul_f32_e32 v66, v81, v73
	v_dual_mul_f32 v78, v50, v77 :: v_dual_mul_f32 v63, v80, v71
	v_fma_f32 v67, v48, v70, -v67
	v_fmac_f32_e32 v69, v49, v70
	v_fma_f32 v48, v48, v72, -v94
	v_dual_mul_f32 v49, v51, v75 :: v_dual_mul_f32 v94, v52, v89
	v_mul_f32_e32 v73, v51, v77
	v_fma_f32 v62, v80, v70, -v62
	v_fma_f32 v66, v80, v72, -v66
	v_fmac_f32_e32 v68, v81, v72
	v_mul_f32_e32 v72, v82, v75
	v_mul_f32_e32 v71, v50, v75
	;; [unrolled: 1-line block ×3, first 2 shown]
	v_dual_fmac_f32 v78, v51, v76 :: v_dual_fmac_f32 v63, v81, v70
	v_mul_f32_e32 v70, v83, v75
	v_mul_f32_e32 v75, v83, v77
	s_delay_alu instid0(VALU_DEP_4)
	v_dual_mul_f32 v77, v82, v77 :: v_dual_fmac_f32 v80, v53, v86
	v_mul_f32_e32 v79, v53, v87
	v_fma_f32 v49, v50, v74, -v49
	v_fma_f32 v50, v50, v76, -v73
	v_fmac_f32_e32 v72, v83, v74
	v_dual_fmac_f32 v71, v51, v74 :: v_dual_fmac_f32 v94, v53, v88
	v_fma_f32 v51, v82, v74, -v70
	v_mul_f32_e32 v74, v84, v87
	v_fma_f32 v70, v82, v76, -v75
	v_dual_fmac_f32 v77, v83, v76 :: v_dual_mul_f32 v76, v84, v89
	v_dual_mul_f32 v81, v53, v89 :: v_dual_add_f32 v24, v24, v90
	v_dual_mul_f32 v73, v85, v87 :: v_dual_add_f32 v22, v22, v30
	;; [unrolled: 1-line block ×3, first 2 shown]
	s_delay_alu instid0(VALU_DEP_4) | instskip(SKIP_3) | instid1(VALU_DEP_3)
	v_dual_fmac_f32 v76, v85, v88 :: v_dual_add_f32 v23, v23, v93
	v_dual_add_f32 v25, v25, v91 :: v_dual_add_f32 v18, v18, v29
	v_dual_add_f32 v21, v21, v27 :: v_dual_add_f32 v24, v24, v41
	;; [unrolled: 1-line block ×4, first 2 shown]
	s_delay_alu instid0(VALU_DEP_3) | instskip(NEXT) | instid1(VALU_DEP_4)
	v_dual_add_f32 v23, v23, v99 :: v_dual_add_f32 v24, v24, v33
	v_dual_add_f32 v21, v21, v34 :: v_dual_add_f32 v18, v18, v39
	s_delay_alu instid0(VALU_DEP_4) | instskip(NEXT) | instid1(VALU_DEP_3)
	v_dual_add_f32 v19, v19, v35 :: v_dual_add_f32 v22, v22, v42
	v_dual_add_f32 v25, v25, v92 :: v_dual_add_f32 v24, v24, v55
	s_delay_alu instid0(VALU_DEP_4) | instskip(NEXT) | instid1(VALU_DEP_4)
	v_dual_add_f32 v23, v23, v95 :: v_dual_add_f32 v20, v20, v36
	v_dual_add_f32 v21, v21, v37 :: v_dual_add_f32 v18, v18, v40
	s_delay_alu instid0(VALU_DEP_4) | instskip(NEXT) | instid1(VALU_DEP_3)
	v_dual_add_f32 v19, v19, v38 :: v_dual_add_f32 v22, v22, v44
	v_dual_add_f32 v25, v25, v57 :: v_dual_add_f32 v20, v20, v43
	s_delay_alu instid0(VALU_DEP_4) | instskip(NEXT) | instid1(VALU_DEP_4)
	v_dual_add_f32 v23, v23, v98 :: v_dual_add_f32 v24, v24, v45
	v_add_f32_e32 v21, v21, v54
	s_delay_alu instid0(VALU_DEP_4) | instskip(NEXT) | instid1(VALU_DEP_4)
	v_dual_add_f32 v19, v19, v56 :: v_dual_add_f32 v18, v18, v58
	v_dual_add_f32 v25, v25, v59 :: v_dual_add_f32 v22, v22, v46
	s_delay_alu instid0(VALU_DEP_4) | instskip(NEXT) | instid1(VALU_DEP_4)
	v_dual_add_f32 v23, v23, v65 :: v_dual_add_f32 v20, v20, v47
	v_dual_add_f32 v21, v21, v61 :: v_dual_add_f32 v24, v24, v67
	s_delay_alu instid0(VALU_DEP_4) | instskip(NEXT) | instid1(VALU_DEP_4)
	v_add_f32_e32 v19, v19, v60
	v_dual_add_f32 v18, v18, v64 :: v_dual_add_f32 v25, v25, v69
	v_add_f32_e32 v22, v22, v48
	s_delay_alu instid0(VALU_DEP_4) | instskip(SKIP_1) | instid1(VALU_DEP_4)
	v_dual_add_f32 v23, v23, v96 :: v_dual_add_f32 v24, v24, v49
	v_dual_add_f32 v20, v20, v62 :: v_dual_add_f32 v21, v21, v63
	;; [unrolled: 1-line block ×3, first 2 shown]
	v_fma_f32 v79, v52, v86, -v79
	v_fma_f32 v52, v52, v88, -v81
	v_fma_f32 v53, v84, v86, -v73
	v_fmac_f32_e32 v74, v85, v86
	v_fma_f32 v73, v84, v88, -v75
	v_dual_add_f32 v25, v25, v71 :: v_dual_add_f32 v22, v22, v50
	v_dual_add_f32 v23, v23, v78 :: v_dual_add_f32 v18, v18, v77
	;; [unrolled: 1-line block ×4, first 2 shown]
	s_delay_alu instid0(VALU_DEP_4) | instskip(NEXT) | instid1(VALU_DEP_3)
	v_add_f32_e32 v22, v22, v52
	v_dual_add_f32 v25, v25, v80 :: v_dual_add_f32 v20, v20, v53
	v_dual_add_f32 v23, v23, v94 :: v_dual_add_f32 v18, v18, v76
	v_add_f32_e32 v21, v21, v74
	v_add_f32_e32 v19, v19, v73
	s_wait_alu 0xfffe
	s_cbranch_vccnz .LBB104_5
.LBB104_6:                              ;   in Loop: Header=BB104_3 Depth=1
	s_mul_u64 s[18:19], s[26:27], s[2:3]
	s_and_b32 vcc_lo, exec_lo, s1
	s_wait_alu 0xfffe
	s_lshl_b64 s[18:19], s[18:19], 3
	s_mov_b32 s24, -1
	s_wait_alu 0xfffe
	s_add_nc_u64 s[18:19], s[10:11], s[18:19]
                                        ; implicit-def: $vgpr10
                                        ; implicit-def: $vgpr8_vgpr9
	s_cbranch_vccz .LBB104_8
; %bb.7:                                ;   in Loop: Header=BB104_3 Depth=1
	s_and_not1_b32 vcc_lo, exec_lo, s24
	s_wait_alu 0xfffe
	s_cbranch_vccnz .LBB104_2
	s_branch .LBB104_9
.LBB104_8:                              ;   in Loop: Header=BB104_3 Depth=1
	v_mul_f32_e32 v27, s22, v25
	v_mul_f32_e32 v8, s23, v25
	s_wait_alu 0xfffe
	v_add_co_u32 v9, vcc_lo, s18, v4
	s_wait_alu 0xfffd
	v_add_co_ci_u32_e64 v10, null, s19, v5, vcc_lo
	v_fmac_f32_e32 v27, s23, v24
	v_fma_f32 v26, v24, s22, -v8
	v_mul_f32_e32 v8, s23, v23
	v_add_co_u32 v30, vcc_lo, v9, v6
	v_mul_f32_e32 v29, s22, v23
	s_wait_alu 0xfffd
	v_add_co_ci_u32_e64 v31, null, v10, v7, vcc_lo
	v_fma_f32 v28, v22, s22, -v8
	v_mul_f32_e32 v8, s23, v21
	v_add_co_u32 v9, vcc_lo, v9, s16
	v_mul_f32_e32 v33, s22, v21
	s_wait_alu 0xfffd
	v_add_co_ci_u32_e64 v11, null, s17, v10, vcc_lo
	v_fma_f32 v32, v20, s22, -v8
	v_mul_f32_e32 v8, s23, v18
	v_add_co_u32 v34, vcc_lo, v9, v6
	v_dual_fmac_f32 v33, s23, v20 :: v_dual_mul_f32 v10, s22, v18
	s_wait_alu 0xfffd
	v_add_co_ci_u32_e64 v35, null, v11, v7, vcc_lo
	v_fma_f32 v11, v19, s22, -v8
	v_add_co_u32 v8, vcc_lo, 0x80, v34
	v_dual_fmac_f32 v29, s23, v22 :: v_dual_fmac_f32 v10, s23, v19
	s_wait_alu 0xfffd
	v_add_co_ci_u32_e64 v9, null, 0, v35, vcc_lo
	s_clause 0x3
	global_store_b64 v[30:31], v[26:27], off
	global_store_b64 v[30:31], v[28:29], off offset:128
	global_store_b64 v[34:35], v[32:33], off
	global_store_b32 v[34:35], v11, off offset:128
	s_cbranch_execnz .LBB104_2
.LBB104_9:                              ;   in Loop: Header=BB104_3 Depth=1
	s_mul_u64 s[24:25], s[8:9], s[2:3]
	s_wait_alu 0xfffe
	s_lshl_b64 s[24:25], s[24:25], 3
	s_wait_alu 0xfffe
	v_add_co_u32 v26, vcc_lo, v16, s24
	s_wait_alu 0xfffd
	v_add_co_ci_u32_e64 v27, null, s25, v17, vcc_lo
	s_delay_alu instid0(VALU_DEP_2) | instskip(SKIP_1) | instid1(VALU_DEP_2)
	v_add_co_u32 v8, vcc_lo, v26, v6
	s_wait_alu 0xfffd
	v_add_co_ci_u32_e64 v9, null, v27, v7, vcc_lo
	v_add_co_u32 v31, vcc_lo, s18, v4
	s_wait_alu 0xfffd
	v_add_co_ci_u32_e64 v32, null, s19, v5, vcc_lo
	global_load_b64 v[10:11], v[8:9], off
	v_mul_f32_e32 v28, s23, v25
	s_wait_loadcnt 0x0
	v_dual_mul_f32 v25, s22, v25 :: v_dual_mul_f32 v30, s34, v11
	v_mul_f32_e32 v29, s35, v11
	s_delay_alu instid0(VALU_DEP_3) | instskip(NEXT) | instid1(VALU_DEP_3)
	v_fma_f32 v28, v24, s22, -v28
	v_dual_fmac_f32 v25, s23, v24 :: v_dual_fmac_f32 v30, s35, v10
	s_delay_alu instid0(VALU_DEP_3) | instskip(SKIP_3) | instid1(VALU_DEP_3)
	v_fma_f32 v24, v10, s34, -v29
	v_add_co_u32 v10, vcc_lo, v31, v6
	s_wait_alu 0xfffd
	v_add_co_ci_u32_e64 v11, null, v32, v7, vcc_lo
	v_dual_add_f32 v24, v28, v24 :: v_dual_add_f32 v25, v25, v30
	global_store_b64 v[10:11], v[24:25], off
	global_load_b64 v[8:9], v[8:9], off offset:128
	s_wait_loadcnt 0x0
	v_dual_mul_f32 v24, s23, v23 :: v_dual_mul_f32 v25, s35, v9
	s_delay_alu instid0(VALU_DEP_1) | instskip(SKIP_2) | instid1(VALU_DEP_2)
	v_fma_f32 v24, v22, s22, -v24
	v_mul_f32_e32 v23, s22, v23
	v_mul_f32_e32 v9, s34, v9
	v_fmac_f32_e32 v23, s23, v22
	v_fma_f32 v22, v8, s34, -v25
	v_add_co_u32 v25, vcc_lo, v26, s14
	s_delay_alu instid0(VALU_DEP_4)
	v_fmac_f32_e32 v9, s35, v8
	s_wait_alu 0xfffd
	v_add_co_ci_u32_e64 v26, null, s15, v27, vcc_lo
	v_add_f32_e32 v8, v24, v22
	v_add_co_u32 v22, vcc_lo, v25, v6
	v_add_f32_e32 v9, v23, v9
	s_wait_alu 0xfffd
	v_add_co_ci_u32_e64 v23, null, v26, v7, vcc_lo
	v_add_co_u32 v24, vcc_lo, v31, s16
	global_store_b64 v[10:11], v[8:9], off offset:128
	global_load_b64 v[8:9], v[22:23], off
	v_mul_f32_e32 v10, s23, v21
	v_mul_f32_e32 v11, s22, v21
	s_wait_alu 0xfffd
	v_add_co_ci_u32_e64 v25, null, s17, v32, vcc_lo
	s_delay_alu instid0(VALU_DEP_3) | instskip(NEXT) | instid1(VALU_DEP_3)
	v_fma_f32 v10, v20, s22, -v10
	v_fmac_f32_e32 v11, s23, v20
	v_add_co_u32 v20, vcc_lo, v24, v6
	s_wait_loadcnt 0x0
	v_mul_f32_e32 v21, s35, v9
	v_mul_f32_e32 v9, s34, v9
	s_delay_alu instid0(VALU_DEP_2) | instskip(NEXT) | instid1(VALU_DEP_2)
	v_fma_f32 v26, v8, s34, -v21
	v_fmac_f32_e32 v9, s35, v8
	s_wait_alu 0xfffd
	v_add_co_ci_u32_e64 v21, null, v25, v7, vcc_lo
	s_delay_alu instid0(VALU_DEP_2)
	v_dual_add_f32 v8, v10, v26 :: v_dual_add_f32 v9, v11, v9
	v_mul_f32_e32 v10, s23, v18
	v_mul_f32_e32 v11, s22, v18
	global_store_b64 v[20:21], v[8:9], off
	global_load_b64 v[8:9], v[22:23], off offset:128
	v_fma_f32 v10, v19, s22, -v10
	s_wait_loadcnt 0x0
	v_dual_fmac_f32 v11, s23, v19 :: v_dual_mul_f32 v18, s35, v9
	v_mul_f32_e32 v9, s34, v9
	s_delay_alu instid0(VALU_DEP_2) | instskip(NEXT) | instid1(VALU_DEP_2)
	v_fma_f32 v18, v8, s34, -v18
	v_fmac_f32_e32 v9, s35, v8
	v_add_co_u32 v8, vcc_lo, 0x80, v20
	s_delay_alu instid0(VALU_DEP_3) | instskip(NEXT) | instid1(VALU_DEP_3)
	v_add_f32_e32 v18, v10, v18
	v_add_f32_e32 v10, v11, v9
	s_wait_alu 0xfffd
	v_add_co_ci_u32_e64 v9, null, 0, v21, vcc_lo
	global_store_b32 v[20:21], v18, off offset:128
	s_branch .LBB104_2
.LBB104_10:
	s_nop 0
	s_sendmsg sendmsg(MSG_DEALLOC_VGPRS)
	s_endpgm
	.section	.rodata,"a",@progbits
	.p2align	6, 0x0
	.amdhsa_kernel _ZN12_GLOBAL__N_127rocblas_gemm_batched_kernelI19rocblas_complex_numIfELi16ELi16ELi32ELi32ELi8ELi32ELi8ELi8ELi32ELc67ELc84EKS2_S3_S2_EEvlllT_PT11_llS6_llS4_PT12_llPT13_lli
		.amdhsa_group_segment_fixed_size 4096
		.amdhsa_private_segment_fixed_size 0
		.amdhsa_kernarg_size 140
		.amdhsa_user_sgpr_count 2
		.amdhsa_user_sgpr_dispatch_ptr 0
		.amdhsa_user_sgpr_queue_ptr 0
		.amdhsa_user_sgpr_kernarg_segment_ptr 1
		.amdhsa_user_sgpr_dispatch_id 0
		.amdhsa_user_sgpr_private_segment_size 0
		.amdhsa_wavefront_size32 1
		.amdhsa_uses_dynamic_stack 0
		.amdhsa_enable_private_segment 0
		.amdhsa_system_sgpr_workgroup_id_x 1
		.amdhsa_system_sgpr_workgroup_id_y 1
		.amdhsa_system_sgpr_workgroup_id_z 1
		.amdhsa_system_sgpr_workgroup_info 0
		.amdhsa_system_vgpr_workitem_id 1
		.amdhsa_next_free_vgpr 100
		.amdhsa_next_free_sgpr 39
		.amdhsa_reserve_vcc 1
		.amdhsa_float_round_mode_32 0
		.amdhsa_float_round_mode_16_64 0
		.amdhsa_float_denorm_mode_32 3
		.amdhsa_float_denorm_mode_16_64 3
		.amdhsa_fp16_overflow 0
		.amdhsa_workgroup_processor_mode 1
		.amdhsa_memory_ordered 1
		.amdhsa_forward_progress 1
		.amdhsa_inst_pref_size 23
		.amdhsa_round_robin_scheduling 0
		.amdhsa_exception_fp_ieee_invalid_op 0
		.amdhsa_exception_fp_denorm_src 0
		.amdhsa_exception_fp_ieee_div_zero 0
		.amdhsa_exception_fp_ieee_overflow 0
		.amdhsa_exception_fp_ieee_underflow 0
		.amdhsa_exception_fp_ieee_inexact 0
		.amdhsa_exception_int_div_zero 0
	.end_amdhsa_kernel
	.section	.text._ZN12_GLOBAL__N_127rocblas_gemm_batched_kernelI19rocblas_complex_numIfELi16ELi16ELi32ELi32ELi8ELi32ELi8ELi8ELi32ELc67ELc84EKS2_S3_S2_EEvlllT_PT11_llS6_llS4_PT12_llPT13_lli,"axG",@progbits,_ZN12_GLOBAL__N_127rocblas_gemm_batched_kernelI19rocblas_complex_numIfELi16ELi16ELi32ELi32ELi8ELi32ELi8ELi8ELi32ELc67ELc84EKS2_S3_S2_EEvlllT_PT11_llS6_llS4_PT12_llPT13_lli,comdat
.Lfunc_end104:
	.size	_ZN12_GLOBAL__N_127rocblas_gemm_batched_kernelI19rocblas_complex_numIfELi16ELi16ELi32ELi32ELi8ELi32ELi8ELi8ELi32ELc67ELc84EKS2_S3_S2_EEvlllT_PT11_llS6_llS4_PT12_llPT13_lli, .Lfunc_end104-_ZN12_GLOBAL__N_127rocblas_gemm_batched_kernelI19rocblas_complex_numIfELi16ELi16ELi32ELi32ELi8ELi32ELi8ELi8ELi32ELc67ELc84EKS2_S3_S2_EEvlllT_PT11_llS6_llS4_PT12_llPT13_lli
                                        ; -- End function
	.set _ZN12_GLOBAL__N_127rocblas_gemm_batched_kernelI19rocblas_complex_numIfELi16ELi16ELi32ELi32ELi8ELi32ELi8ELi8ELi32ELc67ELc84EKS2_S3_S2_EEvlllT_PT11_llS6_llS4_PT12_llPT13_lli.num_vgpr, 100
	.set _ZN12_GLOBAL__N_127rocblas_gemm_batched_kernelI19rocblas_complex_numIfELi16ELi16ELi32ELi32ELi8ELi32ELi8ELi8ELi32ELc67ELc84EKS2_S3_S2_EEvlllT_PT11_llS6_llS4_PT12_llPT13_lli.num_agpr, 0
	.set _ZN12_GLOBAL__N_127rocblas_gemm_batched_kernelI19rocblas_complex_numIfELi16ELi16ELi32ELi32ELi8ELi32ELi8ELi8ELi32ELc67ELc84EKS2_S3_S2_EEvlllT_PT11_llS6_llS4_PT12_llPT13_lli.numbered_sgpr, 39
	.set _ZN12_GLOBAL__N_127rocblas_gemm_batched_kernelI19rocblas_complex_numIfELi16ELi16ELi32ELi32ELi8ELi32ELi8ELi8ELi32ELc67ELc84EKS2_S3_S2_EEvlllT_PT11_llS6_llS4_PT12_llPT13_lli.num_named_barrier, 0
	.set _ZN12_GLOBAL__N_127rocblas_gemm_batched_kernelI19rocblas_complex_numIfELi16ELi16ELi32ELi32ELi8ELi32ELi8ELi8ELi32ELc67ELc84EKS2_S3_S2_EEvlllT_PT11_llS6_llS4_PT12_llPT13_lli.private_seg_size, 0
	.set _ZN12_GLOBAL__N_127rocblas_gemm_batched_kernelI19rocblas_complex_numIfELi16ELi16ELi32ELi32ELi8ELi32ELi8ELi8ELi32ELc67ELc84EKS2_S3_S2_EEvlllT_PT11_llS6_llS4_PT12_llPT13_lli.uses_vcc, 1
	.set _ZN12_GLOBAL__N_127rocblas_gemm_batched_kernelI19rocblas_complex_numIfELi16ELi16ELi32ELi32ELi8ELi32ELi8ELi8ELi32ELc67ELc84EKS2_S3_S2_EEvlllT_PT11_llS6_llS4_PT12_llPT13_lli.uses_flat_scratch, 0
	.set _ZN12_GLOBAL__N_127rocblas_gemm_batched_kernelI19rocblas_complex_numIfELi16ELi16ELi32ELi32ELi8ELi32ELi8ELi8ELi32ELc67ELc84EKS2_S3_S2_EEvlllT_PT11_llS6_llS4_PT12_llPT13_lli.has_dyn_sized_stack, 0
	.set _ZN12_GLOBAL__N_127rocblas_gemm_batched_kernelI19rocblas_complex_numIfELi16ELi16ELi32ELi32ELi8ELi32ELi8ELi8ELi32ELc67ELc84EKS2_S3_S2_EEvlllT_PT11_llS6_llS4_PT12_llPT13_lli.has_recursion, 0
	.set _ZN12_GLOBAL__N_127rocblas_gemm_batched_kernelI19rocblas_complex_numIfELi16ELi16ELi32ELi32ELi8ELi32ELi8ELi8ELi32ELc67ELc84EKS2_S3_S2_EEvlllT_PT11_llS6_llS4_PT12_llPT13_lli.has_indirect_call, 0
	.section	.AMDGPU.csdata,"",@progbits
; Kernel info:
; codeLenInByte = 2820
; TotalNumSgprs: 41
; NumVgprs: 100
; ScratchSize: 0
; MemoryBound: 0
; FloatMode: 240
; IeeeMode: 1
; LDSByteSize: 4096 bytes/workgroup (compile time only)
; SGPRBlocks: 0
; VGPRBlocks: 12
; NumSGPRsForWavesPerEU: 41
; NumVGPRsForWavesPerEU: 100
; Occupancy: 12
; WaveLimiterHint : 1
; COMPUTE_PGM_RSRC2:SCRATCH_EN: 0
; COMPUTE_PGM_RSRC2:USER_SGPR: 2
; COMPUTE_PGM_RSRC2:TRAP_HANDLER: 0
; COMPUTE_PGM_RSRC2:TGID_X_EN: 1
; COMPUTE_PGM_RSRC2:TGID_Y_EN: 1
; COMPUTE_PGM_RSRC2:TGID_Z_EN: 1
; COMPUTE_PGM_RSRC2:TIDIG_COMP_CNT: 1
	.section	.text._ZN12_GLOBAL__N_127rocblas_gemm_batched_kernelI19rocblas_complex_numIfELi16ELi16ELi32ELi32ELi8ELi32ELi8ELi8ELi32ELc78ELc67EKS2_S3_S2_EEvlllT_PT11_llS6_llS4_PT12_llPT13_lli,"axG",@progbits,_ZN12_GLOBAL__N_127rocblas_gemm_batched_kernelI19rocblas_complex_numIfELi16ELi16ELi32ELi32ELi8ELi32ELi8ELi8ELi32ELc78ELc67EKS2_S3_S2_EEvlllT_PT11_llS6_llS4_PT12_llPT13_lli,comdat
	.globl	_ZN12_GLOBAL__N_127rocblas_gemm_batched_kernelI19rocblas_complex_numIfELi16ELi16ELi32ELi32ELi8ELi32ELi8ELi8ELi32ELc78ELc67EKS2_S3_S2_EEvlllT_PT11_llS6_llS4_PT12_llPT13_lli ; -- Begin function _ZN12_GLOBAL__N_127rocblas_gemm_batched_kernelI19rocblas_complex_numIfELi16ELi16ELi32ELi32ELi8ELi32ELi8ELi8ELi32ELc78ELc67EKS2_S3_S2_EEvlllT_PT11_llS6_llS4_PT12_llPT13_lli
	.p2align	8
	.type	_ZN12_GLOBAL__N_127rocblas_gemm_batched_kernelI19rocblas_complex_numIfELi16ELi16ELi32ELi32ELi8ELi32ELi8ELi8ELi32ELc78ELc67EKS2_S3_S2_EEvlllT_PT11_llS6_llS4_PT12_llPT13_lli,@function
_ZN12_GLOBAL__N_127rocblas_gemm_batched_kernelI19rocblas_complex_numIfELi16ELi16ELi32ELi32ELi8ELi32ELi8ELi8ELi32ELc78ELc67EKS2_S3_S2_EEvlllT_PT11_llS6_llS4_PT12_llPT13_lli: ; @_ZN12_GLOBAL__N_127rocblas_gemm_batched_kernelI19rocblas_complex_numIfELi16ELi16ELi32ELi32ELi8ELi32ELi8ELi8ELi32ELc78ELc67EKS2_S3_S2_EEvlllT_PT11_llS6_llS4_PT12_llPT13_lli
; %bb.0:
	s_load_b32 s33, s[0:1], 0x88
	s_lshr_b32 s28, ttmp7, 16
	s_wait_kmcnt 0x0
	s_cmp_ge_i32 s28, s33
	s_cbranch_scc1 .LBB105_10
; %bb.1:
	v_and_b32_e32 v16, 0x3ff, v0
	v_bfe_u32 v8, v0, 10, 10
	s_load_b128 s[24:27], s[0:1], 0x40
	s_lshl_b32 s2, ttmp7, 5
	v_and_b32_e32 v4, 7, v0
	s_and_b32 s36, s2, 0x1fffe0
	v_lshl_add_u32 v2, v8, 4, v16
	s_clause 0x2
	s_load_b128 s[16:19], s[0:1], 0x10
	s_load_b256 s[8:15], s[0:1], 0x20
	s_load_b64 s[30:31], s[0:1], 0x50
	v_add_nc_u32_e32 v10, s36, v8
	v_lshlrev_b32_e32 v5, 3, v4
	s_mov_b32 s34, ttmp9
	v_lshrrev_b32_e32 v3, 3, v2
	v_and_b32_e32 v17, 31, v2
	v_lshrrev_b32_e32 v11, 5, v2
	s_ashr_i32 s35, ttmp9, 31
	v_lshl_add_u32 v15, v8, 6, 0x800
	v_add_co_u32 v0, s2, v3, s36
	s_delay_alu instid0(VALU_DEP_1)
	v_add_co_ci_u32_e64 v1, null, 0, 0, s2
	s_clause 0x1
	s_load_b128 s[20:23], s[0:1], 0x78
	s_load_b256 s[0:7], s[0:1], 0x58
	v_lshlrev_b32_e32 v2, 3, v17
	v_lshl_or_b32 v3, v3, 6, v5
	s_wait_kmcnt 0x0
	v_mad_co_u64_u32 v[0:1], null, s24, v4, v[0:1]
	s_lshl_b64 s[34:35], s[34:35], 5
	v_lshl_or_b32 v12, v11, 8, v2
	v_add_nc_u32_e32 v13, 0x800, v3
	v_mad_co_u64_u32 v[6:7], null, s10, v11, s[34:35]
	s_or_b32 s36, s30, s31
	v_mad_co_u64_u32 v[1:2], null, s25, v4, v[1:2]
	s_wait_alu 0xfffe
	s_bitset0_b32 s36, 31
	s_mov_b32 s29, 0
	s_wait_alu 0xfffe
	s_cmp_eq_u32 s36, 0
	s_cselect_b32 s36, -1, 0
	v_mad_co_u64_u32 v[4:5], null, v10, s20, 0
	v_mad_co_u64_u32 v[2:3], null, v10, s2, 0
	s_delay_alu instid0(VALU_DEP_1) | instskip(NEXT) | instid1(VALU_DEP_3)
	v_mad_co_u64_u32 v[8:9], null, v10, s3, v[3:4]
	v_mad_co_u64_u32 v[9:10], null, v10, s21, v[5:6]
	v_add_co_u32 v6, vcc_lo, v6, v17
	s_lshl_b64 s[20:21], s[20:21], 4
	v_mad_co_u64_u32 v[10:11], null, s11, v11, v[7:8]
	v_dual_mov_b32 v3, v8 :: v_dual_lshlrev_b32 v14, 3, v16
	v_add_co_u32 v18, s34, s34, v16
	s_wait_alu 0xf1ff
	v_add_co_ci_u32_e64 v19, null, s35, 0, s34
	s_delay_alu instid0(VALU_DEP_3)
	v_lshlrev_b64_e32 v[2:3], 3, v[2:3]
	v_add_co_ci_u32_e64 v7, null, 0, v10, vcc_lo
	v_mov_b32_e32 v5, v9
	s_wait_alu 0xfffe
	v_cndmask_b32_e64 v8, 0, 1, s36
	s_lshl_b64 s[34:35], s[2:3], 4
	v_lshlrev_b64_e32 v[6:7], 3, v[6:7]
	v_add_co_u32 v16, vcc_lo, s0, v2
	s_wait_alu 0xfffd
	v_add_co_ci_u32_e64 v17, null, s1, v3, vcc_lo
	v_lshlrev_b64_e32 v[2:3], 3, v[0:1]
	v_cmp_gt_i64_e64 s0, s[16:17], 0
	v_add_co_u32 v0, vcc_lo, s8, v6
	s_wait_alu 0xfffd
	v_add_co_ci_u32_e64 v1, null, s9, v7, vcc_lo
	s_delay_alu instid0(VALU_DEP_4)
	v_add_co_u32 v2, vcc_lo, s14, v2
	s_wait_alu 0xf1ff
	v_cndmask_b32_e64 v6, 0, 1, s0
	s_wait_alu 0xfffd
	v_add_co_ci_u32_e64 v3, null, s15, v3, vcc_lo
	v_add_co_u32 v2, vcc_lo, v2, 4
	s_delay_alu instid0(VALU_DEP_3)
	v_cmp_ne_u32_e64 s0, 1, v6
	v_lshlrev_b64_e32 v[4:5], 3, v[4:5]
	v_lshlrev_b64_e32 v[6:7], 3, v[18:19]
	s_wait_alu 0xfffd
	v_add_co_ci_u32_e64 v3, null, 0, v3, vcc_lo
	v_cmp_ne_u32_e64 s1, 1, v8
	s_lshl_b64 s[2:3], s[12:13], 3
	s_lshl_b64 s[8:9], s[10:11], 6
	;; [unrolled: 1-line block ×4, first 2 shown]
	s_wait_alu 0xfffe
	s_lshl_b64 s[14:15], s[34:35], 3
	s_lshl_b64 s[20:21], s[20:21], 3
	s_branch .LBB105_3
.LBB105_2:                              ;   in Loop: Header=BB105_3 Depth=1
	s_add_co_i32 s28, s28, 0x10000
	global_store_b32 v[8:9], v10, off offset:4
	s_wait_alu 0xfffe
	s_cmp_lt_i32 s28, s33
	s_cbranch_scc0 .LBB105_10
.LBB105_3:                              ; =>This Loop Header: Depth=1
                                        ;     Child Loop BB105_5 Depth 2
	v_dual_mov_b32 v24, 0 :: v_dual_mov_b32 v25, 0
	v_dual_mov_b32 v22, 0 :: v_dual_mov_b32 v23, 0
	;; [unrolled: 1-line block ×4, first 2 shown]
	s_and_b32 vcc_lo, exec_lo, s0
	s_wait_alu 0xfffe
	s_cbranch_vccnz .LBB105_6
; %bb.4:                                ;   in Loop: Header=BB105_3 Depth=1
	v_mad_co_u64_u32 v[8:9], null, s2, s28, v[0:1]
	v_mad_co_u64_u32 v[10:11], null, s10, s28, v[2:3]
	v_dual_mov_b32 v18, 0 :: v_dual_mov_b32 v19, 0
	v_dual_mov_b32 v21, 0 :: v_dual_mov_b32 v20, 0
	;; [unrolled: 1-line block ×3, first 2 shown]
	s_delay_alu instid0(VALU_DEP_4) | instskip(SKIP_3) | instid1(VALU_DEP_3)
	v_mad_co_u64_u32 v[24:25], null, s3, s28, v[9:10]
	v_mad_co_u64_u32 v[26:27], null, s11, s28, v[11:12]
	v_mov_b32_e32 v25, 0
	s_mov_b64 s[24:25], 0
	v_dual_mov_b32 v9, v24 :: v_dual_mov_b32 v24, 0
	s_delay_alu instid0(VALU_DEP_3)
	v_mov_b32_e32 v11, v26
.LBB105_5:                              ;   Parent Loop BB105_3 Depth=1
                                        ; =>  This Inner Loop Header: Depth=2
	global_load_b64 v[26:27], v[10:11], off offset:-4
	global_load_b64 v[28:29], v[8:9], off
	s_wait_alu 0xfffe
	s_add_nc_u64 s[24:25], s[24:25], 8
	v_add_co_u32 v8, vcc_lo, v8, s8
	s_wait_alu 0xfffe
	v_cmp_lt_i64_e64 s26, s[24:25], s[16:17]
	s_wait_alu 0xfffd
	v_add_co_ci_u32_e64 v9, null, s9, v9, vcc_lo
	v_add_co_u32 v10, vcc_lo, v10, s12
	s_wait_alu 0xfffd
	v_add_co_ci_u32_e64 v11, null, s13, v11, vcc_lo
	s_and_b32 vcc_lo, exec_lo, s26
	s_wait_loadcnt 0x1
	v_xor_b32_e32 v27, 0x80000000, v27
	s_wait_loadcnt 0x0
	ds_store_b64 v12, v[28:29]
	ds_store_b64 v13, v[26:27]
	s_wait_dscnt 0x0
	s_barrier_signal -1
	s_barrier_wait -1
	global_inv scope:SCOPE_SE
	ds_load_2addr_b64 v[26:29], v14 offset1:16
	ds_load_b128 v[30:33], v15
	ds_load_b128 v[34:37], v15 offset:1024
	ds_load_2addr_b64 v[38:41], v14 offset0:32 offset1:48
	ds_load_b128 v[42:45], v15 offset:16
	ds_load_b128 v[46:49], v15 offset:32
	;; [unrolled: 1-line block ×3, first 2 shown]
	ds_load_2addr_b64 v[54:57], v14 offset0:64 offset1:80
	ds_load_b128 v[58:61], v15 offset:1040
	ds_load_2addr_b64 v[62:65], v14 offset0:96 offset1:112
	ds_load_2addr_b64 v[66:69], v14 offset0:128 offset1:144
	;; [unrolled: 1-line block ×4, first 2 shown]
	ds_load_b128 v[78:81], v15 offset:1056
	ds_load_b128 v[82:85], v15 offset:1072
	ds_load_2addr_b64 v[86:89], v14 offset0:224 offset1:240
	s_wait_loadcnt_dscnt 0x0
	s_barrier_signal -1
	s_barrier_wait -1
	global_inv scope:SCOPE_SE
	v_dual_mul_f32 v90, v31, v27 :: v_dual_mul_f32 v93, v30, v29
	v_dual_mul_f32 v91, v30, v27 :: v_dual_mul_f32 v92, v31, v29
	v_mul_f32_e32 v94, v35, v27
	v_dual_mul_f32 v27, v34, v27 :: v_dual_mul_f32 v98, v33, v41
	v_dual_mul_f32 v95, v35, v29 :: v_dual_mul_f32 v96, v33, v39
	v_mul_f32_e32 v29, v34, v29
	v_mul_f32_e32 v97, v32, v39
	;; [unrolled: 1-line block ×3, first 2 shown]
	v_fma_f32 v90, v30, v26, -v90
	v_fmac_f32_e32 v91, v31, v26
	v_fma_f32 v30, v30, v28, -v92
	v_dual_fmac_f32 v93, v31, v28 :: v_dual_mul_f32 v92, v42, v55
	v_fma_f32 v31, v34, v26, -v94
	v_fmac_f32_e32 v27, v35, v26
	v_fma_f32 v26, v34, v28, -v95
	v_dual_mul_f32 v34, v36, v39 :: v_dual_fmac_f32 v29, v35, v28
	v_mul_f32_e32 v28, v37, v39
	v_mul_f32_e32 v35, v37, v41
	v_dual_mul_f32 v39, v36, v41 :: v_dual_fmac_f32 v92, v43, v54
	v_fma_f32 v41, v32, v38, -v96
	v_fma_f32 v32, v32, v40, -v98
	v_dual_fmac_f32 v99, v33, v40 :: v_dual_mul_f32 v98, v44, v65
	v_dual_mul_f32 v94, v43, v57 :: v_dual_fmac_f32 v97, v33, v38
	v_dual_mul_f32 v33, v43, v55 :: v_dual_mul_f32 v96, v45, v65
	v_fma_f32 v28, v36, v38, -v28
	v_fmac_f32_e32 v34, v37, v38
	v_fma_f32 v35, v36, v40, -v35
	v_dual_fmac_f32 v39, v37, v40 :: v_dual_mul_f32 v36, v59, v55
	v_dual_mul_f32 v37, v58, v55 :: v_dual_mul_f32 v38, v59, v57
	v_mul_f32_e32 v40, v58, v57
	v_mul_f32_e32 v95, v42, v57
	;; [unrolled: 1-line block ×3, first 2 shown]
	v_dual_mul_f32 v57, v44, v63 :: v_dual_fmac_f32 v98, v45, v64
	v_fma_f32 v33, v42, v54, -v33
	v_fma_f32 v42, v42, v56, -v94
	;; [unrolled: 1-line block ×4, first 2 shown]
	v_fmac_f32_e32 v40, v59, v56
	v_fmac_f32_e32 v95, v43, v56
	v_mul_f32_e32 v43, v61, v63
	v_mul_f32_e32 v56, v61, v65
	v_dual_mul_f32 v58, v60, v65 :: v_dual_fmac_f32 v37, v59, v54
	v_mul_f32_e32 v54, v60, v63
	v_fma_f32 v55, v44, v62, -v55
	v_fmac_f32_e32 v57, v45, v62
	v_fma_f32 v44, v44, v64, -v96
	v_mul_f32_e32 v45, v47, v67
	v_dual_mul_f32 v59, v46, v67 :: v_dual_mul_f32 v94, v49, v73
	v_mul_f32_e32 v63, v47, v69
	v_fma_f32 v43, v60, v62, -v43
	v_fmac_f32_e32 v54, v61, v62
	v_fma_f32 v56, v60, v64, -v56
	v_fmac_f32_e32 v58, v61, v64
	v_mul_f32_e32 v60, v79, v67
	v_dual_mul_f32 v61, v78, v67 :: v_dual_mul_f32 v96, v48, v73
	v_mul_f32_e32 v62, v79, v69
	v_mul_f32_e32 v64, v78, v69
	v_mul_f32_e32 v65, v46, v69
	v_mul_f32_e32 v67, v49, v71
	v_mul_f32_e32 v69, v48, v71
	v_fma_f32 v45, v46, v66, -v45
	v_dual_fmac_f32 v59, v47, v66 :: v_dual_fmac_f32 v96, v49, v72
	v_fmac_f32_e32 v64, v79, v68
	v_fmac_f32_e32 v65, v47, v68
	v_fma_f32 v47, v78, v66, -v60
	v_fma_f32 v60, v78, v68, -v62
	v_mul_f32_e32 v62, v81, v71
	v_fma_f32 v46, v46, v68, -v63
	v_dual_mul_f32 v68, v80, v73 :: v_dual_fmac_f32 v61, v79, v66
	v_mul_f32_e32 v66, v81, v73
	v_dual_mul_f32 v78, v50, v77 :: v_dual_mul_f32 v63, v80, v71
	v_fma_f32 v67, v48, v70, -v67
	v_fmac_f32_e32 v69, v49, v70
	v_fma_f32 v48, v48, v72, -v94
	v_dual_mul_f32 v49, v51, v75 :: v_dual_mul_f32 v94, v52, v89
	v_mul_f32_e32 v73, v51, v77
	v_fma_f32 v62, v80, v70, -v62
	v_fma_f32 v66, v80, v72, -v66
	v_fmac_f32_e32 v68, v81, v72
	v_mul_f32_e32 v72, v82, v75
	v_mul_f32_e32 v71, v50, v75
	;; [unrolled: 1-line block ×3, first 2 shown]
	v_dual_fmac_f32 v78, v51, v76 :: v_dual_fmac_f32 v63, v81, v70
	v_mul_f32_e32 v70, v83, v75
	v_mul_f32_e32 v75, v83, v77
	s_delay_alu instid0(VALU_DEP_4)
	v_dual_mul_f32 v77, v82, v77 :: v_dual_fmac_f32 v80, v53, v86
	v_mul_f32_e32 v79, v53, v87
	v_fma_f32 v49, v50, v74, -v49
	v_fma_f32 v50, v50, v76, -v73
	v_fmac_f32_e32 v72, v83, v74
	v_dual_fmac_f32 v71, v51, v74 :: v_dual_fmac_f32 v94, v53, v88
	v_fma_f32 v51, v82, v74, -v70
	v_mul_f32_e32 v74, v84, v87
	v_fma_f32 v70, v82, v76, -v75
	v_dual_fmac_f32 v77, v83, v76 :: v_dual_mul_f32 v76, v84, v89
	v_dual_mul_f32 v81, v53, v89 :: v_dual_add_f32 v24, v24, v90
	v_dual_mul_f32 v73, v85, v87 :: v_dual_add_f32 v22, v22, v30
	;; [unrolled: 1-line block ×3, first 2 shown]
	s_delay_alu instid0(VALU_DEP_4) | instskip(SKIP_3) | instid1(VALU_DEP_3)
	v_dual_fmac_f32 v76, v85, v88 :: v_dual_add_f32 v23, v23, v93
	v_dual_add_f32 v25, v25, v91 :: v_dual_add_f32 v18, v18, v29
	v_dual_add_f32 v21, v21, v27 :: v_dual_add_f32 v24, v24, v41
	;; [unrolled: 1-line block ×4, first 2 shown]
	s_delay_alu instid0(VALU_DEP_3) | instskip(NEXT) | instid1(VALU_DEP_4)
	v_dual_add_f32 v23, v23, v99 :: v_dual_add_f32 v24, v24, v33
	v_dual_add_f32 v21, v21, v34 :: v_dual_add_f32 v18, v18, v39
	s_delay_alu instid0(VALU_DEP_4) | instskip(NEXT) | instid1(VALU_DEP_3)
	v_dual_add_f32 v19, v19, v35 :: v_dual_add_f32 v22, v22, v42
	v_dual_add_f32 v25, v25, v92 :: v_dual_add_f32 v24, v24, v55
	s_delay_alu instid0(VALU_DEP_4) | instskip(NEXT) | instid1(VALU_DEP_4)
	v_dual_add_f32 v23, v23, v95 :: v_dual_add_f32 v20, v20, v36
	v_dual_add_f32 v21, v21, v37 :: v_dual_add_f32 v18, v18, v40
	s_delay_alu instid0(VALU_DEP_4) | instskip(NEXT) | instid1(VALU_DEP_3)
	v_dual_add_f32 v19, v19, v38 :: v_dual_add_f32 v22, v22, v44
	v_dual_add_f32 v25, v25, v57 :: v_dual_add_f32 v20, v20, v43
	s_delay_alu instid0(VALU_DEP_4) | instskip(NEXT) | instid1(VALU_DEP_4)
	v_dual_add_f32 v23, v23, v98 :: v_dual_add_f32 v24, v24, v45
	v_add_f32_e32 v21, v21, v54
	s_delay_alu instid0(VALU_DEP_4) | instskip(NEXT) | instid1(VALU_DEP_4)
	v_dual_add_f32 v19, v19, v56 :: v_dual_add_f32 v18, v18, v58
	v_dual_add_f32 v25, v25, v59 :: v_dual_add_f32 v22, v22, v46
	s_delay_alu instid0(VALU_DEP_4) | instskip(NEXT) | instid1(VALU_DEP_4)
	v_dual_add_f32 v23, v23, v65 :: v_dual_add_f32 v20, v20, v47
	v_dual_add_f32 v21, v21, v61 :: v_dual_add_f32 v24, v24, v67
	s_delay_alu instid0(VALU_DEP_4) | instskip(NEXT) | instid1(VALU_DEP_4)
	v_add_f32_e32 v19, v19, v60
	v_dual_add_f32 v18, v18, v64 :: v_dual_add_f32 v25, v25, v69
	v_add_f32_e32 v22, v22, v48
	s_delay_alu instid0(VALU_DEP_4) | instskip(SKIP_1) | instid1(VALU_DEP_4)
	v_dual_add_f32 v23, v23, v96 :: v_dual_add_f32 v24, v24, v49
	v_dual_add_f32 v20, v20, v62 :: v_dual_add_f32 v21, v21, v63
	;; [unrolled: 1-line block ×3, first 2 shown]
	v_fma_f32 v79, v52, v86, -v79
	v_fma_f32 v52, v52, v88, -v81
	;; [unrolled: 1-line block ×3, first 2 shown]
	v_fmac_f32_e32 v74, v85, v86
	v_fma_f32 v73, v84, v88, -v75
	v_dual_add_f32 v25, v25, v71 :: v_dual_add_f32 v22, v22, v50
	v_dual_add_f32 v23, v23, v78 :: v_dual_add_f32 v18, v18, v77
	;; [unrolled: 1-line block ×4, first 2 shown]
	s_delay_alu instid0(VALU_DEP_4) | instskip(NEXT) | instid1(VALU_DEP_3)
	v_add_f32_e32 v22, v22, v52
	v_dual_add_f32 v25, v25, v80 :: v_dual_add_f32 v20, v20, v53
	v_dual_add_f32 v23, v23, v94 :: v_dual_add_f32 v18, v18, v76
	v_add_f32_e32 v21, v21, v74
	v_add_f32_e32 v19, v19, v73
	s_wait_alu 0xfffe
	s_cbranch_vccnz .LBB105_5
.LBB105_6:                              ;   in Loop: Header=BB105_3 Depth=1
	s_mul_u64 s[24:25], s[22:23], s[28:29]
	s_and_b32 vcc_lo, exec_lo, s1
	s_wait_alu 0xfffe
	s_lshl_b64 s[24:25], s[24:25], 3
	s_mov_b32 s26, -1
	s_wait_alu 0xfffe
	s_add_nc_u64 s[24:25], s[6:7], s[24:25]
                                        ; implicit-def: $vgpr10
                                        ; implicit-def: $vgpr8_vgpr9
	s_cbranch_vccz .LBB105_8
; %bb.7:                                ;   in Loop: Header=BB105_3 Depth=1
	s_and_not1_b32 vcc_lo, exec_lo, s26
	s_wait_alu 0xfffe
	s_cbranch_vccnz .LBB105_2
	s_branch .LBB105_9
.LBB105_8:                              ;   in Loop: Header=BB105_3 Depth=1
	v_mul_f32_e32 v27, s18, v25
	v_mul_f32_e32 v8, s19, v25
	s_wait_alu 0xfffe
	v_add_co_u32 v9, vcc_lo, s24, v4
	s_wait_alu 0xfffd
	v_add_co_ci_u32_e64 v10, null, s25, v5, vcc_lo
	v_fmac_f32_e32 v27, s19, v24
	v_fma_f32 v26, v24, s18, -v8
	v_mul_f32_e32 v8, s19, v23
	v_add_co_u32 v30, vcc_lo, v9, v6
	v_mul_f32_e32 v29, s18, v23
	s_wait_alu 0xfffd
	v_add_co_ci_u32_e64 v31, null, v10, v7, vcc_lo
	v_fma_f32 v28, v22, s18, -v8
	v_mul_f32_e32 v8, s19, v21
	v_add_co_u32 v9, vcc_lo, v9, s20
	v_mul_f32_e32 v33, s18, v21
	s_wait_alu 0xfffd
	v_add_co_ci_u32_e64 v11, null, s21, v10, vcc_lo
	v_fma_f32 v32, v20, s18, -v8
	v_mul_f32_e32 v8, s19, v18
	v_add_co_u32 v34, vcc_lo, v9, v6
	v_dual_fmac_f32 v33, s19, v20 :: v_dual_mul_f32 v10, s18, v18
	s_wait_alu 0xfffd
	v_add_co_ci_u32_e64 v35, null, v11, v7, vcc_lo
	v_fma_f32 v11, v19, s18, -v8
	v_add_co_u32 v8, vcc_lo, 0x80, v34
	v_dual_fmac_f32 v29, s19, v22 :: v_dual_fmac_f32 v10, s19, v19
	s_wait_alu 0xfffd
	v_add_co_ci_u32_e64 v9, null, 0, v35, vcc_lo
	s_clause 0x3
	global_store_b64 v[30:31], v[26:27], off
	global_store_b64 v[30:31], v[28:29], off offset:128
	global_store_b64 v[34:35], v[32:33], off
	global_store_b32 v[34:35], v11, off offset:128
	s_cbranch_execnz .LBB105_2
.LBB105_9:                              ;   in Loop: Header=BB105_3 Depth=1
	s_mul_u64 s[26:27], s[4:5], s[28:29]
	s_wait_alu 0xfffe
	s_lshl_b64 s[26:27], s[26:27], 3
	s_wait_alu 0xfffe
	v_add_co_u32 v26, vcc_lo, v16, s26
	s_wait_alu 0xfffd
	v_add_co_ci_u32_e64 v27, null, s27, v17, vcc_lo
	s_delay_alu instid0(VALU_DEP_2) | instskip(SKIP_1) | instid1(VALU_DEP_2)
	v_add_co_u32 v8, vcc_lo, v26, v6
	s_wait_alu 0xfffd
	v_add_co_ci_u32_e64 v9, null, v27, v7, vcc_lo
	v_add_co_u32 v31, vcc_lo, s24, v4
	s_wait_alu 0xfffd
	v_add_co_ci_u32_e64 v32, null, s25, v5, vcc_lo
	global_load_b64 v[10:11], v[8:9], off
	v_mul_f32_e32 v28, s19, v25
	s_wait_loadcnt 0x0
	v_dual_mul_f32 v25, s18, v25 :: v_dual_mul_f32 v30, s30, v11
	v_mul_f32_e32 v29, s31, v11
	s_delay_alu instid0(VALU_DEP_3) | instskip(NEXT) | instid1(VALU_DEP_3)
	v_fma_f32 v28, v24, s18, -v28
	v_dual_fmac_f32 v25, s19, v24 :: v_dual_fmac_f32 v30, s31, v10
	s_delay_alu instid0(VALU_DEP_3) | instskip(SKIP_3) | instid1(VALU_DEP_3)
	v_fma_f32 v24, v10, s30, -v29
	v_add_co_u32 v10, vcc_lo, v31, v6
	s_wait_alu 0xfffd
	v_add_co_ci_u32_e64 v11, null, v32, v7, vcc_lo
	v_dual_add_f32 v24, v28, v24 :: v_dual_add_f32 v25, v25, v30
	global_store_b64 v[10:11], v[24:25], off
	global_load_b64 v[8:9], v[8:9], off offset:128
	s_wait_loadcnt 0x0
	v_dual_mul_f32 v24, s19, v23 :: v_dual_mul_f32 v25, s31, v9
	s_delay_alu instid0(VALU_DEP_1) | instskip(SKIP_2) | instid1(VALU_DEP_2)
	v_fma_f32 v24, v22, s18, -v24
	v_mul_f32_e32 v23, s18, v23
	v_mul_f32_e32 v9, s30, v9
	v_fmac_f32_e32 v23, s19, v22
	v_fma_f32 v22, v8, s30, -v25
	v_add_co_u32 v25, vcc_lo, v26, s14
	s_delay_alu instid0(VALU_DEP_4)
	v_fmac_f32_e32 v9, s31, v8
	s_wait_alu 0xfffd
	v_add_co_ci_u32_e64 v26, null, s15, v27, vcc_lo
	v_add_f32_e32 v8, v24, v22
	v_add_co_u32 v22, vcc_lo, v25, v6
	v_add_f32_e32 v9, v23, v9
	s_wait_alu 0xfffd
	v_add_co_ci_u32_e64 v23, null, v26, v7, vcc_lo
	v_add_co_u32 v24, vcc_lo, v31, s20
	global_store_b64 v[10:11], v[8:9], off offset:128
	global_load_b64 v[8:9], v[22:23], off
	v_mul_f32_e32 v10, s19, v21
	v_mul_f32_e32 v11, s18, v21
	s_wait_alu 0xfffd
	v_add_co_ci_u32_e64 v25, null, s21, v32, vcc_lo
	s_delay_alu instid0(VALU_DEP_3) | instskip(NEXT) | instid1(VALU_DEP_3)
	v_fma_f32 v10, v20, s18, -v10
	v_fmac_f32_e32 v11, s19, v20
	v_add_co_u32 v20, vcc_lo, v24, v6
	s_wait_loadcnt 0x0
	v_mul_f32_e32 v21, s31, v9
	v_mul_f32_e32 v9, s30, v9
	s_delay_alu instid0(VALU_DEP_2) | instskip(NEXT) | instid1(VALU_DEP_2)
	v_fma_f32 v26, v8, s30, -v21
	v_fmac_f32_e32 v9, s31, v8
	s_wait_alu 0xfffd
	v_add_co_ci_u32_e64 v21, null, v25, v7, vcc_lo
	s_delay_alu instid0(VALU_DEP_2)
	v_dual_add_f32 v8, v10, v26 :: v_dual_add_f32 v9, v11, v9
	v_mul_f32_e32 v10, s19, v18
	v_mul_f32_e32 v11, s18, v18
	global_store_b64 v[20:21], v[8:9], off
	global_load_b64 v[8:9], v[22:23], off offset:128
	v_fma_f32 v10, v19, s18, -v10
	s_wait_loadcnt 0x0
	v_dual_fmac_f32 v11, s19, v19 :: v_dual_mul_f32 v18, s31, v9
	v_mul_f32_e32 v9, s30, v9
	s_delay_alu instid0(VALU_DEP_2) | instskip(NEXT) | instid1(VALU_DEP_2)
	v_fma_f32 v18, v8, s30, -v18
	v_fmac_f32_e32 v9, s31, v8
	v_add_co_u32 v8, vcc_lo, 0x80, v20
	s_delay_alu instid0(VALU_DEP_3) | instskip(NEXT) | instid1(VALU_DEP_3)
	v_add_f32_e32 v18, v10, v18
	v_add_f32_e32 v10, v11, v9
	s_wait_alu 0xfffd
	v_add_co_ci_u32_e64 v9, null, 0, v21, vcc_lo
	global_store_b32 v[20:21], v18, off offset:128
	s_branch .LBB105_2
.LBB105_10:
	s_nop 0
	s_sendmsg sendmsg(MSG_DEALLOC_VGPRS)
	s_endpgm
	.section	.rodata,"a",@progbits
	.p2align	6, 0x0
	.amdhsa_kernel _ZN12_GLOBAL__N_127rocblas_gemm_batched_kernelI19rocblas_complex_numIfELi16ELi16ELi32ELi32ELi8ELi32ELi8ELi8ELi32ELc78ELc67EKS2_S3_S2_EEvlllT_PT11_llS6_llS4_PT12_llPT13_lli
		.amdhsa_group_segment_fixed_size 4096
		.amdhsa_private_segment_fixed_size 0
		.amdhsa_kernarg_size 140
		.amdhsa_user_sgpr_count 2
		.amdhsa_user_sgpr_dispatch_ptr 0
		.amdhsa_user_sgpr_queue_ptr 0
		.amdhsa_user_sgpr_kernarg_segment_ptr 1
		.amdhsa_user_sgpr_dispatch_id 0
		.amdhsa_user_sgpr_private_segment_size 0
		.amdhsa_wavefront_size32 1
		.amdhsa_uses_dynamic_stack 0
		.amdhsa_enable_private_segment 0
		.amdhsa_system_sgpr_workgroup_id_x 1
		.amdhsa_system_sgpr_workgroup_id_y 1
		.amdhsa_system_sgpr_workgroup_id_z 1
		.amdhsa_system_sgpr_workgroup_info 0
		.amdhsa_system_vgpr_workitem_id 1
		.amdhsa_next_free_vgpr 100
		.amdhsa_next_free_sgpr 37
		.amdhsa_reserve_vcc 1
		.amdhsa_float_round_mode_32 0
		.amdhsa_float_round_mode_16_64 0
		.amdhsa_float_denorm_mode_32 3
		.amdhsa_float_denorm_mode_16_64 3
		.amdhsa_fp16_overflow 0
		.amdhsa_workgroup_processor_mode 1
		.amdhsa_memory_ordered 1
		.amdhsa_forward_progress 1
		.amdhsa_inst_pref_size 23
		.amdhsa_round_robin_scheduling 0
		.amdhsa_exception_fp_ieee_invalid_op 0
		.amdhsa_exception_fp_denorm_src 0
		.amdhsa_exception_fp_ieee_div_zero 0
		.amdhsa_exception_fp_ieee_overflow 0
		.amdhsa_exception_fp_ieee_underflow 0
		.amdhsa_exception_fp_ieee_inexact 0
		.amdhsa_exception_int_div_zero 0
	.end_amdhsa_kernel
	.section	.text._ZN12_GLOBAL__N_127rocblas_gemm_batched_kernelI19rocblas_complex_numIfELi16ELi16ELi32ELi32ELi8ELi32ELi8ELi8ELi32ELc78ELc67EKS2_S3_S2_EEvlllT_PT11_llS6_llS4_PT12_llPT13_lli,"axG",@progbits,_ZN12_GLOBAL__N_127rocblas_gemm_batched_kernelI19rocblas_complex_numIfELi16ELi16ELi32ELi32ELi8ELi32ELi8ELi8ELi32ELc78ELc67EKS2_S3_S2_EEvlllT_PT11_llS6_llS4_PT12_llPT13_lli,comdat
.Lfunc_end105:
	.size	_ZN12_GLOBAL__N_127rocblas_gemm_batched_kernelI19rocblas_complex_numIfELi16ELi16ELi32ELi32ELi8ELi32ELi8ELi8ELi32ELc78ELc67EKS2_S3_S2_EEvlllT_PT11_llS6_llS4_PT12_llPT13_lli, .Lfunc_end105-_ZN12_GLOBAL__N_127rocblas_gemm_batched_kernelI19rocblas_complex_numIfELi16ELi16ELi32ELi32ELi8ELi32ELi8ELi8ELi32ELc78ELc67EKS2_S3_S2_EEvlllT_PT11_llS6_llS4_PT12_llPT13_lli
                                        ; -- End function
	.set _ZN12_GLOBAL__N_127rocblas_gemm_batched_kernelI19rocblas_complex_numIfELi16ELi16ELi32ELi32ELi8ELi32ELi8ELi8ELi32ELc78ELc67EKS2_S3_S2_EEvlllT_PT11_llS6_llS4_PT12_llPT13_lli.num_vgpr, 100
	.set _ZN12_GLOBAL__N_127rocblas_gemm_batched_kernelI19rocblas_complex_numIfELi16ELi16ELi32ELi32ELi8ELi32ELi8ELi8ELi32ELc78ELc67EKS2_S3_S2_EEvlllT_PT11_llS6_llS4_PT12_llPT13_lli.num_agpr, 0
	.set _ZN12_GLOBAL__N_127rocblas_gemm_batched_kernelI19rocblas_complex_numIfELi16ELi16ELi32ELi32ELi8ELi32ELi8ELi8ELi32ELc78ELc67EKS2_S3_S2_EEvlllT_PT11_llS6_llS4_PT12_llPT13_lli.numbered_sgpr, 37
	.set _ZN12_GLOBAL__N_127rocblas_gemm_batched_kernelI19rocblas_complex_numIfELi16ELi16ELi32ELi32ELi8ELi32ELi8ELi8ELi32ELc78ELc67EKS2_S3_S2_EEvlllT_PT11_llS6_llS4_PT12_llPT13_lli.num_named_barrier, 0
	.set _ZN12_GLOBAL__N_127rocblas_gemm_batched_kernelI19rocblas_complex_numIfELi16ELi16ELi32ELi32ELi8ELi32ELi8ELi8ELi32ELc78ELc67EKS2_S3_S2_EEvlllT_PT11_llS6_llS4_PT12_llPT13_lli.private_seg_size, 0
	.set _ZN12_GLOBAL__N_127rocblas_gemm_batched_kernelI19rocblas_complex_numIfELi16ELi16ELi32ELi32ELi8ELi32ELi8ELi8ELi32ELc78ELc67EKS2_S3_S2_EEvlllT_PT11_llS6_llS4_PT12_llPT13_lli.uses_vcc, 1
	.set _ZN12_GLOBAL__N_127rocblas_gemm_batched_kernelI19rocblas_complex_numIfELi16ELi16ELi32ELi32ELi8ELi32ELi8ELi8ELi32ELc78ELc67EKS2_S3_S2_EEvlllT_PT11_llS6_llS4_PT12_llPT13_lli.uses_flat_scratch, 0
	.set _ZN12_GLOBAL__N_127rocblas_gemm_batched_kernelI19rocblas_complex_numIfELi16ELi16ELi32ELi32ELi8ELi32ELi8ELi8ELi32ELc78ELc67EKS2_S3_S2_EEvlllT_PT11_llS6_llS4_PT12_llPT13_lli.has_dyn_sized_stack, 0
	.set _ZN12_GLOBAL__N_127rocblas_gemm_batched_kernelI19rocblas_complex_numIfELi16ELi16ELi32ELi32ELi8ELi32ELi8ELi8ELi32ELc78ELc67EKS2_S3_S2_EEvlllT_PT11_llS6_llS4_PT12_llPT13_lli.has_recursion, 0
	.set _ZN12_GLOBAL__N_127rocblas_gemm_batched_kernelI19rocblas_complex_numIfELi16ELi16ELi32ELi32ELi8ELi32ELi8ELi8ELi32ELc78ELc67EKS2_S3_S2_EEvlllT_PT11_llS6_llS4_PT12_llPT13_lli.has_indirect_call, 0
	.section	.AMDGPU.csdata,"",@progbits
; Kernel info:
; codeLenInByte = 2820
; TotalNumSgprs: 39
; NumVgprs: 100
; ScratchSize: 0
; MemoryBound: 0
; FloatMode: 240
; IeeeMode: 1
; LDSByteSize: 4096 bytes/workgroup (compile time only)
; SGPRBlocks: 0
; VGPRBlocks: 12
; NumSGPRsForWavesPerEU: 39
; NumVGPRsForWavesPerEU: 100
; Occupancy: 12
; WaveLimiterHint : 1
; COMPUTE_PGM_RSRC2:SCRATCH_EN: 0
; COMPUTE_PGM_RSRC2:USER_SGPR: 2
; COMPUTE_PGM_RSRC2:TRAP_HANDLER: 0
; COMPUTE_PGM_RSRC2:TGID_X_EN: 1
; COMPUTE_PGM_RSRC2:TGID_Y_EN: 1
; COMPUTE_PGM_RSRC2:TGID_Z_EN: 1
; COMPUTE_PGM_RSRC2:TIDIG_COMP_CNT: 1
	.section	.text._ZN12_GLOBAL__N_127rocblas_gemm_batched_kernelI19rocblas_complex_numIfELi16ELi16ELi32ELi32ELi8ELi32ELi8ELi8ELi32ELc84ELc67EKS2_S3_S2_EEvlllT_PT11_llS6_llS4_PT12_llPT13_lli,"axG",@progbits,_ZN12_GLOBAL__N_127rocblas_gemm_batched_kernelI19rocblas_complex_numIfELi16ELi16ELi32ELi32ELi8ELi32ELi8ELi8ELi32ELc84ELc67EKS2_S3_S2_EEvlllT_PT11_llS6_llS4_PT12_llPT13_lli,comdat
	.globl	_ZN12_GLOBAL__N_127rocblas_gemm_batched_kernelI19rocblas_complex_numIfELi16ELi16ELi32ELi32ELi8ELi32ELi8ELi8ELi32ELc84ELc67EKS2_S3_S2_EEvlllT_PT11_llS6_llS4_PT12_llPT13_lli ; -- Begin function _ZN12_GLOBAL__N_127rocblas_gemm_batched_kernelI19rocblas_complex_numIfELi16ELi16ELi32ELi32ELi8ELi32ELi8ELi8ELi32ELc84ELc67EKS2_S3_S2_EEvlllT_PT11_llS6_llS4_PT12_llPT13_lli
	.p2align	8
	.type	_ZN12_GLOBAL__N_127rocblas_gemm_batched_kernelI19rocblas_complex_numIfELi16ELi16ELi32ELi32ELi8ELi32ELi8ELi8ELi32ELc84ELc67EKS2_S3_S2_EEvlllT_PT11_llS6_llS4_PT12_llPT13_lli,@function
_ZN12_GLOBAL__N_127rocblas_gemm_batched_kernelI19rocblas_complex_numIfELi16ELi16ELi32ELi32ELi8ELi32ELi8ELi8ELi32ELc84ELc67EKS2_S3_S2_EEvlllT_PT11_llS6_llS4_PT12_llPT13_lli: ; @_ZN12_GLOBAL__N_127rocblas_gemm_batched_kernelI19rocblas_complex_numIfELi16ELi16ELi32ELi32ELi8ELi32ELi8ELi8ELi32ELc84ELc67EKS2_S3_S2_EEvlllT_PT11_llS6_llS4_PT12_llPT13_lli
; %bb.0:
	s_load_b32 s33, s[0:1], 0x88
	s_lshr_b32 s2, ttmp7, 16
	s_wait_kmcnt 0x0
	s_cmp_ge_i32 s2, s33
	s_cbranch_scc1 .LBB106_10
; %bb.1:
	v_and_b32_e32 v11, 0x3ff, v0
	v_bfe_u32 v6, v0, 10, 10
	s_clause 0x2
	s_load_b128 s[28:31], s[0:1], 0x40
	s_load_b128 s[20:23], s[0:1], 0x10
	s_load_b256 s[4:11], s[0:1], 0x58
	s_lshl_b32 s3, ttmp7, 5
	s_clause 0x2
	s_load_b256 s[12:19], s[0:1], 0x20
	s_load_b128 s[24:27], s[0:1], 0x78
	s_load_b64 s[34:35], s[0:1], 0x50
	v_lshl_add_u32 v2, v6, 4, v11
	s_and_b32 s38, s3, 0x1fffe0
	v_and_b32_e32 v4, 7, v0
	v_add_nc_u32_e32 v9, s38, v6
	s_mov_b32 s36, ttmp9
	v_lshrrev_b32_e32 v3, 3, v2
	v_and_b32_e32 v7, 31, v2
	v_lshlrev_b32_e32 v5, 3, v4
	v_lshrrev_b32_e32 v16, 5, v2
	s_ashr_i32 s37, ttmp9, 31
	v_add_co_u32 v0, s3, v3, s38
	s_delay_alu instid0(VALU_DEP_1)
	v_add_co_ci_u32_e64 v1, null, 0, 0, s3
	v_lshl_or_b32 v5, v3, 6, v5
	v_lshlrev_b32_e32 v8, 3, v7
	s_lshl_b64 s[0:1], s[36:37], 5
	s_wait_kmcnt 0x0
	v_mad_co_u64_u32 v[0:1], null, s28, v4, v[0:1]
	v_add_nc_u32_e32 v14, 0x800, v5
	v_lshl_or_b32 v13, v16, 8, v8
	v_or_b32_e32 v8, s0, v7
	v_lshl_add_u32 v15, v6, 6, 0x800
	s_or_b32 s36, s34, s35
	s_mov_b32 s3, 0
	v_mad_co_u64_u32 v[1:2], null, s29, v4, v[1:2]
	v_mad_co_u64_u32 v[2:3], null, v9, s6, 0
	;; [unrolled: 1-line block ×3, first 2 shown]
	s_bitset0_b32 s36, 31
	s_delay_alu instid0(SALU_CYCLE_1)
	s_cmp_eq_u32 s36, 0
	s_cselect_b32 s36, -1, 0
	v_mad_co_u64_u32 v[6:7], null, v9, s7, v[3:4]
	v_mov_b32_e32 v3, v5
	v_mul_lo_u32 v5, s15, v8
	v_mad_co_u64_u32 v[7:8], null, s14, v8, 0
	v_lshlrev_b32_e32 v12, 3, v11
	s_delay_alu instid0(VALU_DEP_4)
	v_mad_co_u64_u32 v[9:10], null, v9, s25, v[3:4]
	v_mov_b32_e32 v3, v6
	s_mul_i32 s14, s14, s1
	v_add_co_u32 v10, s0, s0, v11
	s_wait_alu 0xfffe
	v_add3_u32 v8, v8, s14, v5
	v_lshlrev_b64_e32 v[2:3], 3, v[2:3]
	s_wait_alu 0xf1ff
	v_add_co_ci_u32_e64 v11, null, s1, 0, s0
	v_cmp_gt_i64_e64 s0, s[20:21], 0
	v_lshlrev_b64_e32 v[6:7], 3, v[7:8]
	v_lshlrev_b32_e32 v8, 3, v16
	v_add_co_u32 v16, vcc_lo, s4, v2
	s_delay_alu instid0(VALU_DEP_1) | instskip(NEXT) | instid1(VALU_DEP_3)
	v_add_co_ci_u32_e64 v17, null, s5, v3, vcc_lo
	v_add_co_u32 v6, vcc_lo, v6, v8
	v_lshlrev_b64_e32 v[2:3], 3, v[0:1]
	s_wait_alu 0xfffd
	v_add_co_ci_u32_e64 v7, null, 0, v7, vcc_lo
	s_delay_alu instid0(VALU_DEP_3) | instskip(SKIP_2) | instid1(VALU_DEP_3)
	v_add_co_u32 v0, vcc_lo, s12, v6
	v_mov_b32_e32 v5, v9
	s_wait_alu 0xfffd
	v_add_co_ci_u32_e64 v1, null, s13, v7, vcc_lo
	v_add_co_u32 v2, vcc_lo, s18, v2
	s_wait_alu 0xf1ff
	v_cndmask_b32_e64 v6, 0, 1, s0
	s_wait_alu 0xfffd
	v_add_co_ci_u32_e64 v3, null, s19, v3, vcc_lo
	v_cndmask_b32_e64 v8, 0, 1, s36
	v_add_co_u32 v2, vcc_lo, v2, 4
	v_cmp_ne_u32_e64 s0, 1, v6
	v_lshlrev_b64_e32 v[4:5], 3, v[4:5]
	v_lshlrev_b64_e32 v[6:7], 3, v[10:11]
	s_wait_alu 0xfffd
	v_add_co_ci_u32_e64 v3, null, 0, v3, vcc_lo
	v_cmp_ne_u32_e64 s1, 1, v8
	s_lshl_b64 s[24:25], s[24:25], 4
	s_lshl_b64 s[14:15], s[6:7], 4
	;; [unrolled: 1-line block ×5, first 2 shown]
	s_wait_alu 0xfffe
	s_lshl_b64 s[14:15], s[14:15], 3
	s_lshl_b64 s[16:17], s[24:25], 3
	s_branch .LBB106_3
.LBB106_2:                              ;   in Loop: Header=BB106_3 Depth=1
	s_add_co_i32 s2, s2, 0x10000
	global_store_b32 v[8:9], v10, off offset:4
	s_wait_alu 0xfffe
	s_cmp_lt_i32 s2, s33
	s_cbranch_scc0 .LBB106_10
.LBB106_3:                              ; =>This Loop Header: Depth=1
                                        ;     Child Loop BB106_5 Depth 2
	v_dual_mov_b32 v24, 0 :: v_dual_mov_b32 v25, 0
	v_dual_mov_b32 v22, 0 :: v_dual_mov_b32 v23, 0
	;; [unrolled: 1-line block ×4, first 2 shown]
	s_and_b32 vcc_lo, exec_lo, s0
	s_wait_alu 0xfffe
	s_cbranch_vccnz .LBB106_6
; %bb.4:                                ;   in Loop: Header=BB106_3 Depth=1
	v_mad_co_u64_u32 v[8:9], null, s4, s2, v[0:1]
	v_mad_co_u64_u32 v[10:11], null, s6, s2, v[2:3]
	v_dual_mov_b32 v18, 0 :: v_dual_mov_b32 v19, 0
	v_dual_mov_b32 v21, 0 :: v_dual_mov_b32 v20, 0
	;; [unrolled: 1-line block ×3, first 2 shown]
	s_delay_alu instid0(VALU_DEP_4) | instskip(SKIP_3) | instid1(VALU_DEP_3)
	v_mad_co_u64_u32 v[24:25], null, s5, s2, v[9:10]
	v_mad_co_u64_u32 v[26:27], null, s7, s2, v[11:12]
	v_mov_b32_e32 v25, 0
	s_mov_b64 s[18:19], 0
	v_dual_mov_b32 v9, v24 :: v_dual_mov_b32 v24, 0
	s_delay_alu instid0(VALU_DEP_3)
	v_mov_b32_e32 v11, v26
.LBB106_5:                              ;   Parent Loop BB106_3 Depth=1
                                        ; =>  This Inner Loop Header: Depth=2
	global_load_b64 v[26:27], v[10:11], off offset:-4
	global_load_b64 v[28:29], v[8:9], off
	s_wait_alu 0xfffe
	s_add_nc_u64 s[18:19], s[18:19], 8
	v_add_co_u32 v8, vcc_lo, v8, 64
	s_wait_alu 0xfffe
	v_cmp_lt_i64_e64 s24, s[18:19], s[20:21]
	s_wait_alu 0xfffd
	v_add_co_ci_u32_e64 v9, null, 0, v9, vcc_lo
	v_add_co_u32 v10, vcc_lo, v10, s12
	s_wait_alu 0xfffd
	v_add_co_ci_u32_e64 v11, null, s13, v11, vcc_lo
	s_and_b32 vcc_lo, exec_lo, s24
	s_wait_loadcnt 0x1
	v_xor_b32_e32 v27, 0x80000000, v27
	s_wait_loadcnt 0x0
	ds_store_b64 v13, v[28:29]
	ds_store_b64 v14, v[26:27]
	s_wait_dscnt 0x0
	s_barrier_signal -1
	s_barrier_wait -1
	global_inv scope:SCOPE_SE
	ds_load_2addr_b64 v[26:29], v12 offset1:16
	ds_load_b128 v[30:33], v15
	ds_load_b128 v[34:37], v15 offset:1024
	ds_load_2addr_b64 v[38:41], v12 offset0:32 offset1:48
	ds_load_b128 v[42:45], v15 offset:16
	ds_load_b128 v[46:49], v15 offset:32
	ds_load_b128 v[50:53], v15 offset:48
	ds_load_2addr_b64 v[54:57], v12 offset0:64 offset1:80
	ds_load_b128 v[58:61], v15 offset:1040
	ds_load_2addr_b64 v[62:65], v12 offset0:96 offset1:112
	ds_load_2addr_b64 v[66:69], v12 offset0:128 offset1:144
	;; [unrolled: 1-line block ×4, first 2 shown]
	ds_load_b128 v[78:81], v15 offset:1056
	ds_load_b128 v[82:85], v15 offset:1072
	ds_load_2addr_b64 v[86:89], v12 offset0:224 offset1:240
	s_wait_loadcnt_dscnt 0x0
	s_barrier_signal -1
	s_barrier_wait -1
	global_inv scope:SCOPE_SE
	v_dual_mul_f32 v90, v31, v27 :: v_dual_mul_f32 v93, v30, v29
	v_dual_mul_f32 v91, v30, v27 :: v_dual_mul_f32 v92, v31, v29
	v_mul_f32_e32 v94, v35, v27
	v_dual_mul_f32 v27, v34, v27 :: v_dual_mul_f32 v98, v33, v41
	v_dual_mul_f32 v95, v35, v29 :: v_dual_mul_f32 v96, v33, v39
	v_mul_f32_e32 v29, v34, v29
	v_mul_f32_e32 v97, v32, v39
	;; [unrolled: 1-line block ×3, first 2 shown]
	v_fma_f32 v90, v30, v26, -v90
	v_fmac_f32_e32 v91, v31, v26
	v_fma_f32 v30, v30, v28, -v92
	v_dual_fmac_f32 v93, v31, v28 :: v_dual_mul_f32 v92, v42, v55
	v_fma_f32 v31, v34, v26, -v94
	v_fmac_f32_e32 v27, v35, v26
	v_fma_f32 v26, v34, v28, -v95
	v_dual_mul_f32 v34, v36, v39 :: v_dual_fmac_f32 v29, v35, v28
	v_mul_f32_e32 v28, v37, v39
	v_mul_f32_e32 v35, v37, v41
	v_dual_mul_f32 v39, v36, v41 :: v_dual_fmac_f32 v92, v43, v54
	v_fma_f32 v41, v32, v38, -v96
	v_fma_f32 v32, v32, v40, -v98
	v_dual_fmac_f32 v99, v33, v40 :: v_dual_mul_f32 v98, v44, v65
	v_dual_mul_f32 v94, v43, v57 :: v_dual_fmac_f32 v97, v33, v38
	v_dual_mul_f32 v33, v43, v55 :: v_dual_mul_f32 v96, v45, v65
	v_fma_f32 v28, v36, v38, -v28
	v_fmac_f32_e32 v34, v37, v38
	v_fma_f32 v35, v36, v40, -v35
	v_dual_fmac_f32 v39, v37, v40 :: v_dual_mul_f32 v36, v59, v55
	v_dual_mul_f32 v37, v58, v55 :: v_dual_mul_f32 v38, v59, v57
	v_mul_f32_e32 v40, v58, v57
	v_mul_f32_e32 v95, v42, v57
	;; [unrolled: 1-line block ×3, first 2 shown]
	v_dual_mul_f32 v57, v44, v63 :: v_dual_fmac_f32 v98, v45, v64
	v_fma_f32 v33, v42, v54, -v33
	v_fma_f32 v42, v42, v56, -v94
	;; [unrolled: 1-line block ×4, first 2 shown]
	v_fmac_f32_e32 v40, v59, v56
	v_fmac_f32_e32 v95, v43, v56
	v_mul_f32_e32 v43, v61, v63
	v_mul_f32_e32 v56, v61, v65
	v_dual_mul_f32 v58, v60, v65 :: v_dual_fmac_f32 v37, v59, v54
	v_mul_f32_e32 v54, v60, v63
	v_fma_f32 v55, v44, v62, -v55
	v_fmac_f32_e32 v57, v45, v62
	v_fma_f32 v44, v44, v64, -v96
	v_mul_f32_e32 v45, v47, v67
	v_dual_mul_f32 v59, v46, v67 :: v_dual_mul_f32 v94, v49, v73
	v_mul_f32_e32 v63, v47, v69
	v_fma_f32 v43, v60, v62, -v43
	v_fmac_f32_e32 v54, v61, v62
	v_fma_f32 v56, v60, v64, -v56
	v_fmac_f32_e32 v58, v61, v64
	v_mul_f32_e32 v60, v79, v67
	v_dual_mul_f32 v61, v78, v67 :: v_dual_mul_f32 v96, v48, v73
	v_mul_f32_e32 v62, v79, v69
	v_mul_f32_e32 v64, v78, v69
	;; [unrolled: 1-line block ×5, first 2 shown]
	v_fma_f32 v45, v46, v66, -v45
	v_dual_fmac_f32 v59, v47, v66 :: v_dual_fmac_f32 v96, v49, v72
	v_fmac_f32_e32 v64, v79, v68
	v_fmac_f32_e32 v65, v47, v68
	v_fma_f32 v47, v78, v66, -v60
	v_fma_f32 v60, v78, v68, -v62
	v_mul_f32_e32 v62, v81, v71
	v_fma_f32 v46, v46, v68, -v63
	v_dual_mul_f32 v68, v80, v73 :: v_dual_fmac_f32 v61, v79, v66
	v_mul_f32_e32 v66, v81, v73
	v_dual_mul_f32 v78, v50, v77 :: v_dual_mul_f32 v63, v80, v71
	v_fma_f32 v67, v48, v70, -v67
	v_fmac_f32_e32 v69, v49, v70
	v_fma_f32 v48, v48, v72, -v94
	v_dual_mul_f32 v49, v51, v75 :: v_dual_mul_f32 v94, v52, v89
	v_mul_f32_e32 v73, v51, v77
	v_fma_f32 v62, v80, v70, -v62
	v_fma_f32 v66, v80, v72, -v66
	v_fmac_f32_e32 v68, v81, v72
	v_mul_f32_e32 v72, v82, v75
	v_mul_f32_e32 v71, v50, v75
	;; [unrolled: 1-line block ×3, first 2 shown]
	v_dual_fmac_f32 v78, v51, v76 :: v_dual_fmac_f32 v63, v81, v70
	v_mul_f32_e32 v70, v83, v75
	v_mul_f32_e32 v75, v83, v77
	s_delay_alu instid0(VALU_DEP_4)
	v_dual_mul_f32 v77, v82, v77 :: v_dual_fmac_f32 v80, v53, v86
	v_mul_f32_e32 v79, v53, v87
	v_fma_f32 v49, v50, v74, -v49
	v_fma_f32 v50, v50, v76, -v73
	v_fmac_f32_e32 v72, v83, v74
	v_dual_fmac_f32 v71, v51, v74 :: v_dual_fmac_f32 v94, v53, v88
	v_fma_f32 v51, v82, v74, -v70
	v_mul_f32_e32 v74, v84, v87
	v_fma_f32 v70, v82, v76, -v75
	v_dual_fmac_f32 v77, v83, v76 :: v_dual_mul_f32 v76, v84, v89
	v_dual_mul_f32 v81, v53, v89 :: v_dual_add_f32 v24, v24, v90
	v_dual_mul_f32 v73, v85, v87 :: v_dual_add_f32 v22, v22, v30
	;; [unrolled: 1-line block ×3, first 2 shown]
	s_delay_alu instid0(VALU_DEP_4) | instskip(SKIP_3) | instid1(VALU_DEP_3)
	v_dual_fmac_f32 v76, v85, v88 :: v_dual_add_f32 v23, v23, v93
	v_dual_add_f32 v25, v25, v91 :: v_dual_add_f32 v18, v18, v29
	v_dual_add_f32 v21, v21, v27 :: v_dual_add_f32 v24, v24, v41
	;; [unrolled: 1-line block ×4, first 2 shown]
	s_delay_alu instid0(VALU_DEP_3) | instskip(NEXT) | instid1(VALU_DEP_4)
	v_dual_add_f32 v23, v23, v99 :: v_dual_add_f32 v24, v24, v33
	v_dual_add_f32 v21, v21, v34 :: v_dual_add_f32 v18, v18, v39
	s_delay_alu instid0(VALU_DEP_4) | instskip(NEXT) | instid1(VALU_DEP_3)
	v_dual_add_f32 v19, v19, v35 :: v_dual_add_f32 v22, v22, v42
	v_dual_add_f32 v25, v25, v92 :: v_dual_add_f32 v24, v24, v55
	s_delay_alu instid0(VALU_DEP_4) | instskip(NEXT) | instid1(VALU_DEP_4)
	v_dual_add_f32 v23, v23, v95 :: v_dual_add_f32 v20, v20, v36
	v_dual_add_f32 v21, v21, v37 :: v_dual_add_f32 v18, v18, v40
	s_delay_alu instid0(VALU_DEP_4) | instskip(NEXT) | instid1(VALU_DEP_3)
	v_dual_add_f32 v19, v19, v38 :: v_dual_add_f32 v22, v22, v44
	v_dual_add_f32 v25, v25, v57 :: v_dual_add_f32 v20, v20, v43
	s_delay_alu instid0(VALU_DEP_4) | instskip(NEXT) | instid1(VALU_DEP_4)
	v_dual_add_f32 v23, v23, v98 :: v_dual_add_f32 v24, v24, v45
	v_add_f32_e32 v21, v21, v54
	s_delay_alu instid0(VALU_DEP_4) | instskip(NEXT) | instid1(VALU_DEP_4)
	v_dual_add_f32 v19, v19, v56 :: v_dual_add_f32 v18, v18, v58
	v_dual_add_f32 v25, v25, v59 :: v_dual_add_f32 v22, v22, v46
	s_delay_alu instid0(VALU_DEP_4) | instskip(NEXT) | instid1(VALU_DEP_4)
	v_dual_add_f32 v23, v23, v65 :: v_dual_add_f32 v20, v20, v47
	v_dual_add_f32 v21, v21, v61 :: v_dual_add_f32 v24, v24, v67
	s_delay_alu instid0(VALU_DEP_4) | instskip(NEXT) | instid1(VALU_DEP_4)
	v_add_f32_e32 v19, v19, v60
	v_dual_add_f32 v18, v18, v64 :: v_dual_add_f32 v25, v25, v69
	v_add_f32_e32 v22, v22, v48
	s_delay_alu instid0(VALU_DEP_4) | instskip(SKIP_1) | instid1(VALU_DEP_4)
	v_dual_add_f32 v23, v23, v96 :: v_dual_add_f32 v24, v24, v49
	v_dual_add_f32 v20, v20, v62 :: v_dual_add_f32 v21, v21, v63
	;; [unrolled: 1-line block ×3, first 2 shown]
	v_fma_f32 v79, v52, v86, -v79
	v_fma_f32 v52, v52, v88, -v81
	;; [unrolled: 1-line block ×3, first 2 shown]
	v_fmac_f32_e32 v74, v85, v86
	v_fma_f32 v73, v84, v88, -v75
	v_dual_add_f32 v25, v25, v71 :: v_dual_add_f32 v22, v22, v50
	v_dual_add_f32 v23, v23, v78 :: v_dual_add_f32 v18, v18, v77
	;; [unrolled: 1-line block ×4, first 2 shown]
	s_delay_alu instid0(VALU_DEP_4) | instskip(NEXT) | instid1(VALU_DEP_3)
	v_add_f32_e32 v22, v22, v52
	v_dual_add_f32 v25, v25, v80 :: v_dual_add_f32 v20, v20, v53
	v_dual_add_f32 v23, v23, v94 :: v_dual_add_f32 v18, v18, v76
	v_add_f32_e32 v21, v21, v74
	v_add_f32_e32 v19, v19, v73
	s_wait_alu 0xfffe
	s_cbranch_vccnz .LBB106_5
.LBB106_6:                              ;   in Loop: Header=BB106_3 Depth=1
	s_mul_u64 s[18:19], s[26:27], s[2:3]
	s_and_b32 vcc_lo, exec_lo, s1
	s_wait_alu 0xfffe
	s_lshl_b64 s[18:19], s[18:19], 3
	s_mov_b32 s24, -1
	s_wait_alu 0xfffe
	s_add_nc_u64 s[18:19], s[10:11], s[18:19]
                                        ; implicit-def: $vgpr10
                                        ; implicit-def: $vgpr8_vgpr9
	s_cbranch_vccz .LBB106_8
; %bb.7:                                ;   in Loop: Header=BB106_3 Depth=1
	s_and_not1_b32 vcc_lo, exec_lo, s24
	s_wait_alu 0xfffe
	s_cbranch_vccnz .LBB106_2
	s_branch .LBB106_9
.LBB106_8:                              ;   in Loop: Header=BB106_3 Depth=1
	v_mul_f32_e32 v27, s22, v25
	v_mul_f32_e32 v8, s23, v25
	s_wait_alu 0xfffe
	v_add_co_u32 v9, vcc_lo, s18, v4
	s_wait_alu 0xfffd
	v_add_co_ci_u32_e64 v10, null, s19, v5, vcc_lo
	v_fmac_f32_e32 v27, s23, v24
	v_fma_f32 v26, v24, s22, -v8
	v_mul_f32_e32 v8, s23, v23
	v_add_co_u32 v30, vcc_lo, v9, v6
	v_mul_f32_e32 v29, s22, v23
	s_wait_alu 0xfffd
	v_add_co_ci_u32_e64 v31, null, v10, v7, vcc_lo
	v_fma_f32 v28, v22, s22, -v8
	v_mul_f32_e32 v8, s23, v21
	v_add_co_u32 v9, vcc_lo, v9, s16
	v_mul_f32_e32 v33, s22, v21
	s_wait_alu 0xfffd
	v_add_co_ci_u32_e64 v11, null, s17, v10, vcc_lo
	v_fma_f32 v32, v20, s22, -v8
	v_mul_f32_e32 v8, s23, v18
	v_add_co_u32 v34, vcc_lo, v9, v6
	v_dual_fmac_f32 v33, s23, v20 :: v_dual_mul_f32 v10, s22, v18
	s_wait_alu 0xfffd
	v_add_co_ci_u32_e64 v35, null, v11, v7, vcc_lo
	v_fma_f32 v11, v19, s22, -v8
	v_add_co_u32 v8, vcc_lo, 0x80, v34
	v_dual_fmac_f32 v29, s23, v22 :: v_dual_fmac_f32 v10, s23, v19
	s_wait_alu 0xfffd
	v_add_co_ci_u32_e64 v9, null, 0, v35, vcc_lo
	s_clause 0x3
	global_store_b64 v[30:31], v[26:27], off
	global_store_b64 v[30:31], v[28:29], off offset:128
	global_store_b64 v[34:35], v[32:33], off
	global_store_b32 v[34:35], v11, off offset:128
	s_cbranch_execnz .LBB106_2
.LBB106_9:                              ;   in Loop: Header=BB106_3 Depth=1
	s_mul_u64 s[24:25], s[8:9], s[2:3]
	s_wait_alu 0xfffe
	s_lshl_b64 s[24:25], s[24:25], 3
	s_wait_alu 0xfffe
	v_add_co_u32 v26, vcc_lo, v16, s24
	s_wait_alu 0xfffd
	v_add_co_ci_u32_e64 v27, null, s25, v17, vcc_lo
	s_delay_alu instid0(VALU_DEP_2) | instskip(SKIP_1) | instid1(VALU_DEP_2)
	v_add_co_u32 v8, vcc_lo, v26, v6
	s_wait_alu 0xfffd
	v_add_co_ci_u32_e64 v9, null, v27, v7, vcc_lo
	v_add_co_u32 v31, vcc_lo, s18, v4
	s_wait_alu 0xfffd
	v_add_co_ci_u32_e64 v32, null, s19, v5, vcc_lo
	global_load_b64 v[10:11], v[8:9], off
	v_mul_f32_e32 v28, s23, v25
	s_wait_loadcnt 0x0
	v_dual_mul_f32 v25, s22, v25 :: v_dual_mul_f32 v30, s34, v11
	v_mul_f32_e32 v29, s35, v11
	s_delay_alu instid0(VALU_DEP_3) | instskip(NEXT) | instid1(VALU_DEP_3)
	v_fma_f32 v28, v24, s22, -v28
	v_dual_fmac_f32 v25, s23, v24 :: v_dual_fmac_f32 v30, s35, v10
	s_delay_alu instid0(VALU_DEP_3) | instskip(SKIP_3) | instid1(VALU_DEP_3)
	v_fma_f32 v24, v10, s34, -v29
	v_add_co_u32 v10, vcc_lo, v31, v6
	s_wait_alu 0xfffd
	v_add_co_ci_u32_e64 v11, null, v32, v7, vcc_lo
	v_dual_add_f32 v24, v28, v24 :: v_dual_add_f32 v25, v25, v30
	global_store_b64 v[10:11], v[24:25], off
	global_load_b64 v[8:9], v[8:9], off offset:128
	s_wait_loadcnt 0x0
	v_dual_mul_f32 v24, s23, v23 :: v_dual_mul_f32 v25, s35, v9
	s_delay_alu instid0(VALU_DEP_1) | instskip(SKIP_2) | instid1(VALU_DEP_2)
	v_fma_f32 v24, v22, s22, -v24
	v_mul_f32_e32 v23, s22, v23
	v_mul_f32_e32 v9, s34, v9
	v_fmac_f32_e32 v23, s23, v22
	v_fma_f32 v22, v8, s34, -v25
	v_add_co_u32 v25, vcc_lo, v26, s14
	s_delay_alu instid0(VALU_DEP_4)
	v_fmac_f32_e32 v9, s35, v8
	s_wait_alu 0xfffd
	v_add_co_ci_u32_e64 v26, null, s15, v27, vcc_lo
	v_add_f32_e32 v8, v24, v22
	v_add_co_u32 v22, vcc_lo, v25, v6
	v_add_f32_e32 v9, v23, v9
	s_wait_alu 0xfffd
	v_add_co_ci_u32_e64 v23, null, v26, v7, vcc_lo
	v_add_co_u32 v24, vcc_lo, v31, s16
	global_store_b64 v[10:11], v[8:9], off offset:128
	global_load_b64 v[8:9], v[22:23], off
	v_mul_f32_e32 v10, s23, v21
	v_mul_f32_e32 v11, s22, v21
	s_wait_alu 0xfffd
	v_add_co_ci_u32_e64 v25, null, s17, v32, vcc_lo
	s_delay_alu instid0(VALU_DEP_3) | instskip(NEXT) | instid1(VALU_DEP_3)
	v_fma_f32 v10, v20, s22, -v10
	v_fmac_f32_e32 v11, s23, v20
	v_add_co_u32 v20, vcc_lo, v24, v6
	s_wait_loadcnt 0x0
	v_mul_f32_e32 v21, s35, v9
	v_mul_f32_e32 v9, s34, v9
	s_delay_alu instid0(VALU_DEP_2) | instskip(NEXT) | instid1(VALU_DEP_2)
	v_fma_f32 v26, v8, s34, -v21
	v_fmac_f32_e32 v9, s35, v8
	s_wait_alu 0xfffd
	v_add_co_ci_u32_e64 v21, null, v25, v7, vcc_lo
	s_delay_alu instid0(VALU_DEP_2)
	v_dual_add_f32 v8, v10, v26 :: v_dual_add_f32 v9, v11, v9
	v_mul_f32_e32 v10, s23, v18
	v_mul_f32_e32 v11, s22, v18
	global_store_b64 v[20:21], v[8:9], off
	global_load_b64 v[8:9], v[22:23], off offset:128
	v_fma_f32 v10, v19, s22, -v10
	s_wait_loadcnt 0x0
	v_dual_fmac_f32 v11, s23, v19 :: v_dual_mul_f32 v18, s35, v9
	v_mul_f32_e32 v9, s34, v9
	s_delay_alu instid0(VALU_DEP_2) | instskip(NEXT) | instid1(VALU_DEP_2)
	v_fma_f32 v18, v8, s34, -v18
	v_fmac_f32_e32 v9, s35, v8
	v_add_co_u32 v8, vcc_lo, 0x80, v20
	s_delay_alu instid0(VALU_DEP_3) | instskip(NEXT) | instid1(VALU_DEP_3)
	v_add_f32_e32 v18, v10, v18
	v_add_f32_e32 v10, v11, v9
	s_wait_alu 0xfffd
	v_add_co_ci_u32_e64 v9, null, 0, v21, vcc_lo
	global_store_b32 v[20:21], v18, off offset:128
	s_branch .LBB106_2
.LBB106_10:
	s_nop 0
	s_sendmsg sendmsg(MSG_DEALLOC_VGPRS)
	s_endpgm
	.section	.rodata,"a",@progbits
	.p2align	6, 0x0
	.amdhsa_kernel _ZN12_GLOBAL__N_127rocblas_gemm_batched_kernelI19rocblas_complex_numIfELi16ELi16ELi32ELi32ELi8ELi32ELi8ELi8ELi32ELc84ELc67EKS2_S3_S2_EEvlllT_PT11_llS6_llS4_PT12_llPT13_lli
		.amdhsa_group_segment_fixed_size 4096
		.amdhsa_private_segment_fixed_size 0
		.amdhsa_kernarg_size 140
		.amdhsa_user_sgpr_count 2
		.amdhsa_user_sgpr_dispatch_ptr 0
		.amdhsa_user_sgpr_queue_ptr 0
		.amdhsa_user_sgpr_kernarg_segment_ptr 1
		.amdhsa_user_sgpr_dispatch_id 0
		.amdhsa_user_sgpr_private_segment_size 0
		.amdhsa_wavefront_size32 1
		.amdhsa_uses_dynamic_stack 0
		.amdhsa_enable_private_segment 0
		.amdhsa_system_sgpr_workgroup_id_x 1
		.amdhsa_system_sgpr_workgroup_id_y 1
		.amdhsa_system_sgpr_workgroup_id_z 1
		.amdhsa_system_sgpr_workgroup_info 0
		.amdhsa_system_vgpr_workitem_id 1
		.amdhsa_next_free_vgpr 100
		.amdhsa_next_free_sgpr 39
		.amdhsa_reserve_vcc 1
		.amdhsa_float_round_mode_32 0
		.amdhsa_float_round_mode_16_64 0
		.amdhsa_float_denorm_mode_32 3
		.amdhsa_float_denorm_mode_16_64 3
		.amdhsa_fp16_overflow 0
		.amdhsa_workgroup_processor_mode 1
		.amdhsa_memory_ordered 1
		.amdhsa_forward_progress 1
		.amdhsa_inst_pref_size 23
		.amdhsa_round_robin_scheduling 0
		.amdhsa_exception_fp_ieee_invalid_op 0
		.amdhsa_exception_fp_denorm_src 0
		.amdhsa_exception_fp_ieee_div_zero 0
		.amdhsa_exception_fp_ieee_overflow 0
		.amdhsa_exception_fp_ieee_underflow 0
		.amdhsa_exception_fp_ieee_inexact 0
		.amdhsa_exception_int_div_zero 0
	.end_amdhsa_kernel
	.section	.text._ZN12_GLOBAL__N_127rocblas_gemm_batched_kernelI19rocblas_complex_numIfELi16ELi16ELi32ELi32ELi8ELi32ELi8ELi8ELi32ELc84ELc67EKS2_S3_S2_EEvlllT_PT11_llS6_llS4_PT12_llPT13_lli,"axG",@progbits,_ZN12_GLOBAL__N_127rocblas_gemm_batched_kernelI19rocblas_complex_numIfELi16ELi16ELi32ELi32ELi8ELi32ELi8ELi8ELi32ELc84ELc67EKS2_S3_S2_EEvlllT_PT11_llS6_llS4_PT12_llPT13_lli,comdat
.Lfunc_end106:
	.size	_ZN12_GLOBAL__N_127rocblas_gemm_batched_kernelI19rocblas_complex_numIfELi16ELi16ELi32ELi32ELi8ELi32ELi8ELi8ELi32ELc84ELc67EKS2_S3_S2_EEvlllT_PT11_llS6_llS4_PT12_llPT13_lli, .Lfunc_end106-_ZN12_GLOBAL__N_127rocblas_gemm_batched_kernelI19rocblas_complex_numIfELi16ELi16ELi32ELi32ELi8ELi32ELi8ELi8ELi32ELc84ELc67EKS2_S3_S2_EEvlllT_PT11_llS6_llS4_PT12_llPT13_lli
                                        ; -- End function
	.set _ZN12_GLOBAL__N_127rocblas_gemm_batched_kernelI19rocblas_complex_numIfELi16ELi16ELi32ELi32ELi8ELi32ELi8ELi8ELi32ELc84ELc67EKS2_S3_S2_EEvlllT_PT11_llS6_llS4_PT12_llPT13_lli.num_vgpr, 100
	.set _ZN12_GLOBAL__N_127rocblas_gemm_batched_kernelI19rocblas_complex_numIfELi16ELi16ELi32ELi32ELi8ELi32ELi8ELi8ELi32ELc84ELc67EKS2_S3_S2_EEvlllT_PT11_llS6_llS4_PT12_llPT13_lli.num_agpr, 0
	.set _ZN12_GLOBAL__N_127rocblas_gemm_batched_kernelI19rocblas_complex_numIfELi16ELi16ELi32ELi32ELi8ELi32ELi8ELi8ELi32ELc84ELc67EKS2_S3_S2_EEvlllT_PT11_llS6_llS4_PT12_llPT13_lli.numbered_sgpr, 39
	.set _ZN12_GLOBAL__N_127rocblas_gemm_batched_kernelI19rocblas_complex_numIfELi16ELi16ELi32ELi32ELi8ELi32ELi8ELi8ELi32ELc84ELc67EKS2_S3_S2_EEvlllT_PT11_llS6_llS4_PT12_llPT13_lli.num_named_barrier, 0
	.set _ZN12_GLOBAL__N_127rocblas_gemm_batched_kernelI19rocblas_complex_numIfELi16ELi16ELi32ELi32ELi8ELi32ELi8ELi8ELi32ELc84ELc67EKS2_S3_S2_EEvlllT_PT11_llS6_llS4_PT12_llPT13_lli.private_seg_size, 0
	.set _ZN12_GLOBAL__N_127rocblas_gemm_batched_kernelI19rocblas_complex_numIfELi16ELi16ELi32ELi32ELi8ELi32ELi8ELi8ELi32ELc84ELc67EKS2_S3_S2_EEvlllT_PT11_llS6_llS4_PT12_llPT13_lli.uses_vcc, 1
	.set _ZN12_GLOBAL__N_127rocblas_gemm_batched_kernelI19rocblas_complex_numIfELi16ELi16ELi32ELi32ELi8ELi32ELi8ELi8ELi32ELc84ELc67EKS2_S3_S2_EEvlllT_PT11_llS6_llS4_PT12_llPT13_lli.uses_flat_scratch, 0
	.set _ZN12_GLOBAL__N_127rocblas_gemm_batched_kernelI19rocblas_complex_numIfELi16ELi16ELi32ELi32ELi8ELi32ELi8ELi8ELi32ELc84ELc67EKS2_S3_S2_EEvlllT_PT11_llS6_llS4_PT12_llPT13_lli.has_dyn_sized_stack, 0
	.set _ZN12_GLOBAL__N_127rocblas_gemm_batched_kernelI19rocblas_complex_numIfELi16ELi16ELi32ELi32ELi8ELi32ELi8ELi8ELi32ELc84ELc67EKS2_S3_S2_EEvlllT_PT11_llS6_llS4_PT12_llPT13_lli.has_recursion, 0
	.set _ZN12_GLOBAL__N_127rocblas_gemm_batched_kernelI19rocblas_complex_numIfELi16ELi16ELi32ELi32ELi8ELi32ELi8ELi8ELi32ELc84ELc67EKS2_S3_S2_EEvlllT_PT11_llS6_llS4_PT12_llPT13_lli.has_indirect_call, 0
	.section	.AMDGPU.csdata,"",@progbits
; Kernel info:
; codeLenInByte = 2832
; TotalNumSgprs: 41
; NumVgprs: 100
; ScratchSize: 0
; MemoryBound: 0
; FloatMode: 240
; IeeeMode: 1
; LDSByteSize: 4096 bytes/workgroup (compile time only)
; SGPRBlocks: 0
; VGPRBlocks: 12
; NumSGPRsForWavesPerEU: 41
; NumVGPRsForWavesPerEU: 100
; Occupancy: 12
; WaveLimiterHint : 1
; COMPUTE_PGM_RSRC2:SCRATCH_EN: 0
; COMPUTE_PGM_RSRC2:USER_SGPR: 2
; COMPUTE_PGM_RSRC2:TRAP_HANDLER: 0
; COMPUTE_PGM_RSRC2:TGID_X_EN: 1
; COMPUTE_PGM_RSRC2:TGID_Y_EN: 1
; COMPUTE_PGM_RSRC2:TGID_Z_EN: 1
; COMPUTE_PGM_RSRC2:TIDIG_COMP_CNT: 1
	.section	.text._ZN12_GLOBAL__N_135rocblas_gemm_batched_general_kernelI19rocblas_complex_numIfELi16ELi16ELi32ELi32ELi8ELi32ELi8ELi8ELi32ELc78ELc78EKS2_S3_S2_EEvlllT_PT11_llS6_llS4_PT12_llPT13_lli,"axG",@progbits,_ZN12_GLOBAL__N_135rocblas_gemm_batched_general_kernelI19rocblas_complex_numIfELi16ELi16ELi32ELi32ELi8ELi32ELi8ELi8ELi32ELc78ELc78EKS2_S3_S2_EEvlllT_PT11_llS6_llS4_PT12_llPT13_lli,comdat
	.globl	_ZN12_GLOBAL__N_135rocblas_gemm_batched_general_kernelI19rocblas_complex_numIfELi16ELi16ELi32ELi32ELi8ELi32ELi8ELi8ELi32ELc78ELc78EKS2_S3_S2_EEvlllT_PT11_llS6_llS4_PT12_llPT13_lli ; -- Begin function _ZN12_GLOBAL__N_135rocblas_gemm_batched_general_kernelI19rocblas_complex_numIfELi16ELi16ELi32ELi32ELi8ELi32ELi8ELi8ELi32ELc78ELc78EKS2_S3_S2_EEvlllT_PT11_llS6_llS4_PT12_llPT13_lli
	.p2align	8
	.type	_ZN12_GLOBAL__N_135rocblas_gemm_batched_general_kernelI19rocblas_complex_numIfELi16ELi16ELi32ELi32ELi8ELi32ELi8ELi8ELi32ELc78ELc78EKS2_S3_S2_EEvlllT_PT11_llS6_llS4_PT12_llPT13_lli,@function
_ZN12_GLOBAL__N_135rocblas_gemm_batched_general_kernelI19rocblas_complex_numIfELi16ELi16ELi32ELi32ELi8ELi32ELi8ELi8ELi32ELc78ELc78EKS2_S3_S2_EEvlllT_PT11_llS6_llS4_PT12_llPT13_lli: ; @_ZN12_GLOBAL__N_135rocblas_gemm_batched_general_kernelI19rocblas_complex_numIfELi16ELi16ELi32ELi32ELi8ELi32ELi8ELi8ELi32ELc78ELc78EKS2_S3_S2_EEvlllT_PT11_llS6_llS4_PT12_llPT13_lli
; %bb.0:
	s_load_b32 s33, s[0:1], 0x88
	s_lshr_b32 s6, ttmp7, 16
	s_wait_kmcnt 0x0
	s_cmp_ge_i32 s6, s33
	s_cbranch_scc1 .LBB107_38
; %bb.1:
	v_bfe_u32 v5, v0, 10, 10
	v_and_b32_e32 v6, 0x3ff, v0
	s_clause 0x3
	s_load_b256 s[8:15], s[0:1], 0x0
	s_load_b256 s[24:31], s[0:1], 0x20
	s_load_b128 s[36:39], s[0:1], 0x78
	s_load_b256 s[16:23], s[0:1], 0x58
	s_mov_b32 s44, ttmp9
	s_ashr_i32 s45, ttmp9, 31
	v_lshl_add_u32 v1, v5, 4, v6
	s_clause 0x1
	s_load_b128 s[40:43], s[0:1], 0x40
	s_load_b64 s[34:35], s[0:1], 0x50
	v_and_b32_e32 v15, 7, v0
	s_lshl_b64 s[0:1], s[44:45], 5
	s_and_b32 s2, ttmp7, 0xffff
	v_dual_mov_b32 v2, s1 :: v_dual_and_b32 v3, 31, v1
	v_lshrrev_b32_e32 v0, 3, v1
	v_lshrrev_b32_e32 v14, 5, v1
	v_lshlrev_b32_e32 v26, 3, v15
	s_delay_alu instid0(VALU_DEP_4)
	v_or_b32_e32 v1, s0, v3
	s_lshl_b32 s2, s2, 5
	v_add_co_u32 v8, s0, s0, v6
	v_lshlrev_b32_e32 v25, 3, v3
	v_add_co_u32 v3, s3, v0, s2
	s_wait_alu 0xf1ff
	v_add_co_ci_u32_e64 v9, null, s1, 0, s0
	v_lshl_or_b32 v7, v0, 6, v26
	s_wait_kmcnt 0x0
	v_cmp_gt_i64_e32 vcc_lo, s[8:9], v[1:2]
	v_add_co_u32 v1, s2, s2, v5
	v_add_co_ci_u32_e64 v4, null, 0, 0, s3
	v_add_co_u32 v10, s0, v8, 16
	s_wait_alu 0xf1ff
	v_add_co_ci_u32_e64 v11, null, 0, v9, s0
	v_add_nc_u32_e32 v17, 0x800, v7
	v_lshlrev_b32_e32 v18, 3, v6
	v_mad_co_u64_u32 v[6:7], null, v1, s36, 0
	v_cmp_gt_i64_e64 s4, s[10:11], v[3:4]
	v_lshl_add_u32 v19, v5, 6, 0x800
	v_mad_co_u64_u32 v[4:5], null, v1, s18, 0
	v_add_co_ci_u32_e64 v2, null, 0, 0, s2
	v_mad_co_u64_u32 v[12:13], null, s40, v3, 0
	v_cmp_gt_i64_e64 s2, s[8:9], v[10:11]
	v_mad_co_u64_u32 v[10:11], null, s26, v14, 0
	v_mad_co_u64_u32 v[20:21], null, v1, s37, v[7:8]
	;; [unrolled: 1-line block ×3, first 2 shown]
	s_or_b32 s3, s34, s35
	v_mad_co_u64_u32 v[22:23], null, s41, v3, v[13:14]
	v_mov_b32_e32 v3, v11
	s_wait_alu 0xfffe
	s_bitset0_b32 s3, 31
	v_cmp_gt_i64_e64 s0, s[10:11], v[1:2]
	s_wait_alu 0xfffe
	s_cmp_eq_u32 s3, 0
	v_add_co_u32 v1, s3, v1, 16
	s_wait_alu 0xf1ff
	v_add_co_ci_u32_e64 v2, null, 0, v2, s3
	v_mov_b32_e32 v5, v21
	v_mad_co_u64_u32 v[23:24], null, s27, v14, v[3:4]
	s_delay_alu instid0(VALU_DEP_3) | instskip(SKIP_1) | instid1(VALU_DEP_4)
	v_cmp_gt_i64_e64 s3, s[10:11], v[1:2]
	v_mov_b32_e32 v13, v22
	v_lshlrev_b64_e32 v[1:2], 3, v[4:5]
	v_mov_b32_e32 v7, v20
	s_cselect_b32 s46, -1, 0
	s_lshl_b64 s[10:11], s[44:45], 8
	v_mov_b32_e32 v11, v23
	v_lshlrev_b64_e32 v[3:4], 3, v[12:13]
	v_add_co_u32 v20, s5, s16, v1
	s_delay_alu instid0(VALU_DEP_1) | instskip(NEXT) | instid1(VALU_DEP_4)
	v_add_co_ci_u32_e64 v21, null, s17, v2, s5
	v_lshlrev_b64_e32 v[1:2], 3, v[10:11]
	s_delay_alu instid0(VALU_DEP_4)
	v_add_co_u32 v3, s5, v3, v26
	s_wait_alu 0xf1ff
	v_add_co_ci_u32_e64 v4, null, 0, v4, s5
	v_cmp_gt_i64_e64 s1, s[8:9], v[8:9]
	s_wait_alu 0xfffe
	v_add_co_u32 v1, s5, v1, s10
	s_wait_alu 0xf1ff
	v_add_co_ci_u32_e64 v5, null, s11, v2, s5
	v_add_co_u32 v2, s5, s30, v3
	s_wait_alu 0xf1ff
	v_add_co_ci_u32_e64 v3, null, s31, v4, s5
	;; [unrolled: 3-line block ×3, first 2 shown]
	s_lshl_b64 s[8:9], s[36:37], 4
	v_add_co_u32 v4, s5, s24, v1
	s_lshl_b64 s[36:37], s[18:19], 4
	s_lshl_b64 s[18:19], s[26:27], 6
	v_cmp_gt_i64_e64 s26, s[12:13], 0
	v_lshlrev_b64_e32 v[6:7], 3, v[6:7]
	v_lshlrev_b64_e32 v[8:9], 3, v[8:9]
	v_mov_b32_e32 v0, 0
	v_lshl_or_b32 v16, v14, 8, v25
	v_add_co_ci_u32_e64 v5, null, s25, v5, s5
	s_mov_b32 s7, 0
	s_lshl_b64 s[10:11], s[42:43], 3
	s_lshl_b64 s[16:17], s[28:29], 3
	s_xor_b32 s27, vcc_lo, -1
	s_xor_b32 s28, s4, -1
	s_wait_alu 0xfffe
	s_lshl_b64 s[4:5], s[36:37], 3
	s_branch .LBB107_4
.LBB107_2:                              ;   in Loop: Header=BB107_4 Depth=1
	s_wait_alu 0xfffe
	s_or_b32 exec_lo, exec_lo, s29
.LBB107_3:                              ;   in Loop: Header=BB107_4 Depth=1
	s_add_co_i32 s6, s6, 0x10000
	s_wait_alu 0xfffe
	s_cmp_lt_i32 s6, s33
	s_cbranch_scc0 .LBB107_38
.LBB107_4:                              ; =>This Loop Header: Depth=1
                                        ;     Child Loop BB107_7 Depth 2
	v_dual_mov_b32 v28, v0 :: v_dual_mov_b32 v29, v0
	v_dual_mov_b32 v26, v0 :: v_dual_mov_b32 v27, v0
	;; [unrolled: 1-line block ×4, first 2 shown]
	s_and_not1_b32 vcc_lo, exec_lo, s26
	s_wait_alu 0xfffe
	s_cbranch_vccnz .LBB107_15
; %bb.5:                                ;   in Loop: Header=BB107_4 Depth=1
	v_mad_co_u64_u32 v[10:11], null, s10, s6, v[2:3]
	v_mad_co_u64_u32 v[12:13], null, s16, s6, v[4:5]
	v_dual_mov_b32 v23, 0 :: v_dual_mov_b32 v26, 0
	v_mov_b32_e32 v25, 0
	v_mov_b32_e32 v27, 0
	v_dual_mov_b32 v1, v11 :: v_dual_mov_b32 v22, 0
	v_dual_mov_b32 v11, v13 :: v_dual_mov_b32 v24, 0
	s_mov_b64 s[24:25], 0
	s_delay_alu instid0(VALU_DEP_2) | instskip(NEXT) | instid1(VALU_DEP_2)
	v_mad_co_u64_u32 v[28:29], null, s11, s6, v[1:2]
	v_mad_co_u64_u32 v[30:31], null, s17, s6, v[11:12]
	v_mov_b32_e32 v29, 0
	s_delay_alu instid0(VALU_DEP_3) | instskip(NEXT) | instid1(VALU_DEP_3)
	v_dual_mov_b32 v11, v28 :: v_dual_mov_b32 v28, 0
	v_mov_b32_e32 v13, v30
	s_branch .LBB107_7
.LBB107_6:                              ;   in Loop: Header=BB107_7 Depth=2
	s_wait_alu 0xfffe
	s_or_b32 exec_lo, exec_lo, s29
	s_wait_dscnt 0x0
	s_barrier_signal -1
	s_barrier_wait -1
	global_inv scope:SCOPE_SE
	ds_load_b128 v[30:33], v19
	ds_load_2addr_b64 v[34:37], v18 offset1:16
	ds_load_b128 v[38:41], v19 offset:1024
	ds_load_b128 v[42:45], v19 offset:16
	;; [unrolled: 1-line block ×4, first 2 shown]
	ds_load_2addr_b64 v[54:57], v18 offset0:32 offset1:48
	ds_load_b128 v[58:61], v19 offset:1040
	s_add_nc_u64 s[24:25], s[24:25], 8
	v_add_co_u32 v10, vcc_lo, v10, 64
	s_wait_alu 0xfffe
	v_cmp_lt_i64_e64 s29, s[24:25], s[12:13]
	s_wait_alu 0xfffd
	v_add_co_ci_u32_e64 v11, null, 0, v11, vcc_lo
	v_add_co_u32 v12, vcc_lo, v12, s18
	s_wait_alu 0xfffd
	v_add_co_ci_u32_e64 v13, null, s19, v13, vcc_lo
	s_and_b32 vcc_lo, exec_lo, s29
	s_wait_dscnt 0x6
	v_dual_mul_f32 v1, v31, v35 :: v_dual_mul_f32 v64, v30, v37
	v_dual_mul_f32 v62, v30, v35 :: v_dual_mul_f32 v63, v31, v37
	s_wait_dscnt 0x5
	v_mul_f32_e32 v66, v39, v37
	s_delay_alu instid0(VALU_DEP_3) | instskip(SKIP_3) | instid1(VALU_DEP_4)
	v_fma_f32 v1, v30, v34, -v1
	v_dual_mul_f32 v37, v38, v37 :: v_dual_fmac_f32 v64, v31, v36
	v_fmac_f32_e32 v62, v31, v34
	v_fma_f32 v30, v30, v36, -v63
	v_add_f32_e32 v1, v28, v1
	v_mul_f32_e32 v65, v39, v35
	s_delay_alu instid0(VALU_DEP_4) | instskip(NEXT) | instid1(VALU_DEP_4)
	v_dual_mul_f32 v35, v38, v35 :: v_dual_add_f32 v28, v29, v62
	v_add_f32_e32 v29, v26, v30
	v_fmac_f32_e32 v37, v39, v36
	s_delay_alu instid0(VALU_DEP_4) | instskip(NEXT) | instid1(VALU_DEP_4)
	v_fma_f32 v31, v38, v34, -v65
	v_fmac_f32_e32 v35, v39, v34
	v_fma_f32 v34, v38, v36, -v66
	s_wait_dscnt 0x1
	v_dual_mul_f32 v36, v32, v55 :: v_dual_add_f32 v27, v27, v64
	v_mul_f32_e32 v38, v33, v57
	v_add_f32_e32 v30, v24, v31
	v_dual_add_f32 v31, v25, v35 :: v_dual_add_f32 v34, v23, v34
	ds_load_2addr_b64 v[23:26], v18 offset0:64 offset1:80
	v_fmac_f32_e32 v36, v33, v54
	v_dual_mul_f32 v35, v33, v55 :: v_dual_add_f32 v22, v22, v37
	v_mul_f32_e32 v37, v32, v57
	s_delay_alu instid0(VALU_DEP_3) | instskip(NEXT) | instid1(VALU_DEP_3)
	v_add_f32_e32 v36, v28, v36
	v_fma_f32 v35, v32, v54, -v35
	v_fma_f32 v32, v32, v56, -v38
	v_mul_f32_e32 v28, v40, v55
	s_delay_alu instid0(VALU_DEP_3) | instskip(SKIP_1) | instid1(VALU_DEP_4)
	v_add_f32_e32 v1, v1, v35
	v_mul_f32_e32 v35, v41, v55
	v_add_f32_e32 v32, v29, v32
	v_fmac_f32_e32 v37, v33, v56
	v_mul_f32_e32 v33, v41, v57
	v_fmac_f32_e32 v28, v41, v54
	v_fma_f32 v29, v40, v54, -v35
	s_delay_alu instid0(VALU_DEP_4) | instskip(SKIP_4) | instid1(VALU_DEP_3)
	v_add_f32_e32 v35, v27, v37
	v_mul_f32_e32 v37, v40, v57
	v_fma_f32 v27, v40, v56, -v33
	s_wait_dscnt 0x0
	v_dual_add_f32 v38, v30, v29 :: v_dual_mul_f32 v29, v43, v24
	v_dual_mul_f32 v40, v43, v26 :: v_dual_fmac_f32 v37, v41, v56
	v_mul_f32_e32 v33, v42, v24
	v_add_f32_e32 v34, v34, v27
	s_delay_alu instid0(VALU_DEP_3) | instskip(SKIP_3) | instid1(VALU_DEP_2)
	v_add_f32_e32 v37, v22, v37
	v_mul_f32_e32 v22, v42, v26
	v_fma_f32 v39, v42, v23, -v29
	v_fmac_f32_e32 v33, v43, v23
	v_dual_fmac_f32 v22, v43, v25 :: v_dual_add_f32 v1, v1, v39
	v_fma_f32 v39, v42, v25, -v40
	v_add_f32_e32 v31, v31, v28
	ds_load_2addr_b64 v[27:30], v18 offset0:96 offset1:112
	v_dual_add_f32 v33, v36, v33 :: v_dual_mul_f32 v36, v59, v24
	v_mul_f32_e32 v24, v58, v24
	v_dual_add_f32 v32, v32, v39 :: v_dual_mul_f32 v39, v59, v26
	v_mul_f32_e32 v26, v58, v26
	s_delay_alu instid0(VALU_DEP_4) | instskip(NEXT) | instid1(VALU_DEP_4)
	v_fma_f32 v36, v58, v23, -v36
	v_fmac_f32_e32 v24, v59, v23
	v_add_f32_e32 v35, v35, v22
	v_fma_f32 v22, v58, v25, -v39
	v_fmac_f32_e32 v26, v59, v25
	v_add_f32_e32 v36, v38, v36
	s_delay_alu instid0(VALU_DEP_3)
	v_dual_add_f32 v38, v31, v24 :: v_dual_add_f32 v39, v34, v22
	ds_load_2addr_b64 v[22:25], v18 offset0:128 offset1:144
	s_wait_dscnt 0x1
	v_mul_f32_e32 v31, v45, v28
	v_mul_f32_e32 v34, v44, v28
	;; [unrolled: 1-line block ×4, first 2 shown]
	s_delay_alu instid0(VALU_DEP_4) | instskip(NEXT) | instid1(VALU_DEP_4)
	v_fma_f32 v31, v44, v27, -v31
	v_fmac_f32_e32 v34, v45, v27
	s_delay_alu instid0(VALU_DEP_2) | instskip(SKIP_1) | instid1(VALU_DEP_3)
	v_add_f32_e32 v1, v1, v31
	v_mul_f32_e32 v31, v61, v28
	v_dual_mul_f32 v28, v60, v28 :: v_dual_add_f32 v41, v33, v34
	s_delay_alu instid0(VALU_DEP_2) | instskip(NEXT) | instid1(VALU_DEP_2)
	v_fma_f32 v42, v60, v27, -v31
	v_fmac_f32_e32 v28, v61, v27
	s_wait_dscnt 0x0
	v_mul_f32_e32 v27, v47, v23
	v_fma_f32 v40, v44, v29, -v40
	v_add_f32_e32 v37, v37, v26
	v_mul_f32_e32 v26, v44, v30
	v_mul_f32_e32 v54, v46, v25
	s_delay_alu instid0(VALU_DEP_4) | instskip(SKIP_2) | instid1(VALU_DEP_1)
	v_add_f32_e32 v40, v32, v40
	ds_load_b128 v[31:34], v19 offset:1056
	v_dual_fmac_f32 v26, v45, v29 :: v_dual_mul_f32 v45, v46, v23
	v_add_f32_e32 v44, v35, v26
	v_fma_f32 v26, v60, v29, -v43
	v_fma_f32 v35, v46, v22, -v27
	v_mul_f32_e32 v30, v60, v30
	v_fmac_f32_e32 v45, v47, v22
	v_add_f32_e32 v42, v36, v42
	v_add_f32_e32 v39, v39, v26
	;; [unrolled: 1-line block ×4, first 2 shown]
	v_fmac_f32_e32 v30, v61, v29
	ds_load_2addr_b64 v[26:29], v18 offset0:160 offset1:176
	v_mul_f32_e32 v36, v47, v25
	v_add_f32_e32 v41, v41, v45
	v_add_f32_e32 v30, v37, v30
	s_delay_alu instid0(VALU_DEP_3)
	v_fma_f32 v46, v46, v24, -v36
	ds_load_b128 v[35:38], v19 offset:1072
	s_wait_dscnt 0x2
	v_mul_f32_e32 v55, v32, v23
	v_dual_mul_f32 v23, v31, v23 :: v_dual_add_f32 v40, v40, v46
	v_fmac_f32_e32 v54, v47, v24
	v_mul_f32_e32 v46, v32, v25
	s_delay_alu instid0(VALU_DEP_4) | instskip(NEXT) | instid1(VALU_DEP_4)
	v_fma_f32 v45, v31, v22, -v55
	v_fmac_f32_e32 v23, v32, v22
	s_delay_alu instid0(VALU_DEP_4) | instskip(SKIP_1) | instid1(VALU_DEP_3)
	v_dual_mul_f32 v47, v31, v25 :: v_dual_add_f32 v44, v44, v54
	s_wait_dscnt 0x1
	v_dual_add_f32 v42, v42, v45 :: v_dual_mul_f32 v25, v49, v27
	v_fma_f32 v22, v31, v24, -v46
	v_add_f32_e32 v31, v43, v23
	v_fmac_f32_e32 v47, v32, v24
	v_mul_f32_e32 v32, v48, v27
	v_fma_f32 v43, v48, v26, -v25
	v_add_f32_e32 v39, v39, v22
	ds_load_2addr_b64 v[22:25], v18 offset0:192 offset1:208
	v_fmac_f32_e32 v32, v49, v26
	v_dual_mul_f32 v45, v49, v29 :: v_dual_add_f32 v46, v30, v47
	v_dual_add_f32 v1, v1, v43 :: v_dual_mul_f32 v30, v48, v29
	s_delay_alu instid0(VALU_DEP_3) | instskip(NEXT) | instid1(VALU_DEP_3)
	v_dual_add_f32 v41, v41, v32 :: v_dual_mul_f32 v32, v34, v27
	v_fma_f32 v43, v48, v28, -v45
	s_delay_alu instid0(VALU_DEP_3) | instskip(NEXT) | instid1(VALU_DEP_3)
	v_fmac_f32_e32 v30, v49, v28
	v_fma_f32 v32, v33, v26, -v32
	s_delay_alu instid0(VALU_DEP_3) | instskip(SKIP_1) | instid1(VALU_DEP_3)
	v_dual_add_f32 v40, v40, v43 :: v_dual_mul_f32 v43, v34, v29
	v_mul_f32_e32 v27, v33, v27
	v_dual_mul_f32 v29, v33, v29 :: v_dual_add_f32 v42, v42, v32
	s_delay_alu instid0(VALU_DEP_2) | instskip(SKIP_2) | instid1(VALU_DEP_4)
	v_fmac_f32_e32 v27, v34, v26
	v_add_f32_e32 v26, v44, v30
	v_fma_f32 v30, v33, v28, -v43
	v_fmac_f32_e32 v29, v34, v28
	s_wait_dscnt 0x0
	v_mul_f32_e32 v34, v50, v23
	v_dual_add_f32 v27, v31, v27 :: v_dual_mul_f32 v44, v50, v25
	v_add_f32_e32 v28, v39, v30
	ds_load_2addr_b64 v[30:33], v18 offset0:224 offset1:240
	v_dual_add_f32 v29, v46, v29 :: v_dual_fmac_f32 v34, v51, v22
	v_mul_f32_e32 v43, v51, v23
	v_fmac_f32_e32 v44, v51, v24
	s_wait_loadcnt_dscnt 0x0
	s_barrier_signal -1
	v_add_f32_e32 v34, v41, v34
	v_fma_f32 v39, v50, v22, -v43
	v_mul_f32_e32 v43, v51, v25
	v_mul_f32_e32 v41, v36, v25
	;; [unrolled: 1-line block ×3, first 2 shown]
	s_barrier_wait -1
	v_add_f32_e32 v1, v1, v39
	v_fma_f32 v43, v50, v24, -v43
	v_mul_f32_e32 v39, v36, v23
	v_fmac_f32_e32 v25, v36, v24
	global_inv scope:SCOPE_SE
	v_dual_add_f32 v40, v40, v43 :: v_dual_add_f32 v43, v26, v44
	v_fma_f32 v26, v35, v24, -v41
	v_mul_f32_e32 v23, v35, v23
	s_delay_alu instid0(VALU_DEP_1) | instskip(NEXT) | instid1(VALU_DEP_3)
	v_fmac_f32_e32 v23, v36, v22
	v_add_f32_e32 v36, v28, v26
	v_mul_f32_e32 v26, v53, v33
	v_fma_f32 v39, v35, v22, -v39
	v_mul_f32_e32 v35, v53, v31
	s_delay_alu instid0(VALU_DEP_2) | instskip(NEXT) | instid1(VALU_DEP_2)
	v_add_f32_e32 v22, v42, v39
	v_fma_f32 v24, v52, v30, -v35
	v_add_f32_e32 v35, v29, v25
	v_mul_f32_e32 v25, v37, v31
	s_delay_alu instid0(VALU_DEP_3) | instskip(SKIP_4) | instid1(VALU_DEP_4)
	v_add_f32_e32 v28, v1, v24
	v_fma_f32 v1, v52, v32, -v26
	v_mul_f32_e32 v24, v38, v31
	v_add_f32_e32 v23, v27, v23
	v_mul_f32_e32 v27, v52, v33
	v_dual_fmac_f32 v25, v38, v30 :: v_dual_add_f32 v26, v40, v1
	s_delay_alu instid0(VALU_DEP_4) | instskip(SKIP_3) | instid1(VALU_DEP_4)
	v_fma_f32 v1, v37, v30, -v24
	v_mul_f32_e32 v39, v52, v31
	v_mul_f32_e32 v31, v38, v33
	v_mul_f32_e32 v33, v37, v33
	v_dual_fmac_f32 v27, v53, v32 :: v_dual_add_f32 v24, v22, v1
	s_delay_alu instid0(VALU_DEP_4) | instskip(NEXT) | instid1(VALU_DEP_4)
	v_fmac_f32_e32 v39, v53, v30
	v_fma_f32 v30, v37, v32, -v31
	s_delay_alu instid0(VALU_DEP_4) | instskip(NEXT) | instid1(VALU_DEP_4)
	v_fmac_f32_e32 v33, v38, v32
	v_add_f32_e32 v27, v43, v27
	v_add_f32_e32 v25, v23, v25
	;; [unrolled: 1-line block ×3, first 2 shown]
	s_delay_alu instid0(VALU_DEP_4)
	v_dual_add_f32 v23, v36, v30 :: v_dual_add_f32 v22, v35, v33
	s_wait_alu 0xfffe
	s_cbranch_vccz .LBB107_15
.LBB107_7:                              ;   Parent Loop BB107_4 Depth=1
                                        ; =>  This Inner Loop Header: Depth=2
	s_wait_alu 0xfffe
	v_add_co_u32 v30, s29, v14, s24
	s_wait_alu 0xf1ff
	v_add_co_ci_u32_e64 v31, null, 0, s25, s29
	s_delay_alu instid0(VALU_DEP_1)
	v_cmp_le_i64_e32 vcc_lo, s[12:13], v[30:31]
	s_or_b32 s29, s27, vcc_lo
	s_wait_alu 0xfffe
	s_and_saveexec_b32 s30, s29
	s_wait_alu 0xfffe
	s_xor_b32 s29, exec_lo, s30
; %bb.8:                                ;   in Loop: Header=BB107_7 Depth=2
	v_mov_b32_e32 v1, v0
	ds_store_b64 v16, v[0:1]
; %bb.9:                                ;   in Loop: Header=BB107_7 Depth=2
	s_wait_alu 0xfffe
	s_and_not1_saveexec_b32 s29, s29
	s_cbranch_execz .LBB107_11
; %bb.10:                               ;   in Loop: Header=BB107_7 Depth=2
	global_load_b64 v[30:31], v[12:13], off
	s_wait_loadcnt 0x0
	ds_store_b64 v16, v[30:31]
.LBB107_11:                             ;   in Loop: Header=BB107_7 Depth=2
	s_wait_alu 0xfffe
	s_or_b32 exec_lo, exec_lo, s29
	v_add_co_u32 v30, s29, v15, s24
	s_wait_alu 0xf1ff
	v_add_co_ci_u32_e64 v31, null, 0, s25, s29
	s_delay_alu instid0(VALU_DEP_1)
	v_cmp_le_i64_e32 vcc_lo, s[12:13], v[30:31]
	s_or_b32 s29, vcc_lo, s28
	s_wait_alu 0xfffe
	s_and_saveexec_b32 s30, s29
	s_wait_alu 0xfffe
	s_xor_b32 s29, exec_lo, s30
; %bb.12:                               ;   in Loop: Header=BB107_7 Depth=2
	v_mov_b32_e32 v1, v0
	ds_store_b64 v17, v[0:1]
; %bb.13:                               ;   in Loop: Header=BB107_7 Depth=2
	s_wait_alu 0xfffe
	s_and_not1_saveexec_b32 s29, s29
	s_cbranch_execz .LBB107_6
; %bb.14:                               ;   in Loop: Header=BB107_7 Depth=2
	global_load_b64 v[30:31], v[10:11], off
	s_wait_loadcnt 0x0
	ds_store_b64 v17, v[30:31]
	s_branch .LBB107_6
.LBB107_15:                             ;   in Loop: Header=BB107_4 Depth=1
	s_mul_u64 s[24:25], s[38:39], s[6:7]
	s_and_not1_b32 vcc_lo, exec_lo, s46
	s_wait_alu 0xfffe
	s_lshl_b64 s[24:25], s[24:25], 3
	s_mov_b32 s29, -1
	s_wait_alu 0xfffe
	s_add_nc_u64 s[24:25], s[22:23], s[24:25]
	s_cbranch_vccz .LBB107_17
; %bb.16:                               ;   in Loop: Header=BB107_4 Depth=1
	s_and_not1_b32 vcc_lo, exec_lo, s29
	s_wait_alu 0xfffe
	s_cbranch_vccnz .LBB107_3
	s_branch .LBB107_28
.LBB107_17:                             ;   in Loop: Header=BB107_4 Depth=1
	s_and_saveexec_b32 s29, s0
	s_cbranch_execz .LBB107_27
; %bb.18:                               ;   in Loop: Header=BB107_4 Depth=1
	s_wait_alu 0xfffe
	v_add_co_u32 v1, vcc_lo, s24, v6
	s_wait_alu 0xfffd
	v_add_co_ci_u32_e64 v10, null, s25, v7, vcc_lo
	s_and_saveexec_b32 s30, s1
	s_cbranch_execnz .LBB107_21
; %bb.19:                               ;   in Loop: Header=BB107_4 Depth=1
	s_wait_alu 0xfffe
	s_or_b32 exec_lo, exec_lo, s30
	s_and_saveexec_b32 s30, s2
	s_cbranch_execnz .LBB107_22
.LBB107_20:                             ;   in Loop: Header=BB107_4 Depth=1
	s_wait_alu 0xfffe
	s_or_b32 exec_lo, exec_lo, s30
	s_delay_alu instid0(SALU_CYCLE_1)
	s_and_b32 exec_lo, exec_lo, s3
	s_cbranch_execnz .LBB107_23
	s_branch .LBB107_27
.LBB107_21:                             ;   in Loop: Header=BB107_4 Depth=1
	v_mul_f32_e32 v12, s14, v29
	v_mul_f32_e32 v11, s15, v29
	v_add_co_u32 v30, vcc_lo, v1, v8
	s_wait_alu 0xfffd
	v_add_co_ci_u32_e64 v31, null, v10, v9, vcc_lo
	v_fmac_f32_e32 v12, s15, v28
	v_fma_f32 v11, v28, s14, -v11
	global_store_b64 v[30:31], v[11:12], off
	s_wait_alu 0xfffe
	s_or_b32 exec_lo, exec_lo, s30
	s_and_saveexec_b32 s30, s2
	s_cbranch_execz .LBB107_20
.LBB107_22:                             ;   in Loop: Header=BB107_4 Depth=1
	v_mul_f32_e32 v12, s14, v27
	v_mul_f32_e32 v11, s15, v27
	v_add_co_u32 v30, vcc_lo, v1, v8
	s_wait_alu 0xfffd
	v_add_co_ci_u32_e64 v31, null, v10, v9, vcc_lo
	v_fmac_f32_e32 v12, s15, v26
	v_fma_f32 v11, v26, s14, -v11
	global_store_b64 v[30:31], v[11:12], off offset:128
	s_wait_alu 0xfffe
	s_or_b32 exec_lo, exec_lo, s30
	s_delay_alu instid0(SALU_CYCLE_1)
	s_and_b32 exec_lo, exec_lo, s3
	s_cbranch_execz .LBB107_27
.LBB107_23:                             ;   in Loop: Header=BB107_4 Depth=1
	s_lshl_b64 s[30:31], s[8:9], 3
	s_wait_alu 0xfffe
	v_add_co_u32 v1, vcc_lo, v1, s30
	s_wait_alu 0xfffd
	v_add_co_ci_u32_e64 v11, null, s31, v10, vcc_lo
	s_delay_alu instid0(VALU_DEP_2) | instskip(SKIP_1) | instid1(VALU_DEP_2)
	v_add_co_u32 v10, vcc_lo, v1, v8
	s_wait_alu 0xfffd
	v_add_co_ci_u32_e64 v11, null, v11, v9, vcc_lo
	s_and_saveexec_b32 s30, s1
	s_cbranch_execz .LBB107_25
; %bb.24:                               ;   in Loop: Header=BB107_4 Depth=1
	v_mul_f32_e32 v1, s15, v25
	v_mul_f32_e32 v13, s14, v25
	s_delay_alu instid0(VALU_DEP_2) | instskip(NEXT) | instid1(VALU_DEP_2)
	v_fma_f32 v12, v24, s14, -v1
	v_fmac_f32_e32 v13, s15, v24
	global_store_b64 v[10:11], v[12:13], off
.LBB107_25:                             ;   in Loop: Header=BB107_4 Depth=1
	s_wait_alu 0xfffe
	s_or_b32 exec_lo, exec_lo, s30
	s_delay_alu instid0(SALU_CYCLE_1)
	s_and_b32 exec_lo, exec_lo, s2
	s_cbranch_execz .LBB107_27
; %bb.26:                               ;   in Loop: Header=BB107_4 Depth=1
	v_mul_f32_e32 v1, s15, v22
	v_mul_f32_e32 v13, s14, v22
	s_delay_alu instid0(VALU_DEP_2) | instskip(NEXT) | instid1(VALU_DEP_2)
	v_fma_f32 v12, v23, s14, -v1
	v_fmac_f32_e32 v13, s15, v23
	global_store_b64 v[10:11], v[12:13], off offset:128
.LBB107_27:                             ;   in Loop: Header=BB107_4 Depth=1
	s_wait_alu 0xfffe
	s_or_b32 exec_lo, exec_lo, s29
	s_cbranch_execnz .LBB107_3
.LBB107_28:                             ;   in Loop: Header=BB107_4 Depth=1
	s_and_saveexec_b32 s29, s0
	s_cbranch_execz .LBB107_2
; %bb.29:                               ;   in Loop: Header=BB107_4 Depth=1
	s_mul_u64 s[30:31], s[20:21], s[6:7]
	s_wait_alu 0xfffe
	s_lshl_b64 s[30:31], s[30:31], 3
	s_wait_alu 0xfffe
	v_add_co_u32 v11, vcc_lo, v20, s30
	s_wait_alu 0xfffd
	v_add_co_ci_u32_e64 v12, null, s31, v21, vcc_lo
	v_add_co_u32 v1, vcc_lo, s24, v6
	s_wait_alu 0xfffd
	v_add_co_ci_u32_e64 v10, null, s25, v7, vcc_lo
	s_and_saveexec_b32 s24, s1
	s_cbranch_execnz .LBB107_32
; %bb.30:                               ;   in Loop: Header=BB107_4 Depth=1
	s_wait_alu 0xfffe
	s_or_b32 exec_lo, exec_lo, s24
	s_and_saveexec_b32 s24, s2
	s_cbranch_execnz .LBB107_33
.LBB107_31:                             ;   in Loop: Header=BB107_4 Depth=1
	s_wait_alu 0xfffe
	s_or_b32 exec_lo, exec_lo, s24
	s_delay_alu instid0(SALU_CYCLE_1)
	s_and_b32 exec_lo, exec_lo, s3
	s_cbranch_execz .LBB107_2
	s_branch .LBB107_34
.LBB107_32:                             ;   in Loop: Header=BB107_4 Depth=1
	v_add_co_u32 v30, vcc_lo, v11, v8
	s_wait_alu 0xfffd
	v_add_co_ci_u32_e64 v31, null, v12, v9, vcc_lo
	global_load_b64 v[30:31], v[30:31], off
	s_wait_loadcnt 0x0
	v_dual_mul_f32 v13, s15, v29 :: v_dual_mul_f32 v32, s35, v31
	v_mul_f32_e32 v31, s34, v31
	s_delay_alu instid0(VALU_DEP_2) | instskip(SKIP_1) | instid1(VALU_DEP_3)
	v_fma_f32 v13, v28, s14, -v13
	v_mul_f32_e32 v29, s14, v29
	v_fmac_f32_e32 v31, s35, v30
	s_delay_alu instid0(VALU_DEP_2) | instskip(SKIP_2) | instid1(VALU_DEP_3)
	v_fmac_f32_e32 v29, s15, v28
	v_fma_f32 v28, v30, s34, -v32
	v_add_co_u32 v30, vcc_lo, v1, v8
	v_add_f32_e32 v29, v29, v31
	s_delay_alu instid0(VALU_DEP_3)
	v_add_f32_e32 v28, v13, v28
	s_wait_alu 0xfffd
	v_add_co_ci_u32_e64 v31, null, v10, v9, vcc_lo
	global_store_b64 v[30:31], v[28:29], off
	s_wait_alu 0xfffe
	s_or_b32 exec_lo, exec_lo, s24
	s_and_saveexec_b32 s24, s2
	s_cbranch_execz .LBB107_31
.LBB107_33:                             ;   in Loop: Header=BB107_4 Depth=1
	v_add_co_u32 v28, vcc_lo, v11, v8
	s_wait_alu 0xfffd
	v_add_co_ci_u32_e64 v29, null, v12, v9, vcc_lo
	global_load_b64 v[28:29], v[28:29], off offset:128
	s_wait_loadcnt 0x0
	v_dual_mul_f32 v13, s15, v27 :: v_dual_mul_f32 v30, s35, v29
	v_mul_f32_e32 v29, s34, v29
	s_delay_alu instid0(VALU_DEP_2) | instskip(SKIP_1) | instid1(VALU_DEP_3)
	v_fma_f32 v13, v26, s14, -v13
	v_mul_f32_e32 v27, s14, v27
	v_fmac_f32_e32 v29, s35, v28
	s_delay_alu instid0(VALU_DEP_2) | instskip(SKIP_2) | instid1(VALU_DEP_2)
	v_fmac_f32_e32 v27, s15, v26
	v_fma_f32 v26, v28, s34, -v30
	v_add_co_u32 v28, vcc_lo, v1, v8
	v_dual_add_f32 v27, v27, v29 :: v_dual_add_f32 v26, v13, v26
	s_wait_alu 0xfffd
	v_add_co_ci_u32_e64 v29, null, v10, v9, vcc_lo
	global_store_b64 v[28:29], v[26:27], off offset:128
	s_wait_alu 0xfffe
	s_or_b32 exec_lo, exec_lo, s24
	s_delay_alu instid0(SALU_CYCLE_1)
	s_and_b32 exec_lo, exec_lo, s3
	s_cbranch_execz .LBB107_2
.LBB107_34:                             ;   in Loop: Header=BB107_4 Depth=1
	v_add_co_u32 v11, vcc_lo, v11, s4
	s_lshl_b64 s[24:25], s[8:9], 3
	s_wait_alu 0xfffd
	v_add_co_ci_u32_e64 v13, null, s5, v12, vcc_lo
	s_wait_alu 0xfffe
	v_add_co_u32 v1, vcc_lo, v1, s24
	s_wait_alu 0xfffd
	v_add_co_ci_u32_e64 v26, null, s25, v10, vcc_lo
	v_add_co_u32 v12, vcc_lo, v11, v8
	s_wait_alu 0xfffd
	v_add_co_ci_u32_e64 v13, null, v13, v9, vcc_lo
	v_add_co_u32 v10, vcc_lo, v1, v8
	s_wait_alu 0xfffd
	v_add_co_ci_u32_e64 v11, null, v26, v9, vcc_lo
	s_and_saveexec_b32 s24, s1
	s_cbranch_execz .LBB107_36
; %bb.35:                               ;   in Loop: Header=BB107_4 Depth=1
	global_load_b64 v[26:27], v[12:13], off
	s_wait_loadcnt 0x0
	v_dual_mul_f32 v1, s15, v25 :: v_dual_mul_f32 v28, s35, v27
	v_mul_f32_e32 v27, s34, v27
	s_delay_alu instid0(VALU_DEP_2) | instskip(SKIP_1) | instid1(VALU_DEP_3)
	v_fma_f32 v1, v24, s14, -v1
	v_mul_f32_e32 v25, s14, v25
	v_fmac_f32_e32 v27, s35, v26
	s_delay_alu instid0(VALU_DEP_2) | instskip(SKIP_1) | instid1(VALU_DEP_2)
	v_fmac_f32_e32 v25, s15, v24
	v_fma_f32 v24, v26, s34, -v28
	v_add_f32_e32 v25, v25, v27
	s_delay_alu instid0(VALU_DEP_2)
	v_add_f32_e32 v24, v1, v24
	global_store_b64 v[10:11], v[24:25], off
.LBB107_36:                             ;   in Loop: Header=BB107_4 Depth=1
	s_wait_alu 0xfffe
	s_or_b32 exec_lo, exec_lo, s24
	s_delay_alu instid0(SALU_CYCLE_1)
	s_and_b32 exec_lo, exec_lo, s2
	s_cbranch_execz .LBB107_2
; %bb.37:                               ;   in Loop: Header=BB107_4 Depth=1
	global_load_b64 v[12:13], v[12:13], off offset:128
	v_mul_f32_e32 v1, s15, v22
	v_mul_f32_e32 v22, s14, v22
	s_wait_loadcnt 0x0
	v_mul_f32_e32 v24, s35, v13
	v_mul_f32_e32 v13, s34, v13
	v_fma_f32 v1, v23, s14, -v1
	v_fmac_f32_e32 v22, s15, v23
	s_delay_alu instid0(VALU_DEP_4) | instskip(NEXT) | instid1(VALU_DEP_1)
	v_fma_f32 v23, v12, s34, -v24
	v_dual_fmac_f32 v13, s35, v12 :: v_dual_add_f32 v12, v1, v23
	s_delay_alu instid0(VALU_DEP_1)
	v_add_f32_e32 v13, v22, v13
	global_store_b64 v[10:11], v[12:13], off offset:128
	s_branch .LBB107_2
.LBB107_38:
	s_endpgm
	.section	.rodata,"a",@progbits
	.p2align	6, 0x0
	.amdhsa_kernel _ZN12_GLOBAL__N_135rocblas_gemm_batched_general_kernelI19rocblas_complex_numIfELi16ELi16ELi32ELi32ELi8ELi32ELi8ELi8ELi32ELc78ELc78EKS2_S3_S2_EEvlllT_PT11_llS6_llS4_PT12_llPT13_lli
		.amdhsa_group_segment_fixed_size 4096
		.amdhsa_private_segment_fixed_size 0
		.amdhsa_kernarg_size 140
		.amdhsa_user_sgpr_count 2
		.amdhsa_user_sgpr_dispatch_ptr 0
		.amdhsa_user_sgpr_queue_ptr 0
		.amdhsa_user_sgpr_kernarg_segment_ptr 1
		.amdhsa_user_sgpr_dispatch_id 0
		.amdhsa_user_sgpr_private_segment_size 0
		.amdhsa_wavefront_size32 1
		.amdhsa_uses_dynamic_stack 0
		.amdhsa_enable_private_segment 0
		.amdhsa_system_sgpr_workgroup_id_x 1
		.amdhsa_system_sgpr_workgroup_id_y 1
		.amdhsa_system_sgpr_workgroup_id_z 1
		.amdhsa_system_sgpr_workgroup_info 0
		.amdhsa_system_vgpr_workitem_id 1
		.amdhsa_next_free_vgpr 67
		.amdhsa_next_free_sgpr 47
		.amdhsa_reserve_vcc 1
		.amdhsa_float_round_mode_32 0
		.amdhsa_float_round_mode_16_64 0
		.amdhsa_float_denorm_mode_32 3
		.amdhsa_float_denorm_mode_16_64 3
		.amdhsa_fp16_overflow 0
		.amdhsa_workgroup_processor_mode 1
		.amdhsa_memory_ordered 1
		.amdhsa_forward_progress 1
		.amdhsa_inst_pref_size 27
		.amdhsa_round_robin_scheduling 0
		.amdhsa_exception_fp_ieee_invalid_op 0
		.amdhsa_exception_fp_denorm_src 0
		.amdhsa_exception_fp_ieee_div_zero 0
		.amdhsa_exception_fp_ieee_overflow 0
		.amdhsa_exception_fp_ieee_underflow 0
		.amdhsa_exception_fp_ieee_inexact 0
		.amdhsa_exception_int_div_zero 0
	.end_amdhsa_kernel
	.section	.text._ZN12_GLOBAL__N_135rocblas_gemm_batched_general_kernelI19rocblas_complex_numIfELi16ELi16ELi32ELi32ELi8ELi32ELi8ELi8ELi32ELc78ELc78EKS2_S3_S2_EEvlllT_PT11_llS6_llS4_PT12_llPT13_lli,"axG",@progbits,_ZN12_GLOBAL__N_135rocblas_gemm_batched_general_kernelI19rocblas_complex_numIfELi16ELi16ELi32ELi32ELi8ELi32ELi8ELi8ELi32ELc78ELc78EKS2_S3_S2_EEvlllT_PT11_llS6_llS4_PT12_llPT13_lli,comdat
.Lfunc_end107:
	.size	_ZN12_GLOBAL__N_135rocblas_gemm_batched_general_kernelI19rocblas_complex_numIfELi16ELi16ELi32ELi32ELi8ELi32ELi8ELi8ELi32ELc78ELc78EKS2_S3_S2_EEvlllT_PT11_llS6_llS4_PT12_llPT13_lli, .Lfunc_end107-_ZN12_GLOBAL__N_135rocblas_gemm_batched_general_kernelI19rocblas_complex_numIfELi16ELi16ELi32ELi32ELi8ELi32ELi8ELi8ELi32ELc78ELc78EKS2_S3_S2_EEvlllT_PT11_llS6_llS4_PT12_llPT13_lli
                                        ; -- End function
	.set _ZN12_GLOBAL__N_135rocblas_gemm_batched_general_kernelI19rocblas_complex_numIfELi16ELi16ELi32ELi32ELi8ELi32ELi8ELi8ELi32ELc78ELc78EKS2_S3_S2_EEvlllT_PT11_llS6_llS4_PT12_llPT13_lli.num_vgpr, 67
	.set _ZN12_GLOBAL__N_135rocblas_gemm_batched_general_kernelI19rocblas_complex_numIfELi16ELi16ELi32ELi32ELi8ELi32ELi8ELi8ELi32ELc78ELc78EKS2_S3_S2_EEvlllT_PT11_llS6_llS4_PT12_llPT13_lli.num_agpr, 0
	.set _ZN12_GLOBAL__N_135rocblas_gemm_batched_general_kernelI19rocblas_complex_numIfELi16ELi16ELi32ELi32ELi8ELi32ELi8ELi8ELi32ELc78ELc78EKS2_S3_S2_EEvlllT_PT11_llS6_llS4_PT12_llPT13_lli.numbered_sgpr, 47
	.set _ZN12_GLOBAL__N_135rocblas_gemm_batched_general_kernelI19rocblas_complex_numIfELi16ELi16ELi32ELi32ELi8ELi32ELi8ELi8ELi32ELc78ELc78EKS2_S3_S2_EEvlllT_PT11_llS6_llS4_PT12_llPT13_lli.num_named_barrier, 0
	.set _ZN12_GLOBAL__N_135rocblas_gemm_batched_general_kernelI19rocblas_complex_numIfELi16ELi16ELi32ELi32ELi8ELi32ELi8ELi8ELi32ELc78ELc78EKS2_S3_S2_EEvlllT_PT11_llS6_llS4_PT12_llPT13_lli.private_seg_size, 0
	.set _ZN12_GLOBAL__N_135rocblas_gemm_batched_general_kernelI19rocblas_complex_numIfELi16ELi16ELi32ELi32ELi8ELi32ELi8ELi8ELi32ELc78ELc78EKS2_S3_S2_EEvlllT_PT11_llS6_llS4_PT12_llPT13_lli.uses_vcc, 1
	.set _ZN12_GLOBAL__N_135rocblas_gemm_batched_general_kernelI19rocblas_complex_numIfELi16ELi16ELi32ELi32ELi8ELi32ELi8ELi8ELi32ELc78ELc78EKS2_S3_S2_EEvlllT_PT11_llS6_llS4_PT12_llPT13_lli.uses_flat_scratch, 0
	.set _ZN12_GLOBAL__N_135rocblas_gemm_batched_general_kernelI19rocblas_complex_numIfELi16ELi16ELi32ELi32ELi8ELi32ELi8ELi8ELi32ELc78ELc78EKS2_S3_S2_EEvlllT_PT11_llS6_llS4_PT12_llPT13_lli.has_dyn_sized_stack, 0
	.set _ZN12_GLOBAL__N_135rocblas_gemm_batched_general_kernelI19rocblas_complex_numIfELi16ELi16ELi32ELi32ELi8ELi32ELi8ELi8ELi32ELc78ELc78EKS2_S3_S2_EEvlllT_PT11_llS6_llS4_PT12_llPT13_lli.has_recursion, 0
	.set _ZN12_GLOBAL__N_135rocblas_gemm_batched_general_kernelI19rocblas_complex_numIfELi16ELi16ELi32ELi32ELi8ELi32ELi8ELi8ELi32ELc78ELc78EKS2_S3_S2_EEvlllT_PT11_llS6_llS4_PT12_llPT13_lli.has_indirect_call, 0
	.section	.AMDGPU.csdata,"",@progbits
; Kernel info:
; codeLenInByte = 3456
; TotalNumSgprs: 49
; NumVgprs: 67
; ScratchSize: 0
; MemoryBound: 1
; FloatMode: 240
; IeeeMode: 1
; LDSByteSize: 4096 bytes/workgroup (compile time only)
; SGPRBlocks: 0
; VGPRBlocks: 8
; NumSGPRsForWavesPerEU: 49
; NumVGPRsForWavesPerEU: 67
; Occupancy: 16
; WaveLimiterHint : 0
; COMPUTE_PGM_RSRC2:SCRATCH_EN: 0
; COMPUTE_PGM_RSRC2:USER_SGPR: 2
; COMPUTE_PGM_RSRC2:TRAP_HANDLER: 0
; COMPUTE_PGM_RSRC2:TGID_X_EN: 1
; COMPUTE_PGM_RSRC2:TGID_Y_EN: 1
; COMPUTE_PGM_RSRC2:TGID_Z_EN: 1
; COMPUTE_PGM_RSRC2:TIDIG_COMP_CNT: 1
	.section	.text._ZN12_GLOBAL__N_135rocblas_gemm_batched_general_kernelI19rocblas_complex_numIfELi16ELi16ELi32ELi32ELi8ELi32ELi8ELi8ELi32ELc84ELc78EKS2_S3_S2_EEvlllT_PT11_llS6_llS4_PT12_llPT13_lli,"axG",@progbits,_ZN12_GLOBAL__N_135rocblas_gemm_batched_general_kernelI19rocblas_complex_numIfELi16ELi16ELi32ELi32ELi8ELi32ELi8ELi8ELi32ELc84ELc78EKS2_S3_S2_EEvlllT_PT11_llS6_llS4_PT12_llPT13_lli,comdat
	.globl	_ZN12_GLOBAL__N_135rocblas_gemm_batched_general_kernelI19rocblas_complex_numIfELi16ELi16ELi32ELi32ELi8ELi32ELi8ELi8ELi32ELc84ELc78EKS2_S3_S2_EEvlllT_PT11_llS6_llS4_PT12_llPT13_lli ; -- Begin function _ZN12_GLOBAL__N_135rocblas_gemm_batched_general_kernelI19rocblas_complex_numIfELi16ELi16ELi32ELi32ELi8ELi32ELi8ELi8ELi32ELc84ELc78EKS2_S3_S2_EEvlllT_PT11_llS6_llS4_PT12_llPT13_lli
	.p2align	8
	.type	_ZN12_GLOBAL__N_135rocblas_gemm_batched_general_kernelI19rocblas_complex_numIfELi16ELi16ELi32ELi32ELi8ELi32ELi8ELi8ELi32ELc84ELc78EKS2_S3_S2_EEvlllT_PT11_llS6_llS4_PT12_llPT13_lli,@function
_ZN12_GLOBAL__N_135rocblas_gemm_batched_general_kernelI19rocblas_complex_numIfELi16ELi16ELi32ELi32ELi8ELi32ELi8ELi8ELi32ELc84ELc78EKS2_S3_S2_EEvlllT_PT11_llS6_llS4_PT12_llPT13_lli: ; @_ZN12_GLOBAL__N_135rocblas_gemm_batched_general_kernelI19rocblas_complex_numIfELi16ELi16ELi32ELi32ELi8ELi32ELi8ELi8ELi32ELc84ELc78EKS2_S3_S2_EEvlllT_PT11_llS6_llS4_PT12_llPT13_lli
; %bb.0:
	s_load_b32 s33, s[0:1], 0x88
	s_lshr_b32 s6, ttmp7, 16
	s_wait_kmcnt 0x0
	s_cmp_ge_i32 s6, s33
	s_cbranch_scc1 .LBB108_38
; %bb.1:
	v_bfe_u32 v5, v0, 10, 10
	v_and_b32_e32 v10, 0x3ff, v0
	s_clause 0x2
	s_load_b256 s[8:15], s[0:1], 0x0
	s_load_b256 s[24:31], s[0:1], 0x20
	s_load_b128 s[36:39], s[0:1], 0x78
	s_mov_b32 s2, ttmp9
	s_clause 0x1
	s_load_b128 s[40:43], s[0:1], 0x40
	s_load_b64 s[34:35], s[0:1], 0x50
	s_ashr_i32 s3, ttmp9, 31
	v_lshl_add_u32 v1, v5, 4, v10
	v_and_b32_e32 v15, 7, v0
	s_lshl_b64 s[44:45], s[2:3], 5
	s_load_b256 s[16:23], s[0:1], 0x58
	s_and_b32 s0, ttmp7, 0xffff
	v_dual_mov_b32 v2, s45 :: v_dual_and_b32 v3, 31, v1
	v_lshrrev_b32_e32 v0, 3, v1
	s_lshl_b32 s0, s0, 5
	v_lshrrev_b32_e32 v14, 5, v1
	s_delay_alu instid0(VALU_DEP_3)
	v_or_b32_e32 v1, s44, v3
	v_lshlrev_b32_e32 v6, 3, v3
	v_add_co_u32 v3, s1, v0, s0
	v_lshlrev_b32_e32 v25, 3, v15
	s_wait_alu 0xf1ff
	v_add_co_ci_u32_e64 v4, null, 0, 0, s1
	v_lshl_or_b32 v16, v14, 8, v6
	s_wait_kmcnt 0x0
	v_mad_co_u64_u32 v[12:13], null, s40, v3, 0
	v_lshl_or_b32 v7, v0, 6, v25
	v_cmp_gt_i64_e64 s4, s[10:11], v[3:4]
	v_add_co_u32 v4, s0, s0, v5
	v_cmp_gt_i64_e32 vcc_lo, s[8:9], v[1:2]
	s_delay_alu instid0(VALU_DEP_4) | instskip(SKIP_1) | instid1(VALU_DEP_3)
	v_add_nc_u32_e32 v17, 0x800, v7
	s_or_b32 s1, s34, s35
	v_mad_co_u64_u32 v[6:7], null, v4, s36, 0
	v_mad_co_u64_u32 v[8:9], null, v4, s18, 0
	s_wait_alu 0xfffe
	s_bitset0_b32 s1, 31
	v_lshl_add_u32 v19, v5, 6, 0x800
	s_wait_alu 0xfffe
	s_cmp_eq_u32 s1, 0
	v_add_co_ci_u32_e64 v5, null, 0, 0, s0
	s_delay_alu instid0(VALU_DEP_3) | instskip(SKIP_1) | instid1(VALU_DEP_3)
	v_dual_mov_b32 v2, v7 :: v_dual_mov_b32 v7, v9
	v_mov_b32_e32 v0, 0
	v_cmp_gt_i64_e64 s0, s[10:11], v[4:5]
	s_cselect_b32 s46, -1, 0
	v_mad_co_u64_u32 v[22:23], null, v4, s37, v[2:3]
	v_lshlrev_b32_e32 v18, 3, v10
	v_add_co_u32 v10, s1, s44, v10
	v_mov_b32_e32 v2, v13
	s_wait_alu 0xf1ff
	v_add_co_ci_u32_e64 v11, null, s45, 0, s1
	s_delay_alu instid0(VALU_DEP_3)
	v_add_co_u32 v20, s1, v10, 16
	v_mad_co_u64_u32 v[23:24], null, v4, s19, v[7:8]
	v_mad_co_u64_u32 v[2:3], null, s41, v3, v[2:3]
	s_wait_alu 0xf1ff
	v_add_co_ci_u32_e64 v21, null, 0, v11, s1
	v_add_co_u32 v4, s1, v4, 16
	s_wait_alu 0xf1ff
	v_add_co_ci_u32_e64 v5, null, 0, v5, s1
	v_mov_b32_e32 v9, v23
	v_mov_b32_e32 v13, v2
	v_cmp_gt_i64_e64 s2, s[8:9], v[20:21]
	s_delay_alu instid0(VALU_DEP_4)
	v_cmp_gt_i64_e64 s3, s[10:11], v[4:5]
	v_mul_lo_u32 v5, s27, v1
	v_mad_co_u64_u32 v[1:2], null, s26, v1, 0
	v_lshlrev_b64_e32 v[3:4], 3, v[8:9]
	v_lshlrev_b64_e32 v[8:9], 3, v[12:13]
	s_mul_i32 s10, s26, s45
	v_mov_b32_e32 v7, v22
	v_cmp_gt_i64_e64 s1, s[8:9], v[10:11]
	s_lshl_b64 s[18:19], s[18:19], 4
	s_wait_alu 0xfffe
	v_add3_u32 v2, v2, s10, v5
	v_add_co_u32 v20, s5, s16, v3
	s_delay_alu instid0(VALU_DEP_1) | instskip(SKIP_1) | instid1(VALU_DEP_4)
	v_add_co_ci_u32_e64 v21, null, s17, v4, s5
	v_add_co_u32 v3, s5, v8, v25
	v_lshlrev_b64_e32 v[4:5], 3, v[1:2]
	s_wait_alu 0xf1ff
	v_add_co_ci_u32_e64 v8, null, 0, v9, s5
	v_lshlrev_b32_e32 v1, 3, v14
	v_add_co_u32 v2, s5, s30, v3
	s_wait_alu 0xf1ff
	s_delay_alu instid0(VALU_DEP_3) | instskip(NEXT) | instid1(VALU_DEP_3)
	v_add_co_ci_u32_e64 v3, null, s31, v8, s5
	v_add_co_u32 v1, s5, v4, v1
	s_wait_alu 0xf1ff
	v_add_co_ci_u32_e64 v5, null, 0, v5, s5
	v_lshlrev_b64_e32 v[6:7], 3, v[6:7]
	s_delay_alu instid0(VALU_DEP_3)
	v_add_co_u32 v4, s5, s24, v1
	v_cmp_gt_i64_e64 s24, s[12:13], 0
	v_lshlrev_b64_e32 v[8:9], 3, v[10:11]
	s_wait_alu 0xf1ff
	v_add_co_ci_u32_e64 v5, null, s25, v5, s5
	s_mov_b32 s7, 0
	s_lshl_b64 s[8:9], s[36:37], 4
	s_lshl_b64 s[10:11], s[42:43], 3
	s_lshl_b64 s[16:17], s[28:29], 3
	s_xor_b32 s25, vcc_lo, -1
	s_xor_b32 s26, s4, -1
	s_lshl_b64 s[4:5], s[18:19], 3
	s_branch .LBB108_4
.LBB108_2:                              ;   in Loop: Header=BB108_4 Depth=1
	s_wait_alu 0xfffe
	s_or_b32 exec_lo, exec_lo, s27
.LBB108_3:                              ;   in Loop: Header=BB108_4 Depth=1
	s_add_co_i32 s6, s6, 0x10000
	s_wait_alu 0xfffe
	s_cmp_lt_i32 s6, s33
	s_cbranch_scc0 .LBB108_38
.LBB108_4:                              ; =>This Loop Header: Depth=1
                                        ;     Child Loop BB108_7 Depth 2
	v_dual_mov_b32 v28, v0 :: v_dual_mov_b32 v29, v0
	v_dual_mov_b32 v26, v0 :: v_dual_mov_b32 v27, v0
	;; [unrolled: 1-line block ×4, first 2 shown]
	s_and_not1_b32 vcc_lo, exec_lo, s24
	s_wait_alu 0xfffe
	s_cbranch_vccnz .LBB108_15
; %bb.5:                                ;   in Loop: Header=BB108_4 Depth=1
	v_mad_co_u64_u32 v[10:11], null, s10, s6, v[2:3]
	v_mad_co_u64_u32 v[12:13], null, s16, s6, v[4:5]
	v_dual_mov_b32 v23, 0 :: v_dual_mov_b32 v26, 0
	v_mov_b32_e32 v25, 0
	v_mov_b32_e32 v27, 0
	v_dual_mov_b32 v1, v11 :: v_dual_mov_b32 v22, 0
	v_dual_mov_b32 v11, v13 :: v_dual_mov_b32 v24, 0
	s_mov_b64 s[18:19], 0
	s_delay_alu instid0(VALU_DEP_2) | instskip(NEXT) | instid1(VALU_DEP_2)
	v_mad_co_u64_u32 v[28:29], null, s11, s6, v[1:2]
	v_mad_co_u64_u32 v[30:31], null, s17, s6, v[11:12]
	v_mov_b32_e32 v29, 0
	s_delay_alu instid0(VALU_DEP_3) | instskip(NEXT) | instid1(VALU_DEP_3)
	v_dual_mov_b32 v11, v28 :: v_dual_mov_b32 v28, 0
	v_mov_b32_e32 v13, v30
	s_branch .LBB108_7
.LBB108_6:                              ;   in Loop: Header=BB108_7 Depth=2
	s_wait_alu 0xfffe
	s_or_b32 exec_lo, exec_lo, s27
	s_wait_dscnt 0x0
	s_barrier_signal -1
	s_barrier_wait -1
	global_inv scope:SCOPE_SE
	ds_load_b128 v[30:33], v19
	ds_load_2addr_b64 v[34:37], v18 offset1:16
	ds_load_b128 v[38:41], v19 offset:1024
	ds_load_b128 v[42:45], v19 offset:16
	;; [unrolled: 1-line block ×4, first 2 shown]
	ds_load_2addr_b64 v[54:57], v18 offset0:32 offset1:48
	ds_load_b128 v[58:61], v19 offset:1040
	s_add_nc_u64 s[18:19], s[18:19], 8
	v_add_co_u32 v10, vcc_lo, v10, 64
	s_wait_alu 0xfffe
	v_cmp_lt_i64_e64 s27, s[18:19], s[12:13]
	s_wait_alu 0xfffd
	v_add_co_ci_u32_e64 v11, null, 0, v11, vcc_lo
	v_add_co_u32 v12, vcc_lo, v12, 64
	s_wait_alu 0xfffd
	v_add_co_ci_u32_e64 v13, null, 0, v13, vcc_lo
	s_and_b32 vcc_lo, exec_lo, s27
	s_wait_dscnt 0x6
	v_dual_mul_f32 v1, v31, v35 :: v_dual_mul_f32 v64, v30, v37
	v_dual_mul_f32 v62, v30, v35 :: v_dual_mul_f32 v63, v31, v37
	s_wait_dscnt 0x5
	v_mul_f32_e32 v66, v39, v37
	s_delay_alu instid0(VALU_DEP_3) | instskip(SKIP_3) | instid1(VALU_DEP_4)
	v_fma_f32 v1, v30, v34, -v1
	v_dual_mul_f32 v37, v38, v37 :: v_dual_fmac_f32 v64, v31, v36
	v_fmac_f32_e32 v62, v31, v34
	v_fma_f32 v30, v30, v36, -v63
	v_add_f32_e32 v1, v28, v1
	v_mul_f32_e32 v65, v39, v35
	s_delay_alu instid0(VALU_DEP_4) | instskip(NEXT) | instid1(VALU_DEP_4)
	v_dual_mul_f32 v35, v38, v35 :: v_dual_add_f32 v28, v29, v62
	v_add_f32_e32 v29, v26, v30
	v_fmac_f32_e32 v37, v39, v36
	s_delay_alu instid0(VALU_DEP_4) | instskip(NEXT) | instid1(VALU_DEP_4)
	v_fma_f32 v31, v38, v34, -v65
	v_fmac_f32_e32 v35, v39, v34
	v_fma_f32 v34, v38, v36, -v66
	s_wait_dscnt 0x1
	v_dual_mul_f32 v36, v32, v55 :: v_dual_add_f32 v27, v27, v64
	v_mul_f32_e32 v38, v33, v57
	v_add_f32_e32 v30, v24, v31
	v_dual_add_f32 v31, v25, v35 :: v_dual_add_f32 v34, v23, v34
	ds_load_2addr_b64 v[23:26], v18 offset0:64 offset1:80
	v_fmac_f32_e32 v36, v33, v54
	v_dual_mul_f32 v35, v33, v55 :: v_dual_add_f32 v22, v22, v37
	v_mul_f32_e32 v37, v32, v57
	s_delay_alu instid0(VALU_DEP_3) | instskip(NEXT) | instid1(VALU_DEP_3)
	v_add_f32_e32 v36, v28, v36
	v_fma_f32 v35, v32, v54, -v35
	v_fma_f32 v32, v32, v56, -v38
	v_mul_f32_e32 v28, v40, v55
	s_delay_alu instid0(VALU_DEP_3) | instskip(SKIP_1) | instid1(VALU_DEP_4)
	v_add_f32_e32 v1, v1, v35
	v_mul_f32_e32 v35, v41, v55
	v_add_f32_e32 v32, v29, v32
	v_fmac_f32_e32 v37, v33, v56
	v_mul_f32_e32 v33, v41, v57
	v_fmac_f32_e32 v28, v41, v54
	v_fma_f32 v29, v40, v54, -v35
	s_delay_alu instid0(VALU_DEP_4) | instskip(SKIP_4) | instid1(VALU_DEP_3)
	v_add_f32_e32 v35, v27, v37
	v_mul_f32_e32 v37, v40, v57
	v_fma_f32 v27, v40, v56, -v33
	s_wait_dscnt 0x0
	v_dual_add_f32 v38, v30, v29 :: v_dual_mul_f32 v29, v43, v24
	v_dual_mul_f32 v40, v43, v26 :: v_dual_fmac_f32 v37, v41, v56
	v_mul_f32_e32 v33, v42, v24
	v_add_f32_e32 v34, v34, v27
	s_delay_alu instid0(VALU_DEP_3) | instskip(SKIP_3) | instid1(VALU_DEP_2)
	v_add_f32_e32 v37, v22, v37
	v_mul_f32_e32 v22, v42, v26
	v_fma_f32 v39, v42, v23, -v29
	v_fmac_f32_e32 v33, v43, v23
	v_dual_fmac_f32 v22, v43, v25 :: v_dual_add_f32 v1, v1, v39
	v_fma_f32 v39, v42, v25, -v40
	v_add_f32_e32 v31, v31, v28
	ds_load_2addr_b64 v[27:30], v18 offset0:96 offset1:112
	v_dual_add_f32 v33, v36, v33 :: v_dual_mul_f32 v36, v59, v24
	v_mul_f32_e32 v24, v58, v24
	v_dual_add_f32 v32, v32, v39 :: v_dual_mul_f32 v39, v59, v26
	v_mul_f32_e32 v26, v58, v26
	s_delay_alu instid0(VALU_DEP_4) | instskip(NEXT) | instid1(VALU_DEP_4)
	v_fma_f32 v36, v58, v23, -v36
	v_fmac_f32_e32 v24, v59, v23
	v_add_f32_e32 v35, v35, v22
	v_fma_f32 v22, v58, v25, -v39
	v_fmac_f32_e32 v26, v59, v25
	v_add_f32_e32 v36, v38, v36
	s_delay_alu instid0(VALU_DEP_3)
	v_dual_add_f32 v38, v31, v24 :: v_dual_add_f32 v39, v34, v22
	ds_load_2addr_b64 v[22:25], v18 offset0:128 offset1:144
	s_wait_dscnt 0x1
	v_mul_f32_e32 v31, v45, v28
	v_mul_f32_e32 v34, v44, v28
	v_mul_f32_e32 v40, v45, v30
	v_mul_f32_e32 v43, v61, v30
	s_delay_alu instid0(VALU_DEP_4) | instskip(NEXT) | instid1(VALU_DEP_4)
	v_fma_f32 v31, v44, v27, -v31
	v_fmac_f32_e32 v34, v45, v27
	s_delay_alu instid0(VALU_DEP_2) | instskip(SKIP_1) | instid1(VALU_DEP_3)
	v_add_f32_e32 v1, v1, v31
	v_mul_f32_e32 v31, v61, v28
	v_dual_mul_f32 v28, v60, v28 :: v_dual_add_f32 v41, v33, v34
	s_delay_alu instid0(VALU_DEP_2) | instskip(NEXT) | instid1(VALU_DEP_2)
	v_fma_f32 v42, v60, v27, -v31
	v_fmac_f32_e32 v28, v61, v27
	s_wait_dscnt 0x0
	v_mul_f32_e32 v27, v47, v23
	v_fma_f32 v40, v44, v29, -v40
	v_add_f32_e32 v37, v37, v26
	v_mul_f32_e32 v26, v44, v30
	v_mul_f32_e32 v54, v46, v25
	s_delay_alu instid0(VALU_DEP_4) | instskip(SKIP_2) | instid1(VALU_DEP_1)
	v_add_f32_e32 v40, v32, v40
	ds_load_b128 v[31:34], v19 offset:1056
	v_dual_fmac_f32 v26, v45, v29 :: v_dual_mul_f32 v45, v46, v23
	v_add_f32_e32 v44, v35, v26
	v_fma_f32 v26, v60, v29, -v43
	v_fma_f32 v35, v46, v22, -v27
	v_mul_f32_e32 v30, v60, v30
	v_fmac_f32_e32 v45, v47, v22
	v_add_f32_e32 v42, v36, v42
	v_add_f32_e32 v39, v39, v26
	;; [unrolled: 1-line block ×4, first 2 shown]
	v_fmac_f32_e32 v30, v61, v29
	ds_load_2addr_b64 v[26:29], v18 offset0:160 offset1:176
	v_mul_f32_e32 v36, v47, v25
	v_add_f32_e32 v41, v41, v45
	v_add_f32_e32 v30, v37, v30
	s_delay_alu instid0(VALU_DEP_3)
	v_fma_f32 v46, v46, v24, -v36
	ds_load_b128 v[35:38], v19 offset:1072
	s_wait_dscnt 0x2
	v_mul_f32_e32 v55, v32, v23
	v_dual_mul_f32 v23, v31, v23 :: v_dual_add_f32 v40, v40, v46
	v_fmac_f32_e32 v54, v47, v24
	v_mul_f32_e32 v46, v32, v25
	s_delay_alu instid0(VALU_DEP_4) | instskip(NEXT) | instid1(VALU_DEP_4)
	v_fma_f32 v45, v31, v22, -v55
	v_fmac_f32_e32 v23, v32, v22
	s_delay_alu instid0(VALU_DEP_4) | instskip(SKIP_1) | instid1(VALU_DEP_3)
	v_dual_mul_f32 v47, v31, v25 :: v_dual_add_f32 v44, v44, v54
	s_wait_dscnt 0x1
	v_dual_add_f32 v42, v42, v45 :: v_dual_mul_f32 v25, v49, v27
	v_fma_f32 v22, v31, v24, -v46
	v_add_f32_e32 v31, v43, v23
	v_fmac_f32_e32 v47, v32, v24
	v_mul_f32_e32 v32, v48, v27
	v_fma_f32 v43, v48, v26, -v25
	v_add_f32_e32 v39, v39, v22
	ds_load_2addr_b64 v[22:25], v18 offset0:192 offset1:208
	v_fmac_f32_e32 v32, v49, v26
	v_dual_mul_f32 v45, v49, v29 :: v_dual_add_f32 v46, v30, v47
	v_dual_add_f32 v1, v1, v43 :: v_dual_mul_f32 v30, v48, v29
	s_delay_alu instid0(VALU_DEP_3) | instskip(NEXT) | instid1(VALU_DEP_3)
	v_dual_add_f32 v41, v41, v32 :: v_dual_mul_f32 v32, v34, v27
	v_fma_f32 v43, v48, v28, -v45
	s_delay_alu instid0(VALU_DEP_3) | instskip(NEXT) | instid1(VALU_DEP_3)
	v_fmac_f32_e32 v30, v49, v28
	v_fma_f32 v32, v33, v26, -v32
	s_delay_alu instid0(VALU_DEP_3) | instskip(SKIP_1) | instid1(VALU_DEP_3)
	v_dual_add_f32 v40, v40, v43 :: v_dual_mul_f32 v43, v34, v29
	v_mul_f32_e32 v27, v33, v27
	v_dual_mul_f32 v29, v33, v29 :: v_dual_add_f32 v42, v42, v32
	s_delay_alu instid0(VALU_DEP_2) | instskip(SKIP_2) | instid1(VALU_DEP_4)
	v_fmac_f32_e32 v27, v34, v26
	v_add_f32_e32 v26, v44, v30
	v_fma_f32 v30, v33, v28, -v43
	v_fmac_f32_e32 v29, v34, v28
	s_wait_dscnt 0x0
	v_mul_f32_e32 v34, v50, v23
	v_dual_add_f32 v27, v31, v27 :: v_dual_mul_f32 v44, v50, v25
	v_add_f32_e32 v28, v39, v30
	ds_load_2addr_b64 v[30:33], v18 offset0:224 offset1:240
	v_dual_add_f32 v29, v46, v29 :: v_dual_fmac_f32 v34, v51, v22
	v_mul_f32_e32 v43, v51, v23
	v_fmac_f32_e32 v44, v51, v24
	s_wait_loadcnt_dscnt 0x0
	s_barrier_signal -1
	v_add_f32_e32 v34, v41, v34
	v_fma_f32 v39, v50, v22, -v43
	v_mul_f32_e32 v43, v51, v25
	v_mul_f32_e32 v41, v36, v25
	;; [unrolled: 1-line block ×3, first 2 shown]
	s_barrier_wait -1
	v_add_f32_e32 v1, v1, v39
	v_fma_f32 v43, v50, v24, -v43
	v_mul_f32_e32 v39, v36, v23
	v_fmac_f32_e32 v25, v36, v24
	global_inv scope:SCOPE_SE
	v_dual_add_f32 v40, v40, v43 :: v_dual_add_f32 v43, v26, v44
	v_fma_f32 v26, v35, v24, -v41
	v_mul_f32_e32 v23, v35, v23
	s_delay_alu instid0(VALU_DEP_1) | instskip(NEXT) | instid1(VALU_DEP_3)
	v_fmac_f32_e32 v23, v36, v22
	v_add_f32_e32 v36, v28, v26
	v_mul_f32_e32 v26, v53, v33
	v_fma_f32 v39, v35, v22, -v39
	v_mul_f32_e32 v35, v53, v31
	s_delay_alu instid0(VALU_DEP_2) | instskip(NEXT) | instid1(VALU_DEP_2)
	v_add_f32_e32 v22, v42, v39
	v_fma_f32 v24, v52, v30, -v35
	v_add_f32_e32 v35, v29, v25
	v_mul_f32_e32 v25, v37, v31
	s_delay_alu instid0(VALU_DEP_3) | instskip(SKIP_4) | instid1(VALU_DEP_4)
	v_add_f32_e32 v28, v1, v24
	v_fma_f32 v1, v52, v32, -v26
	v_mul_f32_e32 v24, v38, v31
	v_add_f32_e32 v23, v27, v23
	v_mul_f32_e32 v27, v52, v33
	v_dual_fmac_f32 v25, v38, v30 :: v_dual_add_f32 v26, v40, v1
	s_delay_alu instid0(VALU_DEP_4) | instskip(SKIP_3) | instid1(VALU_DEP_4)
	v_fma_f32 v1, v37, v30, -v24
	v_mul_f32_e32 v39, v52, v31
	v_mul_f32_e32 v31, v38, v33
	;; [unrolled: 1-line block ×3, first 2 shown]
	v_dual_fmac_f32 v27, v53, v32 :: v_dual_add_f32 v24, v22, v1
	s_delay_alu instid0(VALU_DEP_4) | instskip(NEXT) | instid1(VALU_DEP_4)
	v_fmac_f32_e32 v39, v53, v30
	v_fma_f32 v30, v37, v32, -v31
	s_delay_alu instid0(VALU_DEP_4) | instskip(NEXT) | instid1(VALU_DEP_4)
	v_fmac_f32_e32 v33, v38, v32
	v_add_f32_e32 v27, v43, v27
	v_add_f32_e32 v25, v23, v25
	;; [unrolled: 1-line block ×3, first 2 shown]
	s_delay_alu instid0(VALU_DEP_4)
	v_dual_add_f32 v23, v36, v30 :: v_dual_add_f32 v22, v35, v33
	s_wait_alu 0xfffe
	s_cbranch_vccz .LBB108_15
.LBB108_7:                              ;   Parent Loop BB108_4 Depth=1
                                        ; =>  This Inner Loop Header: Depth=2
	s_wait_alu 0xfffe
	v_add_co_u32 v30, s27, v14, s18
	s_wait_alu 0xf1ff
	v_add_co_ci_u32_e64 v31, null, 0, s19, s27
	s_delay_alu instid0(VALU_DEP_1)
	v_cmp_le_i64_e32 vcc_lo, s[12:13], v[30:31]
	s_or_b32 s27, s25, vcc_lo
	s_wait_alu 0xfffe
	s_and_saveexec_b32 s28, s27
	s_wait_alu 0xfffe
	s_xor_b32 s27, exec_lo, s28
; %bb.8:                                ;   in Loop: Header=BB108_7 Depth=2
	v_mov_b32_e32 v1, v0
	ds_store_b64 v16, v[0:1]
; %bb.9:                                ;   in Loop: Header=BB108_7 Depth=2
	s_wait_alu 0xfffe
	s_and_not1_saveexec_b32 s27, s27
	s_cbranch_execz .LBB108_11
; %bb.10:                               ;   in Loop: Header=BB108_7 Depth=2
	global_load_b64 v[30:31], v[12:13], off
	s_wait_loadcnt 0x0
	ds_store_b64 v16, v[30:31]
.LBB108_11:                             ;   in Loop: Header=BB108_7 Depth=2
	s_wait_alu 0xfffe
	s_or_b32 exec_lo, exec_lo, s27
	v_add_co_u32 v30, s27, v15, s18
	s_wait_alu 0xf1ff
	v_add_co_ci_u32_e64 v31, null, 0, s19, s27
	s_delay_alu instid0(VALU_DEP_1)
	v_cmp_le_i64_e32 vcc_lo, s[12:13], v[30:31]
	s_or_b32 s27, vcc_lo, s26
	s_wait_alu 0xfffe
	s_and_saveexec_b32 s28, s27
	s_wait_alu 0xfffe
	s_xor_b32 s27, exec_lo, s28
; %bb.12:                               ;   in Loop: Header=BB108_7 Depth=2
	v_mov_b32_e32 v1, v0
	ds_store_b64 v17, v[0:1]
; %bb.13:                               ;   in Loop: Header=BB108_7 Depth=2
	s_wait_alu 0xfffe
	s_and_not1_saveexec_b32 s27, s27
	s_cbranch_execz .LBB108_6
; %bb.14:                               ;   in Loop: Header=BB108_7 Depth=2
	global_load_b64 v[30:31], v[10:11], off
	s_wait_loadcnt 0x0
	ds_store_b64 v17, v[30:31]
	s_branch .LBB108_6
.LBB108_15:                             ;   in Loop: Header=BB108_4 Depth=1
	s_mul_u64 s[18:19], s[38:39], s[6:7]
	s_and_not1_b32 vcc_lo, exec_lo, s46
	s_wait_alu 0xfffe
	s_lshl_b64 s[18:19], s[18:19], 3
	s_mov_b32 s27, -1
	s_wait_alu 0xfffe
	s_add_nc_u64 s[18:19], s[22:23], s[18:19]
	s_cbranch_vccz .LBB108_17
; %bb.16:                               ;   in Loop: Header=BB108_4 Depth=1
	s_and_not1_b32 vcc_lo, exec_lo, s27
	s_wait_alu 0xfffe
	s_cbranch_vccnz .LBB108_3
	s_branch .LBB108_28
.LBB108_17:                             ;   in Loop: Header=BB108_4 Depth=1
	s_and_saveexec_b32 s27, s0
	s_cbranch_execz .LBB108_27
; %bb.18:                               ;   in Loop: Header=BB108_4 Depth=1
	s_wait_alu 0xfffe
	v_add_co_u32 v1, vcc_lo, s18, v6
	s_wait_alu 0xfffd
	v_add_co_ci_u32_e64 v10, null, s19, v7, vcc_lo
	s_and_saveexec_b32 s28, s1
	s_cbranch_execnz .LBB108_21
; %bb.19:                               ;   in Loop: Header=BB108_4 Depth=1
	s_wait_alu 0xfffe
	s_or_b32 exec_lo, exec_lo, s28
	s_and_saveexec_b32 s28, s2
	s_cbranch_execnz .LBB108_22
.LBB108_20:                             ;   in Loop: Header=BB108_4 Depth=1
	s_wait_alu 0xfffe
	s_or_b32 exec_lo, exec_lo, s28
	s_delay_alu instid0(SALU_CYCLE_1)
	s_and_b32 exec_lo, exec_lo, s3
	s_cbranch_execnz .LBB108_23
	s_branch .LBB108_27
.LBB108_21:                             ;   in Loop: Header=BB108_4 Depth=1
	v_mul_f32_e32 v12, s14, v29
	v_mul_f32_e32 v11, s15, v29
	v_add_co_u32 v30, vcc_lo, v1, v8
	s_wait_alu 0xfffd
	v_add_co_ci_u32_e64 v31, null, v10, v9, vcc_lo
	v_fmac_f32_e32 v12, s15, v28
	v_fma_f32 v11, v28, s14, -v11
	global_store_b64 v[30:31], v[11:12], off
	s_wait_alu 0xfffe
	s_or_b32 exec_lo, exec_lo, s28
	s_and_saveexec_b32 s28, s2
	s_cbranch_execz .LBB108_20
.LBB108_22:                             ;   in Loop: Header=BB108_4 Depth=1
	v_mul_f32_e32 v12, s14, v27
	v_mul_f32_e32 v11, s15, v27
	v_add_co_u32 v30, vcc_lo, v1, v8
	s_wait_alu 0xfffd
	v_add_co_ci_u32_e64 v31, null, v10, v9, vcc_lo
	v_fmac_f32_e32 v12, s15, v26
	v_fma_f32 v11, v26, s14, -v11
	global_store_b64 v[30:31], v[11:12], off offset:128
	s_wait_alu 0xfffe
	s_or_b32 exec_lo, exec_lo, s28
	s_delay_alu instid0(SALU_CYCLE_1)
	s_and_b32 exec_lo, exec_lo, s3
	s_cbranch_execz .LBB108_27
.LBB108_23:                             ;   in Loop: Header=BB108_4 Depth=1
	s_lshl_b64 s[28:29], s[8:9], 3
	s_wait_alu 0xfffe
	v_add_co_u32 v1, vcc_lo, v1, s28
	s_wait_alu 0xfffd
	v_add_co_ci_u32_e64 v11, null, s29, v10, vcc_lo
	s_delay_alu instid0(VALU_DEP_2) | instskip(SKIP_1) | instid1(VALU_DEP_2)
	v_add_co_u32 v10, vcc_lo, v1, v8
	s_wait_alu 0xfffd
	v_add_co_ci_u32_e64 v11, null, v11, v9, vcc_lo
	s_and_saveexec_b32 s28, s1
	s_cbranch_execz .LBB108_25
; %bb.24:                               ;   in Loop: Header=BB108_4 Depth=1
	v_mul_f32_e32 v1, s15, v25
	v_mul_f32_e32 v13, s14, v25
	s_delay_alu instid0(VALU_DEP_2) | instskip(NEXT) | instid1(VALU_DEP_2)
	v_fma_f32 v12, v24, s14, -v1
	v_fmac_f32_e32 v13, s15, v24
	global_store_b64 v[10:11], v[12:13], off
.LBB108_25:                             ;   in Loop: Header=BB108_4 Depth=1
	s_wait_alu 0xfffe
	s_or_b32 exec_lo, exec_lo, s28
	s_delay_alu instid0(SALU_CYCLE_1)
	s_and_b32 exec_lo, exec_lo, s2
	s_cbranch_execz .LBB108_27
; %bb.26:                               ;   in Loop: Header=BB108_4 Depth=1
	v_mul_f32_e32 v1, s15, v22
	v_mul_f32_e32 v13, s14, v22
	s_delay_alu instid0(VALU_DEP_2) | instskip(NEXT) | instid1(VALU_DEP_2)
	v_fma_f32 v12, v23, s14, -v1
	v_fmac_f32_e32 v13, s15, v23
	global_store_b64 v[10:11], v[12:13], off offset:128
.LBB108_27:                             ;   in Loop: Header=BB108_4 Depth=1
	s_wait_alu 0xfffe
	s_or_b32 exec_lo, exec_lo, s27
	s_cbranch_execnz .LBB108_3
.LBB108_28:                             ;   in Loop: Header=BB108_4 Depth=1
	s_and_saveexec_b32 s27, s0
	s_cbranch_execz .LBB108_2
; %bb.29:                               ;   in Loop: Header=BB108_4 Depth=1
	s_mul_u64 s[28:29], s[20:21], s[6:7]
	s_wait_alu 0xfffe
	s_lshl_b64 s[28:29], s[28:29], 3
	s_wait_alu 0xfffe
	v_add_co_u32 v11, vcc_lo, v20, s28
	s_wait_alu 0xfffd
	v_add_co_ci_u32_e64 v12, null, s29, v21, vcc_lo
	v_add_co_u32 v1, vcc_lo, s18, v6
	s_wait_alu 0xfffd
	v_add_co_ci_u32_e64 v10, null, s19, v7, vcc_lo
	s_and_saveexec_b32 s18, s1
	s_cbranch_execnz .LBB108_32
; %bb.30:                               ;   in Loop: Header=BB108_4 Depth=1
	s_wait_alu 0xfffe
	s_or_b32 exec_lo, exec_lo, s18
	s_and_saveexec_b32 s18, s2
	s_cbranch_execnz .LBB108_33
.LBB108_31:                             ;   in Loop: Header=BB108_4 Depth=1
	s_wait_alu 0xfffe
	s_or_b32 exec_lo, exec_lo, s18
	s_delay_alu instid0(SALU_CYCLE_1)
	s_and_b32 exec_lo, exec_lo, s3
	s_cbranch_execz .LBB108_2
	s_branch .LBB108_34
.LBB108_32:                             ;   in Loop: Header=BB108_4 Depth=1
	v_add_co_u32 v30, vcc_lo, v11, v8
	s_wait_alu 0xfffd
	v_add_co_ci_u32_e64 v31, null, v12, v9, vcc_lo
	global_load_b64 v[30:31], v[30:31], off
	s_wait_loadcnt 0x0
	v_dual_mul_f32 v13, s15, v29 :: v_dual_mul_f32 v32, s35, v31
	v_mul_f32_e32 v31, s34, v31
	s_delay_alu instid0(VALU_DEP_2) | instskip(SKIP_1) | instid1(VALU_DEP_3)
	v_fma_f32 v13, v28, s14, -v13
	v_mul_f32_e32 v29, s14, v29
	v_fmac_f32_e32 v31, s35, v30
	s_delay_alu instid0(VALU_DEP_2) | instskip(SKIP_2) | instid1(VALU_DEP_3)
	v_fmac_f32_e32 v29, s15, v28
	v_fma_f32 v28, v30, s34, -v32
	v_add_co_u32 v30, vcc_lo, v1, v8
	v_add_f32_e32 v29, v29, v31
	s_delay_alu instid0(VALU_DEP_3)
	v_add_f32_e32 v28, v13, v28
	s_wait_alu 0xfffd
	v_add_co_ci_u32_e64 v31, null, v10, v9, vcc_lo
	global_store_b64 v[30:31], v[28:29], off
	s_wait_alu 0xfffe
	s_or_b32 exec_lo, exec_lo, s18
	s_and_saveexec_b32 s18, s2
	s_cbranch_execz .LBB108_31
.LBB108_33:                             ;   in Loop: Header=BB108_4 Depth=1
	v_add_co_u32 v28, vcc_lo, v11, v8
	s_wait_alu 0xfffd
	v_add_co_ci_u32_e64 v29, null, v12, v9, vcc_lo
	global_load_b64 v[28:29], v[28:29], off offset:128
	s_wait_loadcnt 0x0
	v_dual_mul_f32 v13, s15, v27 :: v_dual_mul_f32 v30, s35, v29
	v_mul_f32_e32 v29, s34, v29
	s_delay_alu instid0(VALU_DEP_2) | instskip(SKIP_1) | instid1(VALU_DEP_3)
	v_fma_f32 v13, v26, s14, -v13
	v_mul_f32_e32 v27, s14, v27
	v_fmac_f32_e32 v29, s35, v28
	s_delay_alu instid0(VALU_DEP_2) | instskip(SKIP_2) | instid1(VALU_DEP_2)
	v_fmac_f32_e32 v27, s15, v26
	v_fma_f32 v26, v28, s34, -v30
	v_add_co_u32 v28, vcc_lo, v1, v8
	v_dual_add_f32 v27, v27, v29 :: v_dual_add_f32 v26, v13, v26
	s_wait_alu 0xfffd
	v_add_co_ci_u32_e64 v29, null, v10, v9, vcc_lo
	global_store_b64 v[28:29], v[26:27], off offset:128
	s_wait_alu 0xfffe
	s_or_b32 exec_lo, exec_lo, s18
	s_delay_alu instid0(SALU_CYCLE_1)
	s_and_b32 exec_lo, exec_lo, s3
	s_cbranch_execz .LBB108_2
.LBB108_34:                             ;   in Loop: Header=BB108_4 Depth=1
	v_add_co_u32 v11, vcc_lo, v11, s4
	s_lshl_b64 s[18:19], s[8:9], 3
	s_wait_alu 0xfffd
	v_add_co_ci_u32_e64 v13, null, s5, v12, vcc_lo
	s_wait_alu 0xfffe
	v_add_co_u32 v1, vcc_lo, v1, s18
	s_wait_alu 0xfffd
	v_add_co_ci_u32_e64 v26, null, s19, v10, vcc_lo
	v_add_co_u32 v12, vcc_lo, v11, v8
	s_wait_alu 0xfffd
	v_add_co_ci_u32_e64 v13, null, v13, v9, vcc_lo
	;; [unrolled: 3-line block ×3, first 2 shown]
	s_and_saveexec_b32 s18, s1
	s_cbranch_execz .LBB108_36
; %bb.35:                               ;   in Loop: Header=BB108_4 Depth=1
	global_load_b64 v[26:27], v[12:13], off
	s_wait_loadcnt 0x0
	v_dual_mul_f32 v1, s15, v25 :: v_dual_mul_f32 v28, s35, v27
	v_mul_f32_e32 v27, s34, v27
	s_delay_alu instid0(VALU_DEP_2) | instskip(SKIP_1) | instid1(VALU_DEP_3)
	v_fma_f32 v1, v24, s14, -v1
	v_mul_f32_e32 v25, s14, v25
	v_fmac_f32_e32 v27, s35, v26
	s_delay_alu instid0(VALU_DEP_2) | instskip(SKIP_1) | instid1(VALU_DEP_2)
	v_fmac_f32_e32 v25, s15, v24
	v_fma_f32 v24, v26, s34, -v28
	v_add_f32_e32 v25, v25, v27
	s_delay_alu instid0(VALU_DEP_2)
	v_add_f32_e32 v24, v1, v24
	global_store_b64 v[10:11], v[24:25], off
.LBB108_36:                             ;   in Loop: Header=BB108_4 Depth=1
	s_wait_alu 0xfffe
	s_or_b32 exec_lo, exec_lo, s18
	s_delay_alu instid0(SALU_CYCLE_1)
	s_and_b32 exec_lo, exec_lo, s2
	s_cbranch_execz .LBB108_2
; %bb.37:                               ;   in Loop: Header=BB108_4 Depth=1
	global_load_b64 v[12:13], v[12:13], off offset:128
	v_mul_f32_e32 v1, s15, v22
	v_mul_f32_e32 v22, s14, v22
	s_wait_loadcnt 0x0
	v_mul_f32_e32 v24, s35, v13
	v_mul_f32_e32 v13, s34, v13
	v_fma_f32 v1, v23, s14, -v1
	v_fmac_f32_e32 v22, s15, v23
	s_delay_alu instid0(VALU_DEP_4) | instskip(NEXT) | instid1(VALU_DEP_1)
	v_fma_f32 v23, v12, s34, -v24
	v_dual_fmac_f32 v13, s35, v12 :: v_dual_add_f32 v12, v1, v23
	s_delay_alu instid0(VALU_DEP_1)
	v_add_f32_e32 v13, v22, v13
	global_store_b64 v[10:11], v[12:13], off offset:128
	s_branch .LBB108_2
.LBB108_38:
	s_endpgm
	.section	.rodata,"a",@progbits
	.p2align	6, 0x0
	.amdhsa_kernel _ZN12_GLOBAL__N_135rocblas_gemm_batched_general_kernelI19rocblas_complex_numIfELi16ELi16ELi32ELi32ELi8ELi32ELi8ELi8ELi32ELc84ELc78EKS2_S3_S2_EEvlllT_PT11_llS6_llS4_PT12_llPT13_lli
		.amdhsa_group_segment_fixed_size 4096
		.amdhsa_private_segment_fixed_size 0
		.amdhsa_kernarg_size 140
		.amdhsa_user_sgpr_count 2
		.amdhsa_user_sgpr_dispatch_ptr 0
		.amdhsa_user_sgpr_queue_ptr 0
		.amdhsa_user_sgpr_kernarg_segment_ptr 1
		.amdhsa_user_sgpr_dispatch_id 0
		.amdhsa_user_sgpr_private_segment_size 0
		.amdhsa_wavefront_size32 1
		.amdhsa_uses_dynamic_stack 0
		.amdhsa_enable_private_segment 0
		.amdhsa_system_sgpr_workgroup_id_x 1
		.amdhsa_system_sgpr_workgroup_id_y 1
		.amdhsa_system_sgpr_workgroup_id_z 1
		.amdhsa_system_sgpr_workgroup_info 0
		.amdhsa_system_vgpr_workitem_id 1
		.amdhsa_next_free_vgpr 67
		.amdhsa_next_free_sgpr 47
		.amdhsa_reserve_vcc 1
		.amdhsa_float_round_mode_32 0
		.amdhsa_float_round_mode_16_64 0
		.amdhsa_float_denorm_mode_32 3
		.amdhsa_float_denorm_mode_16_64 3
		.amdhsa_fp16_overflow 0
		.amdhsa_workgroup_processor_mode 1
		.amdhsa_memory_ordered 1
		.amdhsa_forward_progress 1
		.amdhsa_inst_pref_size 28
		.amdhsa_round_robin_scheduling 0
		.amdhsa_exception_fp_ieee_invalid_op 0
		.amdhsa_exception_fp_denorm_src 0
		.amdhsa_exception_fp_ieee_div_zero 0
		.amdhsa_exception_fp_ieee_overflow 0
		.amdhsa_exception_fp_ieee_underflow 0
		.amdhsa_exception_fp_ieee_inexact 0
		.amdhsa_exception_int_div_zero 0
	.end_amdhsa_kernel
	.section	.text._ZN12_GLOBAL__N_135rocblas_gemm_batched_general_kernelI19rocblas_complex_numIfELi16ELi16ELi32ELi32ELi8ELi32ELi8ELi8ELi32ELc84ELc78EKS2_S3_S2_EEvlllT_PT11_llS6_llS4_PT12_llPT13_lli,"axG",@progbits,_ZN12_GLOBAL__N_135rocblas_gemm_batched_general_kernelI19rocblas_complex_numIfELi16ELi16ELi32ELi32ELi8ELi32ELi8ELi8ELi32ELc84ELc78EKS2_S3_S2_EEvlllT_PT11_llS6_llS4_PT12_llPT13_lli,comdat
.Lfunc_end108:
	.size	_ZN12_GLOBAL__N_135rocblas_gemm_batched_general_kernelI19rocblas_complex_numIfELi16ELi16ELi32ELi32ELi8ELi32ELi8ELi8ELi32ELc84ELc78EKS2_S3_S2_EEvlllT_PT11_llS6_llS4_PT12_llPT13_lli, .Lfunc_end108-_ZN12_GLOBAL__N_135rocblas_gemm_batched_general_kernelI19rocblas_complex_numIfELi16ELi16ELi32ELi32ELi8ELi32ELi8ELi8ELi32ELc84ELc78EKS2_S3_S2_EEvlllT_PT11_llS6_llS4_PT12_llPT13_lli
                                        ; -- End function
	.set _ZN12_GLOBAL__N_135rocblas_gemm_batched_general_kernelI19rocblas_complex_numIfELi16ELi16ELi32ELi32ELi8ELi32ELi8ELi8ELi32ELc84ELc78EKS2_S3_S2_EEvlllT_PT11_llS6_llS4_PT12_llPT13_lli.num_vgpr, 67
	.set _ZN12_GLOBAL__N_135rocblas_gemm_batched_general_kernelI19rocblas_complex_numIfELi16ELi16ELi32ELi32ELi8ELi32ELi8ELi8ELi32ELc84ELc78EKS2_S3_S2_EEvlllT_PT11_llS6_llS4_PT12_llPT13_lli.num_agpr, 0
	.set _ZN12_GLOBAL__N_135rocblas_gemm_batched_general_kernelI19rocblas_complex_numIfELi16ELi16ELi32ELi32ELi8ELi32ELi8ELi8ELi32ELc84ELc78EKS2_S3_S2_EEvlllT_PT11_llS6_llS4_PT12_llPT13_lli.numbered_sgpr, 47
	.set _ZN12_GLOBAL__N_135rocblas_gemm_batched_general_kernelI19rocblas_complex_numIfELi16ELi16ELi32ELi32ELi8ELi32ELi8ELi8ELi32ELc84ELc78EKS2_S3_S2_EEvlllT_PT11_llS6_llS4_PT12_llPT13_lli.num_named_barrier, 0
	.set _ZN12_GLOBAL__N_135rocblas_gemm_batched_general_kernelI19rocblas_complex_numIfELi16ELi16ELi32ELi32ELi8ELi32ELi8ELi8ELi32ELc84ELc78EKS2_S3_S2_EEvlllT_PT11_llS6_llS4_PT12_llPT13_lli.private_seg_size, 0
	.set _ZN12_GLOBAL__N_135rocblas_gemm_batched_general_kernelI19rocblas_complex_numIfELi16ELi16ELi32ELi32ELi8ELi32ELi8ELi8ELi32ELc84ELc78EKS2_S3_S2_EEvlllT_PT11_llS6_llS4_PT12_llPT13_lli.uses_vcc, 1
	.set _ZN12_GLOBAL__N_135rocblas_gemm_batched_general_kernelI19rocblas_complex_numIfELi16ELi16ELi32ELi32ELi8ELi32ELi8ELi8ELi32ELc84ELc78EKS2_S3_S2_EEvlllT_PT11_llS6_llS4_PT12_llPT13_lli.uses_flat_scratch, 0
	.set _ZN12_GLOBAL__N_135rocblas_gemm_batched_general_kernelI19rocblas_complex_numIfELi16ELi16ELi32ELi32ELi8ELi32ELi8ELi8ELi32ELc84ELc78EKS2_S3_S2_EEvlllT_PT11_llS6_llS4_PT12_llPT13_lli.has_dyn_sized_stack, 0
	.set _ZN12_GLOBAL__N_135rocblas_gemm_batched_general_kernelI19rocblas_complex_numIfELi16ELi16ELi32ELi32ELi8ELi32ELi8ELi8ELi32ELc84ELc78EKS2_S3_S2_EEvlllT_PT11_llS6_llS4_PT12_llPT13_lli.has_recursion, 0
	.set _ZN12_GLOBAL__N_135rocblas_gemm_batched_general_kernelI19rocblas_complex_numIfELi16ELi16ELi32ELi32ELi8ELi32ELi8ELi8ELi32ELc84ELc78EKS2_S3_S2_EEvlllT_PT11_llS6_llS4_PT12_llPT13_lli.has_indirect_call, 0
	.section	.AMDGPU.csdata,"",@progbits
; Kernel info:
; codeLenInByte = 3468
; TotalNumSgprs: 49
; NumVgprs: 67
; ScratchSize: 0
; MemoryBound: 1
; FloatMode: 240
; IeeeMode: 1
; LDSByteSize: 4096 bytes/workgroup (compile time only)
; SGPRBlocks: 0
; VGPRBlocks: 8
; NumSGPRsForWavesPerEU: 49
; NumVGPRsForWavesPerEU: 67
; Occupancy: 16
; WaveLimiterHint : 0
; COMPUTE_PGM_RSRC2:SCRATCH_EN: 0
; COMPUTE_PGM_RSRC2:USER_SGPR: 2
; COMPUTE_PGM_RSRC2:TRAP_HANDLER: 0
; COMPUTE_PGM_RSRC2:TGID_X_EN: 1
; COMPUTE_PGM_RSRC2:TGID_Y_EN: 1
; COMPUTE_PGM_RSRC2:TGID_Z_EN: 1
; COMPUTE_PGM_RSRC2:TIDIG_COMP_CNT: 1
	.section	.text._ZN12_GLOBAL__N_135rocblas_gemm_batched_general_kernelI19rocblas_complex_numIfELi16ELi16ELi32ELi32ELi8ELi32ELi8ELi8ELi32ELc78ELc84EKS2_S3_S2_EEvlllT_PT11_llS6_llS4_PT12_llPT13_lli,"axG",@progbits,_ZN12_GLOBAL__N_135rocblas_gemm_batched_general_kernelI19rocblas_complex_numIfELi16ELi16ELi32ELi32ELi8ELi32ELi8ELi8ELi32ELc78ELc84EKS2_S3_S2_EEvlllT_PT11_llS6_llS4_PT12_llPT13_lli,comdat
	.globl	_ZN12_GLOBAL__N_135rocblas_gemm_batched_general_kernelI19rocblas_complex_numIfELi16ELi16ELi32ELi32ELi8ELi32ELi8ELi8ELi32ELc78ELc84EKS2_S3_S2_EEvlllT_PT11_llS6_llS4_PT12_llPT13_lli ; -- Begin function _ZN12_GLOBAL__N_135rocblas_gemm_batched_general_kernelI19rocblas_complex_numIfELi16ELi16ELi32ELi32ELi8ELi32ELi8ELi8ELi32ELc78ELc84EKS2_S3_S2_EEvlllT_PT11_llS6_llS4_PT12_llPT13_lli
	.p2align	8
	.type	_ZN12_GLOBAL__N_135rocblas_gemm_batched_general_kernelI19rocblas_complex_numIfELi16ELi16ELi32ELi32ELi8ELi32ELi8ELi8ELi32ELc78ELc84EKS2_S3_S2_EEvlllT_PT11_llS6_llS4_PT12_llPT13_lli,@function
_ZN12_GLOBAL__N_135rocblas_gemm_batched_general_kernelI19rocblas_complex_numIfELi16ELi16ELi32ELi32ELi8ELi32ELi8ELi8ELi32ELc78ELc84EKS2_S3_S2_EEvlllT_PT11_llS6_llS4_PT12_llPT13_lli: ; @_ZN12_GLOBAL__N_135rocblas_gemm_batched_general_kernelI19rocblas_complex_numIfELi16ELi16ELi32ELi32ELi8ELi32ELi8ELi8ELi32ELc78ELc84EKS2_S3_S2_EEvlllT_PT11_llS6_llS4_PT12_llPT13_lli
; %bb.0:
	s_load_b32 s33, s[0:1], 0x88
	s_lshr_b32 s6, ttmp7, 16
	s_wait_kmcnt 0x0
	s_cmp_ge_i32 s6, s33
	s_cbranch_scc1 .LBB109_38
; %bb.1:
	v_bfe_u32 v5, v0, 10, 10
	v_and_b32_e32 v8, 0x3ff, v0
	s_clause 0x2
	s_load_b256 s[8:15], s[0:1], 0x0
	s_load_b256 s[24:31], s[0:1], 0x20
	s_load_b128 s[36:39], s[0:1], 0x78
	s_mov_b32 s44, ttmp9
	s_ashr_i32 s45, ttmp9, 31
	s_load_b256 s[16:23], s[0:1], 0x58
	v_lshl_add_u32 v25, v5, 4, v8
	v_and_b32_e32 v15, 7, v0
	s_lshl_b64 s[2:3], s[44:45], 5
	s_clause 0x1
	s_load_b128 s[40:43], s[0:1], 0x40
	s_load_b64 s[34:35], s[0:1], 0x50
	v_dual_mov_b32 v2, s3 :: v_dual_and_b32 v3, 31, v25
	v_lshrrev_b32_e32 v0, 3, v25
	v_lshlrev_b32_e32 v6, 3, v15
	s_and_b32 s47, ttmp7, 0xffff
	v_lshl_add_u32 v19, v5, 6, 0x800
	v_or_b32_e32 v1, s2, v3
	s_lshl_b32 s0, s47, 5
	v_lshlrev_b32_e32 v26, 3, v3
	v_add_co_u32 v3, s1, v0, s0
	v_lshl_or_b32 v6, v0, 6, v6
	s_wait_kmcnt 0x0
	v_cmp_gt_i64_e32 vcc_lo, s[8:9], v[1:2]
	v_add_co_u32 v1, s0, s0, v5
	s_wait_alu 0xf1ff
	v_add_co_ci_u32_e64 v4, null, 0, 0, s1
	v_add_nc_u32_e32 v17, 0x800, v6
	s_delay_alu instid0(VALU_DEP_3) | instskip(NEXT) | instid1(VALU_DEP_3)
	v_mad_co_u64_u32 v[6:7], null, v1, s36, 0
	v_cmp_gt_i64_e64 s4, s[10:11], v[3:4]
	v_mad_co_u64_u32 v[4:5], null, v1, s18, 0
	s_or_b32 s1, s34, s35
	v_mov_b32_e32 v0, 0
	s_wait_alu 0xfffe
	s_bitset0_b32 s1, 31
	v_mov_b32_e32 v3, v7
	s_wait_alu 0xfffe
	s_cmp_eq_u32 s1, 0
	v_mad_co_u64_u32 v[10:11], null, s40, v15, 0
	v_add_co_ci_u32_e64 v2, null, 0, 0, s0
	v_mad_co_u64_u32 v[20:21], null, v1, s37, v[3:4]
	v_lshlrev_b32_e32 v18, 3, v8
	v_add_co_u32 v8, s1, s2, v8
	s_wait_alu 0xf1ff
	v_add_co_ci_u32_e64 v9, null, s3, 0, s1
	v_mov_b32_e32 v3, v5
	s_delay_alu instid0(VALU_DEP_3) | instskip(SKIP_1) | instid1(VALU_DEP_3)
	v_add_co_u32 v12, s1, v8, 16
	s_wait_alu 0xf1ff
	v_add_co_ci_u32_e64 v13, null, 0, v9, s1
	v_add_co_u32 v21, s1, v1, 16
	v_cmp_gt_i64_e64 s0, s[10:11], v[1:2]
	v_mov_b32_e32 v5, v11
	s_wait_alu 0xf1ff
	v_add_co_ci_u32_e64 v22, null, 0, v2, s1
	v_mad_co_u64_u32 v[1:2], null, v1, s19, v[3:4]
	v_lshrrev_b32_e32 v14, 5, v25
	v_mad_co_u64_u32 v[2:3], null, s41, v15, v[5:6]
	v_mov_b32_e32 v7, v20
	s_cselect_b32 s46, -1, 0
	s_delay_alu instid0(VALU_DEP_3)
	v_mad_co_u64_u32 v[23:24], null, s26, v14, 0
	v_mov_b32_e32 v5, v1
	v_cmp_gt_i64_e64 s3, s[10:11], v[21:22]
	v_mov_b32_e32 v11, v2
	s_lshl_b64 s[10:11], s[44:45], 8
	v_cmp_gt_i64_e64 s1, s[8:9], v[8:9]
	v_lshlrev_b64_e32 v[2:3], 3, v[4:5]
	v_mov_b32_e32 v1, v24
	v_lshlrev_b64_e32 v[4:5], 3, v[10:11]
	v_cmp_gt_i64_e64 s2, s[8:9], v[12:13]
	s_lshl_b64 s[8:9], s[36:37], 4
	s_lshl_b64 s[36:37], s[18:19], 4
	v_mad_co_u64_u32 v[10:11], null, s27, v14, v[1:2]
	v_add_co_u32 v20, s5, s16, v2
	s_delay_alu instid0(VALU_DEP_1)
	v_add_co_ci_u32_e64 v21, null, s17, v3, s5
	s_lshl_b32 s5, s47, 8
	v_and_b32_e32 v1, 0x1ff8, v25
	s_wait_alu 0xfffe
	v_add_co_u32 v2, s5, v4, s5
	v_mov_b32_e32 v24, v10
	s_wait_alu 0xf1ff
	v_add_co_ci_u32_e64 v3, null, 0, v5, s5
	s_delay_alu instid0(VALU_DEP_3) | instskip(NEXT) | instid1(VALU_DEP_3)
	v_add_co_u32 v1, s5, v2, v1
	v_lshlrev_b64_e32 v[4:5], 3, v[23:24]
	s_wait_alu 0xf1ff
	s_delay_alu instid0(VALU_DEP_3) | instskip(NEXT) | instid1(VALU_DEP_3)
	v_add_co_ci_u32_e64 v3, null, 0, v3, s5
	v_add_co_u32 v2, s5, s30, v1
	s_lshl_b64 s[18:19], s[28:29], 3
	s_wait_alu 0xf1ff
	v_add_co_ci_u32_e64 v3, null, s31, v3, s5
	v_add_co_u32 v1, s5, v4, s10
	s_wait_alu 0xf1ff
	v_add_co_ci_u32_e64 v4, null, s11, v5, s5
	v_cmp_gt_i64_e64 s28, s[12:13], 0
	s_delay_alu instid0(VALU_DEP_3) | instskip(SKIP_1) | instid1(VALU_DEP_3)
	v_add_co_u32 v1, s5, v1, v26
	s_wait_alu 0xf1ff
	v_add_co_ci_u32_e64 v5, null, 0, v4, s5
	v_lshlrev_b64_e32 v[6:7], 3, v[6:7]
	s_delay_alu instid0(VALU_DEP_3)
	v_add_co_u32 v4, s5, s24, v1
	v_lshlrev_b64_e32 v[8:9], 3, v[8:9]
	v_lshl_or_b32 v16, v14, 8, v26
	s_wait_alu 0xf1ff
	v_add_co_ci_u32_e64 v5, null, s25, v5, s5
	s_mov_b32 s7, 0
	s_lshl_b64 s[10:11], s[42:43], 3
	s_lshl_b64 s[16:17], s[40:41], 6
	;; [unrolled: 1-line block ×3, first 2 shown]
	s_xor_b32 s29, vcc_lo, -1
	s_xor_b32 s30, s4, -1
	s_lshl_b64 s[4:5], s[36:37], 3
	s_branch .LBB109_4
.LBB109_2:                              ;   in Loop: Header=BB109_4 Depth=1
	s_wait_alu 0xfffe
	s_or_b32 exec_lo, exec_lo, s31
.LBB109_3:                              ;   in Loop: Header=BB109_4 Depth=1
	s_add_co_i32 s6, s6, 0x10000
	s_wait_alu 0xfffe
	s_cmp_lt_i32 s6, s33
	s_cbranch_scc0 .LBB109_38
.LBB109_4:                              ; =>This Loop Header: Depth=1
                                        ;     Child Loop BB109_7 Depth 2
	v_dual_mov_b32 v28, v0 :: v_dual_mov_b32 v29, v0
	v_dual_mov_b32 v26, v0 :: v_dual_mov_b32 v27, v0
	;; [unrolled: 1-line block ×4, first 2 shown]
	s_and_not1_b32 vcc_lo, exec_lo, s28
	s_wait_alu 0xfffe
	s_cbranch_vccnz .LBB109_15
; %bb.5:                                ;   in Loop: Header=BB109_4 Depth=1
	v_mad_co_u64_u32 v[10:11], null, s10, s6, v[2:3]
	v_mad_co_u64_u32 v[12:13], null, s18, s6, v[4:5]
	v_dual_mov_b32 v23, 0 :: v_dual_mov_b32 v26, 0
	v_mov_b32_e32 v25, 0
	v_mov_b32_e32 v27, 0
	v_dual_mov_b32 v1, v11 :: v_dual_mov_b32 v22, 0
	v_dual_mov_b32 v11, v13 :: v_dual_mov_b32 v24, 0
	s_mov_b64 s[26:27], 0
	s_delay_alu instid0(VALU_DEP_2) | instskip(NEXT) | instid1(VALU_DEP_2)
	v_mad_co_u64_u32 v[28:29], null, s11, s6, v[1:2]
	v_mad_co_u64_u32 v[30:31], null, s19, s6, v[11:12]
	v_mov_b32_e32 v29, 0
	s_delay_alu instid0(VALU_DEP_3) | instskip(NEXT) | instid1(VALU_DEP_3)
	v_dual_mov_b32 v11, v28 :: v_dual_mov_b32 v28, 0
	v_mov_b32_e32 v13, v30
	s_branch .LBB109_7
.LBB109_6:                              ;   in Loop: Header=BB109_7 Depth=2
	s_wait_alu 0xfffe
	s_or_b32 exec_lo, exec_lo, s31
	s_wait_dscnt 0x0
	s_barrier_signal -1
	s_barrier_wait -1
	global_inv scope:SCOPE_SE
	ds_load_b128 v[30:33], v19
	ds_load_2addr_b64 v[34:37], v18 offset1:16
	ds_load_b128 v[38:41], v19 offset:1024
	ds_load_b128 v[42:45], v19 offset:16
	;; [unrolled: 1-line block ×4, first 2 shown]
	ds_load_2addr_b64 v[54:57], v18 offset0:32 offset1:48
	ds_load_b128 v[58:61], v19 offset:1040
	s_add_nc_u64 s[26:27], s[26:27], 8
	v_add_co_u32 v10, vcc_lo, v10, s16
	s_wait_alu 0xfffe
	v_cmp_lt_i64_e64 s31, s[26:27], s[12:13]
	s_wait_alu 0xfffd
	v_add_co_ci_u32_e64 v11, null, s17, v11, vcc_lo
	v_add_co_u32 v12, vcc_lo, v12, s24
	s_wait_alu 0xfffd
	v_add_co_ci_u32_e64 v13, null, s25, v13, vcc_lo
	s_and_b32 vcc_lo, exec_lo, s31
	s_wait_dscnt 0x6
	v_dual_mul_f32 v1, v31, v35 :: v_dual_mul_f32 v64, v30, v37
	v_dual_mul_f32 v62, v30, v35 :: v_dual_mul_f32 v63, v31, v37
	s_wait_dscnt 0x5
	v_mul_f32_e32 v66, v39, v37
	s_delay_alu instid0(VALU_DEP_3) | instskip(SKIP_3) | instid1(VALU_DEP_4)
	v_fma_f32 v1, v30, v34, -v1
	v_dual_mul_f32 v37, v38, v37 :: v_dual_fmac_f32 v64, v31, v36
	v_fmac_f32_e32 v62, v31, v34
	v_fma_f32 v30, v30, v36, -v63
	v_add_f32_e32 v1, v28, v1
	v_mul_f32_e32 v65, v39, v35
	s_delay_alu instid0(VALU_DEP_4) | instskip(NEXT) | instid1(VALU_DEP_4)
	v_dual_mul_f32 v35, v38, v35 :: v_dual_add_f32 v28, v29, v62
	v_add_f32_e32 v29, v26, v30
	v_fmac_f32_e32 v37, v39, v36
	s_delay_alu instid0(VALU_DEP_4) | instskip(NEXT) | instid1(VALU_DEP_4)
	v_fma_f32 v31, v38, v34, -v65
	v_fmac_f32_e32 v35, v39, v34
	v_fma_f32 v34, v38, v36, -v66
	s_wait_dscnt 0x1
	v_dual_mul_f32 v36, v32, v55 :: v_dual_add_f32 v27, v27, v64
	v_mul_f32_e32 v38, v33, v57
	v_add_f32_e32 v30, v24, v31
	v_dual_add_f32 v31, v25, v35 :: v_dual_add_f32 v34, v23, v34
	ds_load_2addr_b64 v[23:26], v18 offset0:64 offset1:80
	v_fmac_f32_e32 v36, v33, v54
	v_dual_mul_f32 v35, v33, v55 :: v_dual_add_f32 v22, v22, v37
	v_mul_f32_e32 v37, v32, v57
	s_delay_alu instid0(VALU_DEP_3) | instskip(NEXT) | instid1(VALU_DEP_3)
	v_add_f32_e32 v36, v28, v36
	v_fma_f32 v35, v32, v54, -v35
	v_fma_f32 v32, v32, v56, -v38
	v_mul_f32_e32 v28, v40, v55
	s_delay_alu instid0(VALU_DEP_3) | instskip(SKIP_1) | instid1(VALU_DEP_4)
	v_add_f32_e32 v1, v1, v35
	v_mul_f32_e32 v35, v41, v55
	v_add_f32_e32 v32, v29, v32
	v_fmac_f32_e32 v37, v33, v56
	v_mul_f32_e32 v33, v41, v57
	v_fmac_f32_e32 v28, v41, v54
	v_fma_f32 v29, v40, v54, -v35
	s_delay_alu instid0(VALU_DEP_4) | instskip(SKIP_4) | instid1(VALU_DEP_3)
	v_add_f32_e32 v35, v27, v37
	v_mul_f32_e32 v37, v40, v57
	v_fma_f32 v27, v40, v56, -v33
	s_wait_dscnt 0x0
	v_dual_add_f32 v38, v30, v29 :: v_dual_mul_f32 v29, v43, v24
	v_dual_mul_f32 v40, v43, v26 :: v_dual_fmac_f32 v37, v41, v56
	v_mul_f32_e32 v33, v42, v24
	v_add_f32_e32 v34, v34, v27
	s_delay_alu instid0(VALU_DEP_3) | instskip(SKIP_3) | instid1(VALU_DEP_2)
	v_add_f32_e32 v37, v22, v37
	v_mul_f32_e32 v22, v42, v26
	v_fma_f32 v39, v42, v23, -v29
	v_fmac_f32_e32 v33, v43, v23
	v_dual_fmac_f32 v22, v43, v25 :: v_dual_add_f32 v1, v1, v39
	v_fma_f32 v39, v42, v25, -v40
	v_add_f32_e32 v31, v31, v28
	ds_load_2addr_b64 v[27:30], v18 offset0:96 offset1:112
	v_dual_add_f32 v33, v36, v33 :: v_dual_mul_f32 v36, v59, v24
	v_mul_f32_e32 v24, v58, v24
	v_dual_add_f32 v32, v32, v39 :: v_dual_mul_f32 v39, v59, v26
	v_mul_f32_e32 v26, v58, v26
	s_delay_alu instid0(VALU_DEP_4) | instskip(NEXT) | instid1(VALU_DEP_4)
	v_fma_f32 v36, v58, v23, -v36
	v_fmac_f32_e32 v24, v59, v23
	v_add_f32_e32 v35, v35, v22
	v_fma_f32 v22, v58, v25, -v39
	v_fmac_f32_e32 v26, v59, v25
	v_add_f32_e32 v36, v38, v36
	s_delay_alu instid0(VALU_DEP_3)
	v_dual_add_f32 v38, v31, v24 :: v_dual_add_f32 v39, v34, v22
	ds_load_2addr_b64 v[22:25], v18 offset0:128 offset1:144
	s_wait_dscnt 0x1
	v_mul_f32_e32 v31, v45, v28
	v_mul_f32_e32 v34, v44, v28
	v_mul_f32_e32 v40, v45, v30
	v_mul_f32_e32 v43, v61, v30
	s_delay_alu instid0(VALU_DEP_4) | instskip(NEXT) | instid1(VALU_DEP_4)
	v_fma_f32 v31, v44, v27, -v31
	v_fmac_f32_e32 v34, v45, v27
	s_delay_alu instid0(VALU_DEP_2) | instskip(SKIP_1) | instid1(VALU_DEP_3)
	v_add_f32_e32 v1, v1, v31
	v_mul_f32_e32 v31, v61, v28
	v_dual_mul_f32 v28, v60, v28 :: v_dual_add_f32 v41, v33, v34
	s_delay_alu instid0(VALU_DEP_2) | instskip(NEXT) | instid1(VALU_DEP_2)
	v_fma_f32 v42, v60, v27, -v31
	v_fmac_f32_e32 v28, v61, v27
	s_wait_dscnt 0x0
	v_mul_f32_e32 v27, v47, v23
	v_fma_f32 v40, v44, v29, -v40
	v_add_f32_e32 v37, v37, v26
	v_mul_f32_e32 v26, v44, v30
	v_mul_f32_e32 v54, v46, v25
	s_delay_alu instid0(VALU_DEP_4) | instskip(SKIP_2) | instid1(VALU_DEP_1)
	v_add_f32_e32 v40, v32, v40
	ds_load_b128 v[31:34], v19 offset:1056
	v_dual_fmac_f32 v26, v45, v29 :: v_dual_mul_f32 v45, v46, v23
	v_add_f32_e32 v44, v35, v26
	v_fma_f32 v26, v60, v29, -v43
	v_fma_f32 v35, v46, v22, -v27
	v_mul_f32_e32 v30, v60, v30
	v_fmac_f32_e32 v45, v47, v22
	v_add_f32_e32 v42, v36, v42
	v_add_f32_e32 v39, v39, v26
	;; [unrolled: 1-line block ×4, first 2 shown]
	v_fmac_f32_e32 v30, v61, v29
	ds_load_2addr_b64 v[26:29], v18 offset0:160 offset1:176
	v_mul_f32_e32 v36, v47, v25
	v_add_f32_e32 v41, v41, v45
	v_add_f32_e32 v30, v37, v30
	s_delay_alu instid0(VALU_DEP_3)
	v_fma_f32 v46, v46, v24, -v36
	ds_load_b128 v[35:38], v19 offset:1072
	s_wait_dscnt 0x2
	v_mul_f32_e32 v55, v32, v23
	v_dual_mul_f32 v23, v31, v23 :: v_dual_add_f32 v40, v40, v46
	v_fmac_f32_e32 v54, v47, v24
	v_mul_f32_e32 v46, v32, v25
	s_delay_alu instid0(VALU_DEP_4) | instskip(NEXT) | instid1(VALU_DEP_4)
	v_fma_f32 v45, v31, v22, -v55
	v_fmac_f32_e32 v23, v32, v22
	s_delay_alu instid0(VALU_DEP_4) | instskip(SKIP_1) | instid1(VALU_DEP_3)
	v_dual_mul_f32 v47, v31, v25 :: v_dual_add_f32 v44, v44, v54
	s_wait_dscnt 0x1
	v_dual_add_f32 v42, v42, v45 :: v_dual_mul_f32 v25, v49, v27
	v_fma_f32 v22, v31, v24, -v46
	v_add_f32_e32 v31, v43, v23
	v_fmac_f32_e32 v47, v32, v24
	v_mul_f32_e32 v32, v48, v27
	v_fma_f32 v43, v48, v26, -v25
	v_add_f32_e32 v39, v39, v22
	ds_load_2addr_b64 v[22:25], v18 offset0:192 offset1:208
	v_fmac_f32_e32 v32, v49, v26
	v_dual_mul_f32 v45, v49, v29 :: v_dual_add_f32 v46, v30, v47
	v_dual_add_f32 v1, v1, v43 :: v_dual_mul_f32 v30, v48, v29
	s_delay_alu instid0(VALU_DEP_3) | instskip(NEXT) | instid1(VALU_DEP_3)
	v_dual_add_f32 v41, v41, v32 :: v_dual_mul_f32 v32, v34, v27
	v_fma_f32 v43, v48, v28, -v45
	s_delay_alu instid0(VALU_DEP_3) | instskip(NEXT) | instid1(VALU_DEP_3)
	v_fmac_f32_e32 v30, v49, v28
	v_fma_f32 v32, v33, v26, -v32
	s_delay_alu instid0(VALU_DEP_3) | instskip(SKIP_1) | instid1(VALU_DEP_3)
	v_dual_add_f32 v40, v40, v43 :: v_dual_mul_f32 v43, v34, v29
	v_mul_f32_e32 v27, v33, v27
	v_dual_mul_f32 v29, v33, v29 :: v_dual_add_f32 v42, v42, v32
	s_delay_alu instid0(VALU_DEP_2) | instskip(SKIP_2) | instid1(VALU_DEP_4)
	v_fmac_f32_e32 v27, v34, v26
	v_add_f32_e32 v26, v44, v30
	v_fma_f32 v30, v33, v28, -v43
	v_fmac_f32_e32 v29, v34, v28
	s_wait_dscnt 0x0
	v_mul_f32_e32 v34, v50, v23
	v_dual_add_f32 v27, v31, v27 :: v_dual_mul_f32 v44, v50, v25
	v_add_f32_e32 v28, v39, v30
	ds_load_2addr_b64 v[30:33], v18 offset0:224 offset1:240
	v_dual_add_f32 v29, v46, v29 :: v_dual_fmac_f32 v34, v51, v22
	v_mul_f32_e32 v43, v51, v23
	v_fmac_f32_e32 v44, v51, v24
	s_wait_loadcnt_dscnt 0x0
	s_barrier_signal -1
	v_add_f32_e32 v34, v41, v34
	v_fma_f32 v39, v50, v22, -v43
	v_mul_f32_e32 v43, v51, v25
	v_mul_f32_e32 v41, v36, v25
	;; [unrolled: 1-line block ×3, first 2 shown]
	s_barrier_wait -1
	v_add_f32_e32 v1, v1, v39
	v_fma_f32 v43, v50, v24, -v43
	v_mul_f32_e32 v39, v36, v23
	v_fmac_f32_e32 v25, v36, v24
	global_inv scope:SCOPE_SE
	v_dual_add_f32 v40, v40, v43 :: v_dual_add_f32 v43, v26, v44
	v_fma_f32 v26, v35, v24, -v41
	v_mul_f32_e32 v23, v35, v23
	s_delay_alu instid0(VALU_DEP_1) | instskip(NEXT) | instid1(VALU_DEP_3)
	v_fmac_f32_e32 v23, v36, v22
	v_add_f32_e32 v36, v28, v26
	v_mul_f32_e32 v26, v53, v33
	v_fma_f32 v39, v35, v22, -v39
	v_mul_f32_e32 v35, v53, v31
	s_delay_alu instid0(VALU_DEP_2) | instskip(NEXT) | instid1(VALU_DEP_2)
	v_add_f32_e32 v22, v42, v39
	v_fma_f32 v24, v52, v30, -v35
	v_add_f32_e32 v35, v29, v25
	v_mul_f32_e32 v25, v37, v31
	s_delay_alu instid0(VALU_DEP_3) | instskip(SKIP_4) | instid1(VALU_DEP_4)
	v_add_f32_e32 v28, v1, v24
	v_fma_f32 v1, v52, v32, -v26
	v_mul_f32_e32 v24, v38, v31
	v_add_f32_e32 v23, v27, v23
	v_mul_f32_e32 v27, v52, v33
	v_dual_fmac_f32 v25, v38, v30 :: v_dual_add_f32 v26, v40, v1
	s_delay_alu instid0(VALU_DEP_4) | instskip(SKIP_3) | instid1(VALU_DEP_4)
	v_fma_f32 v1, v37, v30, -v24
	v_mul_f32_e32 v39, v52, v31
	v_mul_f32_e32 v31, v38, v33
	;; [unrolled: 1-line block ×3, first 2 shown]
	v_dual_fmac_f32 v27, v53, v32 :: v_dual_add_f32 v24, v22, v1
	s_delay_alu instid0(VALU_DEP_4) | instskip(NEXT) | instid1(VALU_DEP_4)
	v_fmac_f32_e32 v39, v53, v30
	v_fma_f32 v30, v37, v32, -v31
	s_delay_alu instid0(VALU_DEP_4) | instskip(NEXT) | instid1(VALU_DEP_4)
	v_fmac_f32_e32 v33, v38, v32
	v_add_f32_e32 v27, v43, v27
	v_add_f32_e32 v25, v23, v25
	v_add_f32_e32 v29, v34, v39
	s_delay_alu instid0(VALU_DEP_4)
	v_dual_add_f32 v23, v36, v30 :: v_dual_add_f32 v22, v35, v33
	s_wait_alu 0xfffe
	s_cbranch_vccz .LBB109_15
.LBB109_7:                              ;   Parent Loop BB109_4 Depth=1
                                        ; =>  This Inner Loop Header: Depth=2
	s_wait_alu 0xfffe
	v_add_co_u32 v30, s31, v14, s26
	s_wait_alu 0xf1ff
	v_add_co_ci_u32_e64 v31, null, 0, s27, s31
	s_delay_alu instid0(VALU_DEP_1)
	v_cmp_le_i64_e32 vcc_lo, s[12:13], v[30:31]
	s_or_b32 s31, s29, vcc_lo
	s_wait_alu 0xfffe
	s_and_saveexec_b32 s36, s31
	s_wait_alu 0xfffe
	s_xor_b32 s31, exec_lo, s36
; %bb.8:                                ;   in Loop: Header=BB109_7 Depth=2
	v_mov_b32_e32 v1, v0
	ds_store_b64 v16, v[0:1]
; %bb.9:                                ;   in Loop: Header=BB109_7 Depth=2
	s_wait_alu 0xfffe
	s_and_not1_saveexec_b32 s31, s31
	s_cbranch_execz .LBB109_11
; %bb.10:                               ;   in Loop: Header=BB109_7 Depth=2
	global_load_b64 v[30:31], v[12:13], off
	s_wait_loadcnt 0x0
	ds_store_b64 v16, v[30:31]
.LBB109_11:                             ;   in Loop: Header=BB109_7 Depth=2
	s_wait_alu 0xfffe
	s_or_b32 exec_lo, exec_lo, s31
	v_add_co_u32 v30, s31, v15, s26
	s_wait_alu 0xf1ff
	v_add_co_ci_u32_e64 v31, null, 0, s27, s31
	s_delay_alu instid0(VALU_DEP_1)
	v_cmp_le_i64_e32 vcc_lo, s[12:13], v[30:31]
	s_or_b32 s31, vcc_lo, s30
	s_wait_alu 0xfffe
	s_and_saveexec_b32 s36, s31
	s_wait_alu 0xfffe
	s_xor_b32 s31, exec_lo, s36
; %bb.12:                               ;   in Loop: Header=BB109_7 Depth=2
	v_mov_b32_e32 v1, v0
	ds_store_b64 v17, v[0:1]
; %bb.13:                               ;   in Loop: Header=BB109_7 Depth=2
	s_wait_alu 0xfffe
	s_and_not1_saveexec_b32 s31, s31
	s_cbranch_execz .LBB109_6
; %bb.14:                               ;   in Loop: Header=BB109_7 Depth=2
	global_load_b64 v[30:31], v[10:11], off
	s_wait_loadcnt 0x0
	ds_store_b64 v17, v[30:31]
	s_branch .LBB109_6
.LBB109_15:                             ;   in Loop: Header=BB109_4 Depth=1
	s_mul_u64 s[26:27], s[38:39], s[6:7]
	s_and_not1_b32 vcc_lo, exec_lo, s46
	s_wait_alu 0xfffe
	s_lshl_b64 s[26:27], s[26:27], 3
	s_mov_b32 s31, -1
	s_wait_alu 0xfffe
	s_add_nc_u64 s[26:27], s[22:23], s[26:27]
	s_cbranch_vccz .LBB109_17
; %bb.16:                               ;   in Loop: Header=BB109_4 Depth=1
	s_and_not1_b32 vcc_lo, exec_lo, s31
	s_wait_alu 0xfffe
	s_cbranch_vccnz .LBB109_3
	s_branch .LBB109_28
.LBB109_17:                             ;   in Loop: Header=BB109_4 Depth=1
	s_and_saveexec_b32 s31, s0
	s_cbranch_execz .LBB109_27
; %bb.18:                               ;   in Loop: Header=BB109_4 Depth=1
	s_wait_alu 0xfffe
	v_add_co_u32 v1, vcc_lo, s26, v6
	s_wait_alu 0xfffd
	v_add_co_ci_u32_e64 v10, null, s27, v7, vcc_lo
	s_and_saveexec_b32 s36, s1
	s_cbranch_execnz .LBB109_21
; %bb.19:                               ;   in Loop: Header=BB109_4 Depth=1
	s_wait_alu 0xfffe
	s_or_b32 exec_lo, exec_lo, s36
	s_and_saveexec_b32 s36, s2
	s_cbranch_execnz .LBB109_22
.LBB109_20:                             ;   in Loop: Header=BB109_4 Depth=1
	s_wait_alu 0xfffe
	s_or_b32 exec_lo, exec_lo, s36
	s_delay_alu instid0(SALU_CYCLE_1)
	s_and_b32 exec_lo, exec_lo, s3
	s_cbranch_execnz .LBB109_23
	s_branch .LBB109_27
.LBB109_21:                             ;   in Loop: Header=BB109_4 Depth=1
	v_mul_f32_e32 v12, s14, v29
	v_mul_f32_e32 v11, s15, v29
	v_add_co_u32 v30, vcc_lo, v1, v8
	s_wait_alu 0xfffd
	v_add_co_ci_u32_e64 v31, null, v10, v9, vcc_lo
	v_fmac_f32_e32 v12, s15, v28
	v_fma_f32 v11, v28, s14, -v11
	global_store_b64 v[30:31], v[11:12], off
	s_wait_alu 0xfffe
	s_or_b32 exec_lo, exec_lo, s36
	s_and_saveexec_b32 s36, s2
	s_cbranch_execz .LBB109_20
.LBB109_22:                             ;   in Loop: Header=BB109_4 Depth=1
	v_mul_f32_e32 v12, s14, v27
	v_mul_f32_e32 v11, s15, v27
	v_add_co_u32 v30, vcc_lo, v1, v8
	s_wait_alu 0xfffd
	v_add_co_ci_u32_e64 v31, null, v10, v9, vcc_lo
	v_fmac_f32_e32 v12, s15, v26
	v_fma_f32 v11, v26, s14, -v11
	global_store_b64 v[30:31], v[11:12], off offset:128
	s_wait_alu 0xfffe
	s_or_b32 exec_lo, exec_lo, s36
	s_delay_alu instid0(SALU_CYCLE_1)
	s_and_b32 exec_lo, exec_lo, s3
	s_cbranch_execz .LBB109_27
.LBB109_23:                             ;   in Loop: Header=BB109_4 Depth=1
	s_lshl_b64 s[36:37], s[8:9], 3
	s_wait_alu 0xfffe
	v_add_co_u32 v1, vcc_lo, v1, s36
	s_wait_alu 0xfffd
	v_add_co_ci_u32_e64 v11, null, s37, v10, vcc_lo
	s_delay_alu instid0(VALU_DEP_2) | instskip(SKIP_1) | instid1(VALU_DEP_2)
	v_add_co_u32 v10, vcc_lo, v1, v8
	s_wait_alu 0xfffd
	v_add_co_ci_u32_e64 v11, null, v11, v9, vcc_lo
	s_and_saveexec_b32 s36, s1
	s_cbranch_execz .LBB109_25
; %bb.24:                               ;   in Loop: Header=BB109_4 Depth=1
	v_mul_f32_e32 v1, s15, v25
	v_mul_f32_e32 v13, s14, v25
	s_delay_alu instid0(VALU_DEP_2) | instskip(NEXT) | instid1(VALU_DEP_2)
	v_fma_f32 v12, v24, s14, -v1
	v_fmac_f32_e32 v13, s15, v24
	global_store_b64 v[10:11], v[12:13], off
.LBB109_25:                             ;   in Loop: Header=BB109_4 Depth=1
	s_wait_alu 0xfffe
	s_or_b32 exec_lo, exec_lo, s36
	s_delay_alu instid0(SALU_CYCLE_1)
	s_and_b32 exec_lo, exec_lo, s2
	s_cbranch_execz .LBB109_27
; %bb.26:                               ;   in Loop: Header=BB109_4 Depth=1
	v_mul_f32_e32 v1, s15, v22
	v_mul_f32_e32 v13, s14, v22
	s_delay_alu instid0(VALU_DEP_2) | instskip(NEXT) | instid1(VALU_DEP_2)
	v_fma_f32 v12, v23, s14, -v1
	v_fmac_f32_e32 v13, s15, v23
	global_store_b64 v[10:11], v[12:13], off offset:128
.LBB109_27:                             ;   in Loop: Header=BB109_4 Depth=1
	s_wait_alu 0xfffe
	s_or_b32 exec_lo, exec_lo, s31
	s_cbranch_execnz .LBB109_3
.LBB109_28:                             ;   in Loop: Header=BB109_4 Depth=1
	s_and_saveexec_b32 s31, s0
	s_cbranch_execz .LBB109_2
; %bb.29:                               ;   in Loop: Header=BB109_4 Depth=1
	s_mul_u64 s[36:37], s[20:21], s[6:7]
	s_wait_alu 0xfffe
	s_lshl_b64 s[36:37], s[36:37], 3
	s_wait_alu 0xfffe
	v_add_co_u32 v11, vcc_lo, v20, s36
	s_wait_alu 0xfffd
	v_add_co_ci_u32_e64 v12, null, s37, v21, vcc_lo
	v_add_co_u32 v1, vcc_lo, s26, v6
	s_wait_alu 0xfffd
	v_add_co_ci_u32_e64 v10, null, s27, v7, vcc_lo
	s_and_saveexec_b32 s26, s1
	s_cbranch_execnz .LBB109_32
; %bb.30:                               ;   in Loop: Header=BB109_4 Depth=1
	s_wait_alu 0xfffe
	s_or_b32 exec_lo, exec_lo, s26
	s_and_saveexec_b32 s26, s2
	s_cbranch_execnz .LBB109_33
.LBB109_31:                             ;   in Loop: Header=BB109_4 Depth=1
	s_wait_alu 0xfffe
	s_or_b32 exec_lo, exec_lo, s26
	s_delay_alu instid0(SALU_CYCLE_1)
	s_and_b32 exec_lo, exec_lo, s3
	s_cbranch_execz .LBB109_2
	s_branch .LBB109_34
.LBB109_32:                             ;   in Loop: Header=BB109_4 Depth=1
	v_add_co_u32 v30, vcc_lo, v11, v8
	s_wait_alu 0xfffd
	v_add_co_ci_u32_e64 v31, null, v12, v9, vcc_lo
	global_load_b64 v[30:31], v[30:31], off
	s_wait_loadcnt 0x0
	v_dual_mul_f32 v13, s15, v29 :: v_dual_mul_f32 v32, s35, v31
	v_mul_f32_e32 v31, s34, v31
	s_delay_alu instid0(VALU_DEP_2) | instskip(SKIP_1) | instid1(VALU_DEP_3)
	v_fma_f32 v13, v28, s14, -v13
	v_mul_f32_e32 v29, s14, v29
	v_fmac_f32_e32 v31, s35, v30
	s_delay_alu instid0(VALU_DEP_2) | instskip(SKIP_2) | instid1(VALU_DEP_3)
	v_fmac_f32_e32 v29, s15, v28
	v_fma_f32 v28, v30, s34, -v32
	v_add_co_u32 v30, vcc_lo, v1, v8
	v_add_f32_e32 v29, v29, v31
	s_delay_alu instid0(VALU_DEP_3)
	v_add_f32_e32 v28, v13, v28
	s_wait_alu 0xfffd
	v_add_co_ci_u32_e64 v31, null, v10, v9, vcc_lo
	global_store_b64 v[30:31], v[28:29], off
	s_wait_alu 0xfffe
	s_or_b32 exec_lo, exec_lo, s26
	s_and_saveexec_b32 s26, s2
	s_cbranch_execz .LBB109_31
.LBB109_33:                             ;   in Loop: Header=BB109_4 Depth=1
	v_add_co_u32 v28, vcc_lo, v11, v8
	s_wait_alu 0xfffd
	v_add_co_ci_u32_e64 v29, null, v12, v9, vcc_lo
	global_load_b64 v[28:29], v[28:29], off offset:128
	s_wait_loadcnt 0x0
	v_dual_mul_f32 v13, s15, v27 :: v_dual_mul_f32 v30, s35, v29
	v_mul_f32_e32 v29, s34, v29
	s_delay_alu instid0(VALU_DEP_2) | instskip(SKIP_1) | instid1(VALU_DEP_3)
	v_fma_f32 v13, v26, s14, -v13
	v_mul_f32_e32 v27, s14, v27
	v_fmac_f32_e32 v29, s35, v28
	s_delay_alu instid0(VALU_DEP_2) | instskip(SKIP_2) | instid1(VALU_DEP_2)
	v_fmac_f32_e32 v27, s15, v26
	v_fma_f32 v26, v28, s34, -v30
	v_add_co_u32 v28, vcc_lo, v1, v8
	v_dual_add_f32 v27, v27, v29 :: v_dual_add_f32 v26, v13, v26
	s_wait_alu 0xfffd
	v_add_co_ci_u32_e64 v29, null, v10, v9, vcc_lo
	global_store_b64 v[28:29], v[26:27], off offset:128
	s_wait_alu 0xfffe
	s_or_b32 exec_lo, exec_lo, s26
	s_delay_alu instid0(SALU_CYCLE_1)
	s_and_b32 exec_lo, exec_lo, s3
	s_cbranch_execz .LBB109_2
.LBB109_34:                             ;   in Loop: Header=BB109_4 Depth=1
	v_add_co_u32 v11, vcc_lo, v11, s4
	s_lshl_b64 s[26:27], s[8:9], 3
	s_wait_alu 0xfffd
	v_add_co_ci_u32_e64 v13, null, s5, v12, vcc_lo
	s_wait_alu 0xfffe
	v_add_co_u32 v1, vcc_lo, v1, s26
	s_wait_alu 0xfffd
	v_add_co_ci_u32_e64 v26, null, s27, v10, vcc_lo
	v_add_co_u32 v12, vcc_lo, v11, v8
	s_wait_alu 0xfffd
	v_add_co_ci_u32_e64 v13, null, v13, v9, vcc_lo
	;; [unrolled: 3-line block ×3, first 2 shown]
	s_and_saveexec_b32 s26, s1
	s_cbranch_execz .LBB109_36
; %bb.35:                               ;   in Loop: Header=BB109_4 Depth=1
	global_load_b64 v[26:27], v[12:13], off
	s_wait_loadcnt 0x0
	v_dual_mul_f32 v1, s15, v25 :: v_dual_mul_f32 v28, s35, v27
	v_mul_f32_e32 v27, s34, v27
	s_delay_alu instid0(VALU_DEP_2) | instskip(SKIP_1) | instid1(VALU_DEP_3)
	v_fma_f32 v1, v24, s14, -v1
	v_mul_f32_e32 v25, s14, v25
	v_fmac_f32_e32 v27, s35, v26
	s_delay_alu instid0(VALU_DEP_2) | instskip(SKIP_1) | instid1(VALU_DEP_2)
	v_fmac_f32_e32 v25, s15, v24
	v_fma_f32 v24, v26, s34, -v28
	v_add_f32_e32 v25, v25, v27
	s_delay_alu instid0(VALU_DEP_2)
	v_add_f32_e32 v24, v1, v24
	global_store_b64 v[10:11], v[24:25], off
.LBB109_36:                             ;   in Loop: Header=BB109_4 Depth=1
	s_wait_alu 0xfffe
	s_or_b32 exec_lo, exec_lo, s26
	s_delay_alu instid0(SALU_CYCLE_1)
	s_and_b32 exec_lo, exec_lo, s2
	s_cbranch_execz .LBB109_2
; %bb.37:                               ;   in Loop: Header=BB109_4 Depth=1
	global_load_b64 v[12:13], v[12:13], off offset:128
	v_mul_f32_e32 v1, s15, v22
	v_mul_f32_e32 v22, s14, v22
	s_wait_loadcnt 0x0
	v_mul_f32_e32 v24, s35, v13
	v_mul_f32_e32 v13, s34, v13
	v_fma_f32 v1, v23, s14, -v1
	v_fmac_f32_e32 v22, s15, v23
	s_delay_alu instid0(VALU_DEP_4) | instskip(NEXT) | instid1(VALU_DEP_1)
	v_fma_f32 v23, v12, s34, -v24
	v_dual_fmac_f32 v13, s35, v12 :: v_dual_add_f32 v12, v1, v23
	s_delay_alu instid0(VALU_DEP_1)
	v_add_f32_e32 v13, v22, v13
	global_store_b64 v[10:11], v[12:13], off offset:128
	s_branch .LBB109_2
.LBB109_38:
	s_endpgm
	.section	.rodata,"a",@progbits
	.p2align	6, 0x0
	.amdhsa_kernel _ZN12_GLOBAL__N_135rocblas_gemm_batched_general_kernelI19rocblas_complex_numIfELi16ELi16ELi32ELi32ELi8ELi32ELi8ELi8ELi32ELc78ELc84EKS2_S3_S2_EEvlllT_PT11_llS6_llS4_PT12_llPT13_lli
		.amdhsa_group_segment_fixed_size 4096
		.amdhsa_private_segment_fixed_size 0
		.amdhsa_kernarg_size 140
		.amdhsa_user_sgpr_count 2
		.amdhsa_user_sgpr_dispatch_ptr 0
		.amdhsa_user_sgpr_queue_ptr 0
		.amdhsa_user_sgpr_kernarg_segment_ptr 1
		.amdhsa_user_sgpr_dispatch_id 0
		.amdhsa_user_sgpr_private_segment_size 0
		.amdhsa_wavefront_size32 1
		.amdhsa_uses_dynamic_stack 0
		.amdhsa_enable_private_segment 0
		.amdhsa_system_sgpr_workgroup_id_x 1
		.amdhsa_system_sgpr_workgroup_id_y 1
		.amdhsa_system_sgpr_workgroup_id_z 1
		.amdhsa_system_sgpr_workgroup_info 0
		.amdhsa_system_vgpr_workitem_id 1
		.amdhsa_next_free_vgpr 67
		.amdhsa_next_free_sgpr 48
		.amdhsa_reserve_vcc 1
		.amdhsa_float_round_mode_32 0
		.amdhsa_float_round_mode_16_64 0
		.amdhsa_float_denorm_mode_32 3
		.amdhsa_float_denorm_mode_16_64 3
		.amdhsa_fp16_overflow 0
		.amdhsa_workgroup_processor_mode 1
		.amdhsa_memory_ordered 1
		.amdhsa_forward_progress 1
		.amdhsa_inst_pref_size 28
		.amdhsa_round_robin_scheduling 0
		.amdhsa_exception_fp_ieee_invalid_op 0
		.amdhsa_exception_fp_denorm_src 0
		.amdhsa_exception_fp_ieee_div_zero 0
		.amdhsa_exception_fp_ieee_overflow 0
		.amdhsa_exception_fp_ieee_underflow 0
		.amdhsa_exception_fp_ieee_inexact 0
		.amdhsa_exception_int_div_zero 0
	.end_amdhsa_kernel
	.section	.text._ZN12_GLOBAL__N_135rocblas_gemm_batched_general_kernelI19rocblas_complex_numIfELi16ELi16ELi32ELi32ELi8ELi32ELi8ELi8ELi32ELc78ELc84EKS2_S3_S2_EEvlllT_PT11_llS6_llS4_PT12_llPT13_lli,"axG",@progbits,_ZN12_GLOBAL__N_135rocblas_gemm_batched_general_kernelI19rocblas_complex_numIfELi16ELi16ELi32ELi32ELi8ELi32ELi8ELi8ELi32ELc78ELc84EKS2_S3_S2_EEvlllT_PT11_llS6_llS4_PT12_llPT13_lli,comdat
.Lfunc_end109:
	.size	_ZN12_GLOBAL__N_135rocblas_gemm_batched_general_kernelI19rocblas_complex_numIfELi16ELi16ELi32ELi32ELi8ELi32ELi8ELi8ELi32ELc78ELc84EKS2_S3_S2_EEvlllT_PT11_llS6_llS4_PT12_llPT13_lli, .Lfunc_end109-_ZN12_GLOBAL__N_135rocblas_gemm_batched_general_kernelI19rocblas_complex_numIfELi16ELi16ELi32ELi32ELi8ELi32ELi8ELi8ELi32ELc78ELc84EKS2_S3_S2_EEvlllT_PT11_llS6_llS4_PT12_llPT13_lli
                                        ; -- End function
	.set _ZN12_GLOBAL__N_135rocblas_gemm_batched_general_kernelI19rocblas_complex_numIfELi16ELi16ELi32ELi32ELi8ELi32ELi8ELi8ELi32ELc78ELc84EKS2_S3_S2_EEvlllT_PT11_llS6_llS4_PT12_llPT13_lli.num_vgpr, 67
	.set _ZN12_GLOBAL__N_135rocblas_gemm_batched_general_kernelI19rocblas_complex_numIfELi16ELi16ELi32ELi32ELi8ELi32ELi8ELi8ELi32ELc78ELc84EKS2_S3_S2_EEvlllT_PT11_llS6_llS4_PT12_llPT13_lli.num_agpr, 0
	.set _ZN12_GLOBAL__N_135rocblas_gemm_batched_general_kernelI19rocblas_complex_numIfELi16ELi16ELi32ELi32ELi8ELi32ELi8ELi8ELi32ELc78ELc84EKS2_S3_S2_EEvlllT_PT11_llS6_llS4_PT12_llPT13_lli.numbered_sgpr, 48
	.set _ZN12_GLOBAL__N_135rocblas_gemm_batched_general_kernelI19rocblas_complex_numIfELi16ELi16ELi32ELi32ELi8ELi32ELi8ELi8ELi32ELc78ELc84EKS2_S3_S2_EEvlllT_PT11_llS6_llS4_PT12_llPT13_lli.num_named_barrier, 0
	.set _ZN12_GLOBAL__N_135rocblas_gemm_batched_general_kernelI19rocblas_complex_numIfELi16ELi16ELi32ELi32ELi8ELi32ELi8ELi8ELi32ELc78ELc84EKS2_S3_S2_EEvlllT_PT11_llS6_llS4_PT12_llPT13_lli.private_seg_size, 0
	.set _ZN12_GLOBAL__N_135rocblas_gemm_batched_general_kernelI19rocblas_complex_numIfELi16ELi16ELi32ELi32ELi8ELi32ELi8ELi8ELi32ELc78ELc84EKS2_S3_S2_EEvlllT_PT11_llS6_llS4_PT12_llPT13_lli.uses_vcc, 1
	.set _ZN12_GLOBAL__N_135rocblas_gemm_batched_general_kernelI19rocblas_complex_numIfELi16ELi16ELi32ELi32ELi8ELi32ELi8ELi8ELi32ELc78ELc84EKS2_S3_S2_EEvlllT_PT11_llS6_llS4_PT12_llPT13_lli.uses_flat_scratch, 0
	.set _ZN12_GLOBAL__N_135rocblas_gemm_batched_general_kernelI19rocblas_complex_numIfELi16ELi16ELi32ELi32ELi8ELi32ELi8ELi8ELi32ELc78ELc84EKS2_S3_S2_EEvlllT_PT11_llS6_llS4_PT12_llPT13_lli.has_dyn_sized_stack, 0
	.set _ZN12_GLOBAL__N_135rocblas_gemm_batched_general_kernelI19rocblas_complex_numIfELi16ELi16ELi32ELi32ELi8ELi32ELi8ELi8ELi32ELc78ELc84EKS2_S3_S2_EEvlllT_PT11_llS6_llS4_PT12_llPT13_lli.has_recursion, 0
	.set _ZN12_GLOBAL__N_135rocblas_gemm_batched_general_kernelI19rocblas_complex_numIfELi16ELi16ELi32ELi32ELi8ELi32ELi8ELi8ELi32ELc78ELc84EKS2_S3_S2_EEvlllT_PT11_llS6_llS4_PT12_llPT13_lli.has_indirect_call, 0
	.section	.AMDGPU.csdata,"",@progbits
; Kernel info:
; codeLenInByte = 3524
; TotalNumSgprs: 50
; NumVgprs: 67
; ScratchSize: 0
; MemoryBound: 1
; FloatMode: 240
; IeeeMode: 1
; LDSByteSize: 4096 bytes/workgroup (compile time only)
; SGPRBlocks: 0
; VGPRBlocks: 8
; NumSGPRsForWavesPerEU: 50
; NumVGPRsForWavesPerEU: 67
; Occupancy: 16
; WaveLimiterHint : 0
; COMPUTE_PGM_RSRC2:SCRATCH_EN: 0
; COMPUTE_PGM_RSRC2:USER_SGPR: 2
; COMPUTE_PGM_RSRC2:TRAP_HANDLER: 0
; COMPUTE_PGM_RSRC2:TGID_X_EN: 1
; COMPUTE_PGM_RSRC2:TGID_Y_EN: 1
; COMPUTE_PGM_RSRC2:TGID_Z_EN: 1
; COMPUTE_PGM_RSRC2:TIDIG_COMP_CNT: 1
	.section	.text._ZN12_GLOBAL__N_135rocblas_gemm_batched_general_kernelI19rocblas_complex_numIfELi16ELi16ELi32ELi32ELi8ELi32ELi8ELi8ELi32ELc84ELc84EKS2_S3_S2_EEvlllT_PT11_llS6_llS4_PT12_llPT13_lli,"axG",@progbits,_ZN12_GLOBAL__N_135rocblas_gemm_batched_general_kernelI19rocblas_complex_numIfELi16ELi16ELi32ELi32ELi8ELi32ELi8ELi8ELi32ELc84ELc84EKS2_S3_S2_EEvlllT_PT11_llS6_llS4_PT12_llPT13_lli,comdat
	.globl	_ZN12_GLOBAL__N_135rocblas_gemm_batched_general_kernelI19rocblas_complex_numIfELi16ELi16ELi32ELi32ELi8ELi32ELi8ELi8ELi32ELc84ELc84EKS2_S3_S2_EEvlllT_PT11_llS6_llS4_PT12_llPT13_lli ; -- Begin function _ZN12_GLOBAL__N_135rocblas_gemm_batched_general_kernelI19rocblas_complex_numIfELi16ELi16ELi32ELi32ELi8ELi32ELi8ELi8ELi32ELc84ELc84EKS2_S3_S2_EEvlllT_PT11_llS6_llS4_PT12_llPT13_lli
	.p2align	8
	.type	_ZN12_GLOBAL__N_135rocblas_gemm_batched_general_kernelI19rocblas_complex_numIfELi16ELi16ELi32ELi32ELi8ELi32ELi8ELi8ELi32ELc84ELc84EKS2_S3_S2_EEvlllT_PT11_llS6_llS4_PT12_llPT13_lli,@function
_ZN12_GLOBAL__N_135rocblas_gemm_batched_general_kernelI19rocblas_complex_numIfELi16ELi16ELi32ELi32ELi8ELi32ELi8ELi8ELi32ELc84ELc84EKS2_S3_S2_EEvlllT_PT11_llS6_llS4_PT12_llPT13_lli: ; @_ZN12_GLOBAL__N_135rocblas_gemm_batched_general_kernelI19rocblas_complex_numIfELi16ELi16ELi32ELi32ELi8ELi32ELi8ELi8ELi32ELc84ELc84EKS2_S3_S2_EEvlllT_PT11_llS6_llS4_PT12_llPT13_lli
; %bb.0:
	s_load_b32 s33, s[0:1], 0x88
	s_lshr_b32 s6, ttmp7, 16
	s_wait_kmcnt 0x0
	s_cmp_ge_i32 s6, s33
	s_cbranch_scc1 .LBB110_38
; %bb.1:
	s_clause 0x4
	s_load_b256 s[8:15], s[0:1], 0x0
	s_load_b256 s[24:31], s[0:1], 0x20
	s_load_b128 s[36:39], s[0:1], 0x78
	s_load_b128 s[40:43], s[0:1], 0x40
	s_load_b64 s[34:35], s[0:1], 0x50
	v_and_b32_e32 v15, 7, v0
	v_bfe_u32 v5, v0, 10, 10
	s_load_b256 s[16:23], s[0:1], 0x58
	s_mov_b32 s2, ttmp9
	s_ashr_i32 s3, ttmp9, 31
	s_and_b32 s47, ttmp7, 0xffff
	s_lshl_b64 s[44:45], s[2:3], 5
	v_lshlrev_b32_e32 v7, 3, v15
	s_lshl_b32 s0, s47, 5
	v_lshl_add_u32 v19, v5, 6, 0x800
	s_mov_b32 s7, 0
	v_mov_b32_e32 v2, s45
	s_wait_kmcnt 0x0
	v_mad_co_u64_u32 v[10:11], null, s40, v15, 0
	v_and_b32_e32 v8, 0x3ff, v0
	s_delay_alu instid0(VALU_DEP_1) | instskip(SKIP_1) | instid1(VALU_DEP_2)
	v_lshl_add_u32 v24, v5, 4, v8
	v_lshlrev_b32_e32 v18, 3, v8
	v_and_b32_e32 v3, 31, v24
	v_lshrrev_b32_e32 v0, 3, v24
	v_lshrrev_b32_e32 v14, 5, v24
	s_delay_alu instid0(VALU_DEP_3) | instskip(SKIP_1) | instid1(VALU_DEP_4)
	v_or_b32_e32 v1, s44, v3
	v_lshlrev_b32_e32 v6, 3, v3
	v_add_co_u32 v3, s1, v0, s0
	s_wait_alu 0xf1ff
	v_add_co_ci_u32_e64 v4, null, 0, 0, s1
	v_lshl_or_b32 v7, v0, 6, v7
	v_cmp_gt_i64_e32 vcc_lo, s[8:9], v[1:2]
	v_add_co_u32 v2, s0, s0, v5
	v_lshl_or_b32 v16, v14, 8, v6
	v_cmp_gt_i64_e64 s4, s[10:11], v[3:4]
	v_add_nc_u32_e32 v17, 0x800, v7
	s_delay_alu instid0(VALU_DEP_4)
	v_mad_co_u64_u32 v[6:7], null, v2, s36, 0
	v_mad_co_u64_u32 v[4:5], null, v2, s18, 0
	s_or_b32 s1, s34, s35
	v_mov_b32_e32 v0, 0
	s_wait_alu 0xfffe
	s_bitset0_b32 s1, 31
	v_add_co_ci_u32_e64 v3, null, 0, 0, s0
	s_wait_alu 0xfffe
	s_cmp_eq_u32 s1, 0
	v_add_co_u32 v8, s1, s44, v8
	v_mad_co_u64_u32 v[20:21], null, v2, s19, v[5:6]
	s_wait_alu 0xf1ff
	v_add_co_ci_u32_e64 v9, null, s45, 0, s1
	s_delay_alu instid0(VALU_DEP_3) | instskip(SKIP_4) | instid1(VALU_DEP_4)
	v_mad_co_u64_u32 v[21:22], null, v2, s37, v[7:8]
	v_mov_b32_e32 v7, v11
	v_add_co_u32 v12, s1, v8, 16
	v_mov_b32_e32 v5, v20
	v_cmp_gt_i64_e64 s0, s[10:11], v[2:3]
	v_mad_co_u64_u32 v[22:23], null, s41, v15, v[7:8]
	s_wait_alu 0xf1ff
	v_add_co_ci_u32_e64 v13, null, 0, v9, s1
	v_lshlrev_b64_e32 v[4:5], 3, v[4:5]
	v_add_co_u32 v2, s1, v2, 16
	s_wait_alu 0xf1ff
	v_add_co_ci_u32_e64 v3, null, 0, v3, s1
	v_mov_b32_e32 v11, v22
	s_delay_alu instid0(VALU_DEP_4) | instskip(SKIP_1) | instid1(VALU_DEP_4)
	v_add_co_u32 v20, s5, s16, v4
	v_mov_b32_e32 v7, v21
	v_cmp_gt_i64_e64 s3, s[10:11], v[2:3]
	v_add_co_ci_u32_e64 v21, null, s17, v5, s5
	v_lshlrev_b64_e32 v[2:3], 3, v[10:11]
	v_mul_lo_u32 v10, s27, v1
	v_mad_co_u64_u32 v[4:5], null, s26, v1, 0
	s_cselect_b32 s46, -1, 0
	s_lshl_b32 s5, s47, 8
	s_mul_i32 s10, s26, s45
	v_and_b32_e32 v1, 0x1ff8, v24
	s_wait_alu 0xfffe
	v_add_co_u32 v2, s5, v2, s5
	v_add3_u32 v5, v5, s10, v10
	s_wait_alu 0xf1ff
	v_add_co_ci_u32_e64 v3, null, 0, v3, s5
	s_delay_alu instid0(VALU_DEP_3) | instskip(NEXT) | instid1(VALU_DEP_3)
	v_add_co_u32 v1, s5, v2, v1
	v_lshlrev_b64_e32 v[4:5], 3, v[4:5]
	s_wait_alu 0xf1ff
	s_delay_alu instid0(VALU_DEP_3) | instskip(SKIP_3) | instid1(VALU_DEP_3)
	v_add_co_ci_u32_e64 v3, null, 0, v3, s5
	v_lshlrev_b32_e32 v10, 3, v14
	v_add_co_u32 v2, s5, s30, v1
	s_wait_alu 0xf1ff
	v_add_co_ci_u32_e64 v3, null, s31, v3, s5
	s_delay_alu instid0(VALU_DEP_3) | instskip(SKIP_3) | instid1(VALU_DEP_3)
	v_add_co_u32 v1, s5, v4, v10
	s_wait_alu 0xf1ff
	v_add_co_ci_u32_e64 v5, null, 0, v5, s5
	v_cmp_gt_i64_e64 s1, s[8:9], v[8:9]
	v_add_co_u32 v4, s5, s24, v1
	v_cmp_gt_i64_e64 s2, s[8:9], v[12:13]
	v_cmp_gt_i64_e64 s26, s[12:13], 0
	v_lshlrev_b64_e32 v[6:7], 3, v[6:7]
	v_lshlrev_b64_e32 v[8:9], 3, v[8:9]
	s_wait_alu 0xf1ff
	v_add_co_ci_u32_e64 v5, null, s25, v5, s5
	s_lshl_b64 s[8:9], s[36:37], 4
	s_lshl_b64 s[36:37], s[18:19], 4
	;; [unrolled: 1-line block ×5, first 2 shown]
	s_xor_b32 s27, vcc_lo, -1
	s_xor_b32 s28, s4, -1
	s_wait_alu 0xfffe
	s_lshl_b64 s[4:5], s[36:37], 3
	s_branch .LBB110_4
.LBB110_2:                              ;   in Loop: Header=BB110_4 Depth=1
	s_wait_alu 0xfffe
	s_or_b32 exec_lo, exec_lo, s29
.LBB110_3:                              ;   in Loop: Header=BB110_4 Depth=1
	s_add_co_i32 s6, s6, 0x10000
	s_wait_alu 0xfffe
	s_cmp_lt_i32 s6, s33
	s_cbranch_scc0 .LBB110_38
.LBB110_4:                              ; =>This Loop Header: Depth=1
                                        ;     Child Loop BB110_7 Depth 2
	v_dual_mov_b32 v28, v0 :: v_dual_mov_b32 v29, v0
	v_dual_mov_b32 v26, v0 :: v_dual_mov_b32 v27, v0
	;; [unrolled: 1-line block ×4, first 2 shown]
	s_and_not1_b32 vcc_lo, exec_lo, s26
	s_wait_alu 0xfffe
	s_cbranch_vccnz .LBB110_15
; %bb.5:                                ;   in Loop: Header=BB110_4 Depth=1
	v_mad_co_u64_u32 v[10:11], null, s10, s6, v[2:3]
	v_mad_co_u64_u32 v[12:13], null, s18, s6, v[4:5]
	v_dual_mov_b32 v23, 0 :: v_dual_mov_b32 v26, 0
	v_mov_b32_e32 v25, 0
	v_mov_b32_e32 v27, 0
	v_dual_mov_b32 v1, v11 :: v_dual_mov_b32 v22, 0
	v_dual_mov_b32 v11, v13 :: v_dual_mov_b32 v24, 0
	s_mov_b64 s[24:25], 0
	s_delay_alu instid0(VALU_DEP_2) | instskip(NEXT) | instid1(VALU_DEP_2)
	v_mad_co_u64_u32 v[28:29], null, s11, s6, v[1:2]
	v_mad_co_u64_u32 v[30:31], null, s19, s6, v[11:12]
	v_mov_b32_e32 v29, 0
	s_delay_alu instid0(VALU_DEP_3) | instskip(NEXT) | instid1(VALU_DEP_3)
	v_dual_mov_b32 v11, v28 :: v_dual_mov_b32 v28, 0
	v_mov_b32_e32 v13, v30
	s_branch .LBB110_7
.LBB110_6:                              ;   in Loop: Header=BB110_7 Depth=2
	s_wait_alu 0xfffe
	s_or_b32 exec_lo, exec_lo, s29
	s_wait_dscnt 0x0
	s_barrier_signal -1
	s_barrier_wait -1
	global_inv scope:SCOPE_SE
	ds_load_b128 v[30:33], v19
	ds_load_2addr_b64 v[34:37], v18 offset1:16
	ds_load_b128 v[38:41], v19 offset:1024
	ds_load_b128 v[42:45], v19 offset:16
	;; [unrolled: 1-line block ×4, first 2 shown]
	ds_load_2addr_b64 v[54:57], v18 offset0:32 offset1:48
	ds_load_b128 v[58:61], v19 offset:1040
	s_add_nc_u64 s[24:25], s[24:25], 8
	v_add_co_u32 v10, vcc_lo, v10, s16
	s_wait_alu 0xfffe
	v_cmp_lt_i64_e64 s29, s[24:25], s[12:13]
	s_wait_alu 0xfffd
	v_add_co_ci_u32_e64 v11, null, s17, v11, vcc_lo
	v_add_co_u32 v12, vcc_lo, v12, 64
	s_wait_alu 0xfffd
	v_add_co_ci_u32_e64 v13, null, 0, v13, vcc_lo
	s_and_b32 vcc_lo, exec_lo, s29
	s_wait_dscnt 0x6
	v_dual_mul_f32 v1, v31, v35 :: v_dual_mul_f32 v64, v30, v37
	v_dual_mul_f32 v62, v30, v35 :: v_dual_mul_f32 v63, v31, v37
	s_wait_dscnt 0x5
	v_mul_f32_e32 v66, v39, v37
	s_delay_alu instid0(VALU_DEP_3) | instskip(SKIP_3) | instid1(VALU_DEP_4)
	v_fma_f32 v1, v30, v34, -v1
	v_dual_mul_f32 v37, v38, v37 :: v_dual_fmac_f32 v64, v31, v36
	v_fmac_f32_e32 v62, v31, v34
	v_fma_f32 v30, v30, v36, -v63
	v_add_f32_e32 v1, v28, v1
	v_mul_f32_e32 v65, v39, v35
	s_delay_alu instid0(VALU_DEP_4) | instskip(NEXT) | instid1(VALU_DEP_4)
	v_dual_mul_f32 v35, v38, v35 :: v_dual_add_f32 v28, v29, v62
	v_add_f32_e32 v29, v26, v30
	v_fmac_f32_e32 v37, v39, v36
	s_delay_alu instid0(VALU_DEP_4) | instskip(NEXT) | instid1(VALU_DEP_4)
	v_fma_f32 v31, v38, v34, -v65
	v_fmac_f32_e32 v35, v39, v34
	v_fma_f32 v34, v38, v36, -v66
	s_wait_dscnt 0x1
	v_dual_mul_f32 v36, v32, v55 :: v_dual_add_f32 v27, v27, v64
	v_mul_f32_e32 v38, v33, v57
	v_add_f32_e32 v30, v24, v31
	v_dual_add_f32 v31, v25, v35 :: v_dual_add_f32 v34, v23, v34
	ds_load_2addr_b64 v[23:26], v18 offset0:64 offset1:80
	v_fmac_f32_e32 v36, v33, v54
	v_dual_mul_f32 v35, v33, v55 :: v_dual_add_f32 v22, v22, v37
	v_mul_f32_e32 v37, v32, v57
	s_delay_alu instid0(VALU_DEP_3) | instskip(NEXT) | instid1(VALU_DEP_3)
	v_add_f32_e32 v36, v28, v36
	v_fma_f32 v35, v32, v54, -v35
	v_fma_f32 v32, v32, v56, -v38
	v_mul_f32_e32 v28, v40, v55
	s_delay_alu instid0(VALU_DEP_3) | instskip(SKIP_1) | instid1(VALU_DEP_4)
	v_add_f32_e32 v1, v1, v35
	v_mul_f32_e32 v35, v41, v55
	v_add_f32_e32 v32, v29, v32
	v_fmac_f32_e32 v37, v33, v56
	v_mul_f32_e32 v33, v41, v57
	v_fmac_f32_e32 v28, v41, v54
	v_fma_f32 v29, v40, v54, -v35
	s_delay_alu instid0(VALU_DEP_4) | instskip(SKIP_4) | instid1(VALU_DEP_3)
	v_add_f32_e32 v35, v27, v37
	v_mul_f32_e32 v37, v40, v57
	v_fma_f32 v27, v40, v56, -v33
	s_wait_dscnt 0x0
	v_dual_add_f32 v38, v30, v29 :: v_dual_mul_f32 v29, v43, v24
	v_dual_mul_f32 v40, v43, v26 :: v_dual_fmac_f32 v37, v41, v56
	v_mul_f32_e32 v33, v42, v24
	v_add_f32_e32 v34, v34, v27
	s_delay_alu instid0(VALU_DEP_3) | instskip(SKIP_3) | instid1(VALU_DEP_2)
	v_add_f32_e32 v37, v22, v37
	v_mul_f32_e32 v22, v42, v26
	v_fma_f32 v39, v42, v23, -v29
	v_fmac_f32_e32 v33, v43, v23
	v_dual_fmac_f32 v22, v43, v25 :: v_dual_add_f32 v1, v1, v39
	v_fma_f32 v39, v42, v25, -v40
	v_add_f32_e32 v31, v31, v28
	ds_load_2addr_b64 v[27:30], v18 offset0:96 offset1:112
	v_dual_add_f32 v33, v36, v33 :: v_dual_mul_f32 v36, v59, v24
	v_mul_f32_e32 v24, v58, v24
	v_dual_add_f32 v32, v32, v39 :: v_dual_mul_f32 v39, v59, v26
	v_mul_f32_e32 v26, v58, v26
	s_delay_alu instid0(VALU_DEP_4) | instskip(NEXT) | instid1(VALU_DEP_4)
	v_fma_f32 v36, v58, v23, -v36
	v_fmac_f32_e32 v24, v59, v23
	v_add_f32_e32 v35, v35, v22
	v_fma_f32 v22, v58, v25, -v39
	v_fmac_f32_e32 v26, v59, v25
	v_add_f32_e32 v36, v38, v36
	s_delay_alu instid0(VALU_DEP_3)
	v_dual_add_f32 v38, v31, v24 :: v_dual_add_f32 v39, v34, v22
	ds_load_2addr_b64 v[22:25], v18 offset0:128 offset1:144
	s_wait_dscnt 0x1
	v_mul_f32_e32 v31, v45, v28
	v_mul_f32_e32 v34, v44, v28
	;; [unrolled: 1-line block ×4, first 2 shown]
	s_delay_alu instid0(VALU_DEP_4) | instskip(NEXT) | instid1(VALU_DEP_4)
	v_fma_f32 v31, v44, v27, -v31
	v_fmac_f32_e32 v34, v45, v27
	s_delay_alu instid0(VALU_DEP_2) | instskip(SKIP_1) | instid1(VALU_DEP_3)
	v_add_f32_e32 v1, v1, v31
	v_mul_f32_e32 v31, v61, v28
	v_dual_mul_f32 v28, v60, v28 :: v_dual_add_f32 v41, v33, v34
	s_delay_alu instid0(VALU_DEP_2) | instskip(NEXT) | instid1(VALU_DEP_2)
	v_fma_f32 v42, v60, v27, -v31
	v_fmac_f32_e32 v28, v61, v27
	s_wait_dscnt 0x0
	v_mul_f32_e32 v27, v47, v23
	v_fma_f32 v40, v44, v29, -v40
	v_add_f32_e32 v37, v37, v26
	v_mul_f32_e32 v26, v44, v30
	v_mul_f32_e32 v54, v46, v25
	s_delay_alu instid0(VALU_DEP_4) | instskip(SKIP_2) | instid1(VALU_DEP_1)
	v_add_f32_e32 v40, v32, v40
	ds_load_b128 v[31:34], v19 offset:1056
	v_dual_fmac_f32 v26, v45, v29 :: v_dual_mul_f32 v45, v46, v23
	v_add_f32_e32 v44, v35, v26
	v_fma_f32 v26, v60, v29, -v43
	v_fma_f32 v35, v46, v22, -v27
	v_mul_f32_e32 v30, v60, v30
	v_fmac_f32_e32 v45, v47, v22
	v_add_f32_e32 v42, v36, v42
	v_add_f32_e32 v39, v39, v26
	;; [unrolled: 1-line block ×4, first 2 shown]
	v_fmac_f32_e32 v30, v61, v29
	ds_load_2addr_b64 v[26:29], v18 offset0:160 offset1:176
	v_mul_f32_e32 v36, v47, v25
	v_add_f32_e32 v41, v41, v45
	v_add_f32_e32 v30, v37, v30
	s_delay_alu instid0(VALU_DEP_3)
	v_fma_f32 v46, v46, v24, -v36
	ds_load_b128 v[35:38], v19 offset:1072
	s_wait_dscnt 0x2
	v_mul_f32_e32 v55, v32, v23
	v_dual_mul_f32 v23, v31, v23 :: v_dual_add_f32 v40, v40, v46
	v_fmac_f32_e32 v54, v47, v24
	v_mul_f32_e32 v46, v32, v25
	s_delay_alu instid0(VALU_DEP_4) | instskip(NEXT) | instid1(VALU_DEP_4)
	v_fma_f32 v45, v31, v22, -v55
	v_fmac_f32_e32 v23, v32, v22
	s_delay_alu instid0(VALU_DEP_4) | instskip(SKIP_1) | instid1(VALU_DEP_3)
	v_dual_mul_f32 v47, v31, v25 :: v_dual_add_f32 v44, v44, v54
	s_wait_dscnt 0x1
	v_dual_add_f32 v42, v42, v45 :: v_dual_mul_f32 v25, v49, v27
	v_fma_f32 v22, v31, v24, -v46
	v_add_f32_e32 v31, v43, v23
	v_fmac_f32_e32 v47, v32, v24
	v_mul_f32_e32 v32, v48, v27
	v_fma_f32 v43, v48, v26, -v25
	v_add_f32_e32 v39, v39, v22
	ds_load_2addr_b64 v[22:25], v18 offset0:192 offset1:208
	v_fmac_f32_e32 v32, v49, v26
	v_dual_mul_f32 v45, v49, v29 :: v_dual_add_f32 v46, v30, v47
	v_dual_add_f32 v1, v1, v43 :: v_dual_mul_f32 v30, v48, v29
	s_delay_alu instid0(VALU_DEP_3) | instskip(NEXT) | instid1(VALU_DEP_3)
	v_dual_add_f32 v41, v41, v32 :: v_dual_mul_f32 v32, v34, v27
	v_fma_f32 v43, v48, v28, -v45
	s_delay_alu instid0(VALU_DEP_3) | instskip(NEXT) | instid1(VALU_DEP_3)
	v_fmac_f32_e32 v30, v49, v28
	v_fma_f32 v32, v33, v26, -v32
	s_delay_alu instid0(VALU_DEP_3) | instskip(SKIP_1) | instid1(VALU_DEP_3)
	v_dual_add_f32 v40, v40, v43 :: v_dual_mul_f32 v43, v34, v29
	v_mul_f32_e32 v27, v33, v27
	v_dual_mul_f32 v29, v33, v29 :: v_dual_add_f32 v42, v42, v32
	s_delay_alu instid0(VALU_DEP_2) | instskip(SKIP_2) | instid1(VALU_DEP_4)
	v_fmac_f32_e32 v27, v34, v26
	v_add_f32_e32 v26, v44, v30
	v_fma_f32 v30, v33, v28, -v43
	v_fmac_f32_e32 v29, v34, v28
	s_wait_dscnt 0x0
	v_mul_f32_e32 v34, v50, v23
	v_dual_add_f32 v27, v31, v27 :: v_dual_mul_f32 v44, v50, v25
	v_add_f32_e32 v28, v39, v30
	ds_load_2addr_b64 v[30:33], v18 offset0:224 offset1:240
	v_dual_add_f32 v29, v46, v29 :: v_dual_fmac_f32 v34, v51, v22
	v_mul_f32_e32 v43, v51, v23
	v_fmac_f32_e32 v44, v51, v24
	s_wait_loadcnt_dscnt 0x0
	s_barrier_signal -1
	v_add_f32_e32 v34, v41, v34
	v_fma_f32 v39, v50, v22, -v43
	v_mul_f32_e32 v43, v51, v25
	v_mul_f32_e32 v41, v36, v25
	;; [unrolled: 1-line block ×3, first 2 shown]
	s_barrier_wait -1
	v_add_f32_e32 v1, v1, v39
	v_fma_f32 v43, v50, v24, -v43
	v_mul_f32_e32 v39, v36, v23
	v_fmac_f32_e32 v25, v36, v24
	global_inv scope:SCOPE_SE
	v_dual_add_f32 v40, v40, v43 :: v_dual_add_f32 v43, v26, v44
	v_fma_f32 v26, v35, v24, -v41
	v_mul_f32_e32 v23, v35, v23
	s_delay_alu instid0(VALU_DEP_1) | instskip(NEXT) | instid1(VALU_DEP_3)
	v_fmac_f32_e32 v23, v36, v22
	v_add_f32_e32 v36, v28, v26
	v_mul_f32_e32 v26, v53, v33
	v_fma_f32 v39, v35, v22, -v39
	v_mul_f32_e32 v35, v53, v31
	s_delay_alu instid0(VALU_DEP_2) | instskip(NEXT) | instid1(VALU_DEP_2)
	v_add_f32_e32 v22, v42, v39
	v_fma_f32 v24, v52, v30, -v35
	v_add_f32_e32 v35, v29, v25
	v_mul_f32_e32 v25, v37, v31
	s_delay_alu instid0(VALU_DEP_3) | instskip(SKIP_4) | instid1(VALU_DEP_4)
	v_add_f32_e32 v28, v1, v24
	v_fma_f32 v1, v52, v32, -v26
	v_mul_f32_e32 v24, v38, v31
	v_add_f32_e32 v23, v27, v23
	v_mul_f32_e32 v27, v52, v33
	v_dual_fmac_f32 v25, v38, v30 :: v_dual_add_f32 v26, v40, v1
	s_delay_alu instid0(VALU_DEP_4) | instskip(SKIP_3) | instid1(VALU_DEP_4)
	v_fma_f32 v1, v37, v30, -v24
	v_mul_f32_e32 v39, v52, v31
	v_mul_f32_e32 v31, v38, v33
	;; [unrolled: 1-line block ×3, first 2 shown]
	v_dual_fmac_f32 v27, v53, v32 :: v_dual_add_f32 v24, v22, v1
	s_delay_alu instid0(VALU_DEP_4) | instskip(NEXT) | instid1(VALU_DEP_4)
	v_fmac_f32_e32 v39, v53, v30
	v_fma_f32 v30, v37, v32, -v31
	s_delay_alu instid0(VALU_DEP_4) | instskip(NEXT) | instid1(VALU_DEP_4)
	v_fmac_f32_e32 v33, v38, v32
	v_add_f32_e32 v27, v43, v27
	v_add_f32_e32 v25, v23, v25
	v_add_f32_e32 v29, v34, v39
	s_delay_alu instid0(VALU_DEP_4)
	v_dual_add_f32 v23, v36, v30 :: v_dual_add_f32 v22, v35, v33
	s_wait_alu 0xfffe
	s_cbranch_vccz .LBB110_15
.LBB110_7:                              ;   Parent Loop BB110_4 Depth=1
                                        ; =>  This Inner Loop Header: Depth=2
	s_wait_alu 0xfffe
	v_add_co_u32 v30, s29, v14, s24
	s_wait_alu 0xf1ff
	v_add_co_ci_u32_e64 v31, null, 0, s25, s29
	s_delay_alu instid0(VALU_DEP_1)
	v_cmp_le_i64_e32 vcc_lo, s[12:13], v[30:31]
	s_or_b32 s29, s27, vcc_lo
	s_wait_alu 0xfffe
	s_and_saveexec_b32 s30, s29
	s_wait_alu 0xfffe
	s_xor_b32 s29, exec_lo, s30
; %bb.8:                                ;   in Loop: Header=BB110_7 Depth=2
	v_mov_b32_e32 v1, v0
	ds_store_b64 v16, v[0:1]
; %bb.9:                                ;   in Loop: Header=BB110_7 Depth=2
	s_wait_alu 0xfffe
	s_and_not1_saveexec_b32 s29, s29
	s_cbranch_execz .LBB110_11
; %bb.10:                               ;   in Loop: Header=BB110_7 Depth=2
	global_load_b64 v[30:31], v[12:13], off
	s_wait_loadcnt 0x0
	ds_store_b64 v16, v[30:31]
.LBB110_11:                             ;   in Loop: Header=BB110_7 Depth=2
	s_wait_alu 0xfffe
	s_or_b32 exec_lo, exec_lo, s29
	v_add_co_u32 v30, s29, v15, s24
	s_wait_alu 0xf1ff
	v_add_co_ci_u32_e64 v31, null, 0, s25, s29
	s_delay_alu instid0(VALU_DEP_1)
	v_cmp_le_i64_e32 vcc_lo, s[12:13], v[30:31]
	s_or_b32 s29, vcc_lo, s28
	s_wait_alu 0xfffe
	s_and_saveexec_b32 s30, s29
	s_wait_alu 0xfffe
	s_xor_b32 s29, exec_lo, s30
; %bb.12:                               ;   in Loop: Header=BB110_7 Depth=2
	v_mov_b32_e32 v1, v0
	ds_store_b64 v17, v[0:1]
; %bb.13:                               ;   in Loop: Header=BB110_7 Depth=2
	s_wait_alu 0xfffe
	s_and_not1_saveexec_b32 s29, s29
	s_cbranch_execz .LBB110_6
; %bb.14:                               ;   in Loop: Header=BB110_7 Depth=2
	global_load_b64 v[30:31], v[10:11], off
	s_wait_loadcnt 0x0
	ds_store_b64 v17, v[30:31]
	s_branch .LBB110_6
.LBB110_15:                             ;   in Loop: Header=BB110_4 Depth=1
	s_mul_u64 s[24:25], s[38:39], s[6:7]
	s_and_not1_b32 vcc_lo, exec_lo, s46
	s_wait_alu 0xfffe
	s_lshl_b64 s[24:25], s[24:25], 3
	s_mov_b32 s29, -1
	s_wait_alu 0xfffe
	s_add_nc_u64 s[24:25], s[22:23], s[24:25]
	s_cbranch_vccz .LBB110_17
; %bb.16:                               ;   in Loop: Header=BB110_4 Depth=1
	s_and_not1_b32 vcc_lo, exec_lo, s29
	s_wait_alu 0xfffe
	s_cbranch_vccnz .LBB110_3
	s_branch .LBB110_28
.LBB110_17:                             ;   in Loop: Header=BB110_4 Depth=1
	s_and_saveexec_b32 s29, s0
	s_cbranch_execz .LBB110_27
; %bb.18:                               ;   in Loop: Header=BB110_4 Depth=1
	s_wait_alu 0xfffe
	v_add_co_u32 v1, vcc_lo, s24, v6
	s_wait_alu 0xfffd
	v_add_co_ci_u32_e64 v10, null, s25, v7, vcc_lo
	s_and_saveexec_b32 s30, s1
	s_cbranch_execnz .LBB110_21
; %bb.19:                               ;   in Loop: Header=BB110_4 Depth=1
	s_wait_alu 0xfffe
	s_or_b32 exec_lo, exec_lo, s30
	s_and_saveexec_b32 s30, s2
	s_cbranch_execnz .LBB110_22
.LBB110_20:                             ;   in Loop: Header=BB110_4 Depth=1
	s_wait_alu 0xfffe
	s_or_b32 exec_lo, exec_lo, s30
	s_delay_alu instid0(SALU_CYCLE_1)
	s_and_b32 exec_lo, exec_lo, s3
	s_cbranch_execnz .LBB110_23
	s_branch .LBB110_27
.LBB110_21:                             ;   in Loop: Header=BB110_4 Depth=1
	v_mul_f32_e32 v12, s14, v29
	v_mul_f32_e32 v11, s15, v29
	v_add_co_u32 v30, vcc_lo, v1, v8
	s_wait_alu 0xfffd
	v_add_co_ci_u32_e64 v31, null, v10, v9, vcc_lo
	v_fmac_f32_e32 v12, s15, v28
	v_fma_f32 v11, v28, s14, -v11
	global_store_b64 v[30:31], v[11:12], off
	s_wait_alu 0xfffe
	s_or_b32 exec_lo, exec_lo, s30
	s_and_saveexec_b32 s30, s2
	s_cbranch_execz .LBB110_20
.LBB110_22:                             ;   in Loop: Header=BB110_4 Depth=1
	v_mul_f32_e32 v12, s14, v27
	v_mul_f32_e32 v11, s15, v27
	v_add_co_u32 v30, vcc_lo, v1, v8
	s_wait_alu 0xfffd
	v_add_co_ci_u32_e64 v31, null, v10, v9, vcc_lo
	v_fmac_f32_e32 v12, s15, v26
	v_fma_f32 v11, v26, s14, -v11
	global_store_b64 v[30:31], v[11:12], off offset:128
	s_wait_alu 0xfffe
	s_or_b32 exec_lo, exec_lo, s30
	s_delay_alu instid0(SALU_CYCLE_1)
	s_and_b32 exec_lo, exec_lo, s3
	s_cbranch_execz .LBB110_27
.LBB110_23:                             ;   in Loop: Header=BB110_4 Depth=1
	s_lshl_b64 s[30:31], s[8:9], 3
	s_wait_alu 0xfffe
	v_add_co_u32 v1, vcc_lo, v1, s30
	s_wait_alu 0xfffd
	v_add_co_ci_u32_e64 v11, null, s31, v10, vcc_lo
	s_delay_alu instid0(VALU_DEP_2) | instskip(SKIP_1) | instid1(VALU_DEP_2)
	v_add_co_u32 v10, vcc_lo, v1, v8
	s_wait_alu 0xfffd
	v_add_co_ci_u32_e64 v11, null, v11, v9, vcc_lo
	s_and_saveexec_b32 s30, s1
	s_cbranch_execz .LBB110_25
; %bb.24:                               ;   in Loop: Header=BB110_4 Depth=1
	v_mul_f32_e32 v1, s15, v25
	v_mul_f32_e32 v13, s14, v25
	s_delay_alu instid0(VALU_DEP_2) | instskip(NEXT) | instid1(VALU_DEP_2)
	v_fma_f32 v12, v24, s14, -v1
	v_fmac_f32_e32 v13, s15, v24
	global_store_b64 v[10:11], v[12:13], off
.LBB110_25:                             ;   in Loop: Header=BB110_4 Depth=1
	s_wait_alu 0xfffe
	s_or_b32 exec_lo, exec_lo, s30
	s_delay_alu instid0(SALU_CYCLE_1)
	s_and_b32 exec_lo, exec_lo, s2
	s_cbranch_execz .LBB110_27
; %bb.26:                               ;   in Loop: Header=BB110_4 Depth=1
	v_mul_f32_e32 v1, s15, v22
	v_mul_f32_e32 v13, s14, v22
	s_delay_alu instid0(VALU_DEP_2) | instskip(NEXT) | instid1(VALU_DEP_2)
	v_fma_f32 v12, v23, s14, -v1
	v_fmac_f32_e32 v13, s15, v23
	global_store_b64 v[10:11], v[12:13], off offset:128
.LBB110_27:                             ;   in Loop: Header=BB110_4 Depth=1
	s_wait_alu 0xfffe
	s_or_b32 exec_lo, exec_lo, s29
	s_cbranch_execnz .LBB110_3
.LBB110_28:                             ;   in Loop: Header=BB110_4 Depth=1
	s_and_saveexec_b32 s29, s0
	s_cbranch_execz .LBB110_2
; %bb.29:                               ;   in Loop: Header=BB110_4 Depth=1
	s_mul_u64 s[30:31], s[20:21], s[6:7]
	s_wait_alu 0xfffe
	s_lshl_b64 s[30:31], s[30:31], 3
	s_wait_alu 0xfffe
	v_add_co_u32 v11, vcc_lo, v20, s30
	s_wait_alu 0xfffd
	v_add_co_ci_u32_e64 v12, null, s31, v21, vcc_lo
	v_add_co_u32 v1, vcc_lo, s24, v6
	s_wait_alu 0xfffd
	v_add_co_ci_u32_e64 v10, null, s25, v7, vcc_lo
	s_and_saveexec_b32 s24, s1
	s_cbranch_execnz .LBB110_32
; %bb.30:                               ;   in Loop: Header=BB110_4 Depth=1
	s_wait_alu 0xfffe
	s_or_b32 exec_lo, exec_lo, s24
	s_and_saveexec_b32 s24, s2
	s_cbranch_execnz .LBB110_33
.LBB110_31:                             ;   in Loop: Header=BB110_4 Depth=1
	s_wait_alu 0xfffe
	s_or_b32 exec_lo, exec_lo, s24
	s_delay_alu instid0(SALU_CYCLE_1)
	s_and_b32 exec_lo, exec_lo, s3
	s_cbranch_execz .LBB110_2
	s_branch .LBB110_34
.LBB110_32:                             ;   in Loop: Header=BB110_4 Depth=1
	v_add_co_u32 v30, vcc_lo, v11, v8
	s_wait_alu 0xfffd
	v_add_co_ci_u32_e64 v31, null, v12, v9, vcc_lo
	global_load_b64 v[30:31], v[30:31], off
	s_wait_loadcnt 0x0
	v_dual_mul_f32 v13, s15, v29 :: v_dual_mul_f32 v32, s35, v31
	v_mul_f32_e32 v31, s34, v31
	s_delay_alu instid0(VALU_DEP_2) | instskip(SKIP_1) | instid1(VALU_DEP_3)
	v_fma_f32 v13, v28, s14, -v13
	v_mul_f32_e32 v29, s14, v29
	v_fmac_f32_e32 v31, s35, v30
	s_delay_alu instid0(VALU_DEP_2) | instskip(SKIP_2) | instid1(VALU_DEP_3)
	v_fmac_f32_e32 v29, s15, v28
	v_fma_f32 v28, v30, s34, -v32
	v_add_co_u32 v30, vcc_lo, v1, v8
	v_add_f32_e32 v29, v29, v31
	s_delay_alu instid0(VALU_DEP_3)
	v_add_f32_e32 v28, v13, v28
	s_wait_alu 0xfffd
	v_add_co_ci_u32_e64 v31, null, v10, v9, vcc_lo
	global_store_b64 v[30:31], v[28:29], off
	s_wait_alu 0xfffe
	s_or_b32 exec_lo, exec_lo, s24
	s_and_saveexec_b32 s24, s2
	s_cbranch_execz .LBB110_31
.LBB110_33:                             ;   in Loop: Header=BB110_4 Depth=1
	v_add_co_u32 v28, vcc_lo, v11, v8
	s_wait_alu 0xfffd
	v_add_co_ci_u32_e64 v29, null, v12, v9, vcc_lo
	global_load_b64 v[28:29], v[28:29], off offset:128
	s_wait_loadcnt 0x0
	v_dual_mul_f32 v13, s15, v27 :: v_dual_mul_f32 v30, s35, v29
	v_mul_f32_e32 v29, s34, v29
	s_delay_alu instid0(VALU_DEP_2) | instskip(SKIP_1) | instid1(VALU_DEP_3)
	v_fma_f32 v13, v26, s14, -v13
	v_mul_f32_e32 v27, s14, v27
	v_fmac_f32_e32 v29, s35, v28
	s_delay_alu instid0(VALU_DEP_2) | instskip(SKIP_2) | instid1(VALU_DEP_2)
	v_fmac_f32_e32 v27, s15, v26
	v_fma_f32 v26, v28, s34, -v30
	v_add_co_u32 v28, vcc_lo, v1, v8
	v_dual_add_f32 v27, v27, v29 :: v_dual_add_f32 v26, v13, v26
	s_wait_alu 0xfffd
	v_add_co_ci_u32_e64 v29, null, v10, v9, vcc_lo
	global_store_b64 v[28:29], v[26:27], off offset:128
	s_wait_alu 0xfffe
	s_or_b32 exec_lo, exec_lo, s24
	s_delay_alu instid0(SALU_CYCLE_1)
	s_and_b32 exec_lo, exec_lo, s3
	s_cbranch_execz .LBB110_2
.LBB110_34:                             ;   in Loop: Header=BB110_4 Depth=1
	v_add_co_u32 v11, vcc_lo, v11, s4
	s_lshl_b64 s[24:25], s[8:9], 3
	s_wait_alu 0xfffd
	v_add_co_ci_u32_e64 v13, null, s5, v12, vcc_lo
	s_wait_alu 0xfffe
	v_add_co_u32 v1, vcc_lo, v1, s24
	s_wait_alu 0xfffd
	v_add_co_ci_u32_e64 v26, null, s25, v10, vcc_lo
	v_add_co_u32 v12, vcc_lo, v11, v8
	s_wait_alu 0xfffd
	v_add_co_ci_u32_e64 v13, null, v13, v9, vcc_lo
	;; [unrolled: 3-line block ×3, first 2 shown]
	s_and_saveexec_b32 s24, s1
	s_cbranch_execz .LBB110_36
; %bb.35:                               ;   in Loop: Header=BB110_4 Depth=1
	global_load_b64 v[26:27], v[12:13], off
	s_wait_loadcnt 0x0
	v_dual_mul_f32 v1, s15, v25 :: v_dual_mul_f32 v28, s35, v27
	v_mul_f32_e32 v27, s34, v27
	s_delay_alu instid0(VALU_DEP_2) | instskip(SKIP_1) | instid1(VALU_DEP_3)
	v_fma_f32 v1, v24, s14, -v1
	v_mul_f32_e32 v25, s14, v25
	v_fmac_f32_e32 v27, s35, v26
	s_delay_alu instid0(VALU_DEP_2) | instskip(SKIP_1) | instid1(VALU_DEP_2)
	v_fmac_f32_e32 v25, s15, v24
	v_fma_f32 v24, v26, s34, -v28
	v_add_f32_e32 v25, v25, v27
	s_delay_alu instid0(VALU_DEP_2)
	v_add_f32_e32 v24, v1, v24
	global_store_b64 v[10:11], v[24:25], off
.LBB110_36:                             ;   in Loop: Header=BB110_4 Depth=1
	s_wait_alu 0xfffe
	s_or_b32 exec_lo, exec_lo, s24
	s_delay_alu instid0(SALU_CYCLE_1)
	s_and_b32 exec_lo, exec_lo, s2
	s_cbranch_execz .LBB110_2
; %bb.37:                               ;   in Loop: Header=BB110_4 Depth=1
	global_load_b64 v[12:13], v[12:13], off offset:128
	v_mul_f32_e32 v1, s15, v22
	v_mul_f32_e32 v22, s14, v22
	s_wait_loadcnt 0x0
	v_mul_f32_e32 v24, s35, v13
	v_mul_f32_e32 v13, s34, v13
	v_fma_f32 v1, v23, s14, -v1
	v_fmac_f32_e32 v22, s15, v23
	s_delay_alu instid0(VALU_DEP_4) | instskip(NEXT) | instid1(VALU_DEP_1)
	v_fma_f32 v23, v12, s34, -v24
	v_dual_fmac_f32 v13, s35, v12 :: v_dual_add_f32 v12, v1, v23
	s_delay_alu instid0(VALU_DEP_1)
	v_add_f32_e32 v13, v22, v13
	global_store_b64 v[10:11], v[12:13], off offset:128
	s_branch .LBB110_2
.LBB110_38:
	s_endpgm
	.section	.rodata,"a",@progbits
	.p2align	6, 0x0
	.amdhsa_kernel _ZN12_GLOBAL__N_135rocblas_gemm_batched_general_kernelI19rocblas_complex_numIfELi16ELi16ELi32ELi32ELi8ELi32ELi8ELi8ELi32ELc84ELc84EKS2_S3_S2_EEvlllT_PT11_llS6_llS4_PT12_llPT13_lli
		.amdhsa_group_segment_fixed_size 4096
		.amdhsa_private_segment_fixed_size 0
		.amdhsa_kernarg_size 140
		.amdhsa_user_sgpr_count 2
		.amdhsa_user_sgpr_dispatch_ptr 0
		.amdhsa_user_sgpr_queue_ptr 0
		.amdhsa_user_sgpr_kernarg_segment_ptr 1
		.amdhsa_user_sgpr_dispatch_id 0
		.amdhsa_user_sgpr_private_segment_size 0
		.amdhsa_wavefront_size32 1
		.amdhsa_uses_dynamic_stack 0
		.amdhsa_enable_private_segment 0
		.amdhsa_system_sgpr_workgroup_id_x 1
		.amdhsa_system_sgpr_workgroup_id_y 1
		.amdhsa_system_sgpr_workgroup_id_z 1
		.amdhsa_system_sgpr_workgroup_info 0
		.amdhsa_system_vgpr_workitem_id 1
		.amdhsa_next_free_vgpr 67
		.amdhsa_next_free_sgpr 48
		.amdhsa_reserve_vcc 1
		.amdhsa_float_round_mode_32 0
		.amdhsa_float_round_mode_16_64 0
		.amdhsa_float_denorm_mode_32 3
		.amdhsa_float_denorm_mode_16_64 3
		.amdhsa_fp16_overflow 0
		.amdhsa_workgroup_processor_mode 1
		.amdhsa_memory_ordered 1
		.amdhsa_forward_progress 1
		.amdhsa_inst_pref_size 28
		.amdhsa_round_robin_scheduling 0
		.amdhsa_exception_fp_ieee_invalid_op 0
		.amdhsa_exception_fp_denorm_src 0
		.amdhsa_exception_fp_ieee_div_zero 0
		.amdhsa_exception_fp_ieee_overflow 0
		.amdhsa_exception_fp_ieee_underflow 0
		.amdhsa_exception_fp_ieee_inexact 0
		.amdhsa_exception_int_div_zero 0
	.end_amdhsa_kernel
	.section	.text._ZN12_GLOBAL__N_135rocblas_gemm_batched_general_kernelI19rocblas_complex_numIfELi16ELi16ELi32ELi32ELi8ELi32ELi8ELi8ELi32ELc84ELc84EKS2_S3_S2_EEvlllT_PT11_llS6_llS4_PT12_llPT13_lli,"axG",@progbits,_ZN12_GLOBAL__N_135rocblas_gemm_batched_general_kernelI19rocblas_complex_numIfELi16ELi16ELi32ELi32ELi8ELi32ELi8ELi8ELi32ELc84ELc84EKS2_S3_S2_EEvlllT_PT11_llS6_llS4_PT12_llPT13_lli,comdat
.Lfunc_end110:
	.size	_ZN12_GLOBAL__N_135rocblas_gemm_batched_general_kernelI19rocblas_complex_numIfELi16ELi16ELi32ELi32ELi8ELi32ELi8ELi8ELi32ELc84ELc84EKS2_S3_S2_EEvlllT_PT11_llS6_llS4_PT12_llPT13_lli, .Lfunc_end110-_ZN12_GLOBAL__N_135rocblas_gemm_batched_general_kernelI19rocblas_complex_numIfELi16ELi16ELi32ELi32ELi8ELi32ELi8ELi8ELi32ELc84ELc84EKS2_S3_S2_EEvlllT_PT11_llS6_llS4_PT12_llPT13_lli
                                        ; -- End function
	.set _ZN12_GLOBAL__N_135rocblas_gemm_batched_general_kernelI19rocblas_complex_numIfELi16ELi16ELi32ELi32ELi8ELi32ELi8ELi8ELi32ELc84ELc84EKS2_S3_S2_EEvlllT_PT11_llS6_llS4_PT12_llPT13_lli.num_vgpr, 67
	.set _ZN12_GLOBAL__N_135rocblas_gemm_batched_general_kernelI19rocblas_complex_numIfELi16ELi16ELi32ELi32ELi8ELi32ELi8ELi8ELi32ELc84ELc84EKS2_S3_S2_EEvlllT_PT11_llS6_llS4_PT12_llPT13_lli.num_agpr, 0
	.set _ZN12_GLOBAL__N_135rocblas_gemm_batched_general_kernelI19rocblas_complex_numIfELi16ELi16ELi32ELi32ELi8ELi32ELi8ELi8ELi32ELc84ELc84EKS2_S3_S2_EEvlllT_PT11_llS6_llS4_PT12_llPT13_lli.numbered_sgpr, 48
	.set _ZN12_GLOBAL__N_135rocblas_gemm_batched_general_kernelI19rocblas_complex_numIfELi16ELi16ELi32ELi32ELi8ELi32ELi8ELi8ELi32ELc84ELc84EKS2_S3_S2_EEvlllT_PT11_llS6_llS4_PT12_llPT13_lli.num_named_barrier, 0
	.set _ZN12_GLOBAL__N_135rocblas_gemm_batched_general_kernelI19rocblas_complex_numIfELi16ELi16ELi32ELi32ELi8ELi32ELi8ELi8ELi32ELc84ELc84EKS2_S3_S2_EEvlllT_PT11_llS6_llS4_PT12_llPT13_lli.private_seg_size, 0
	.set _ZN12_GLOBAL__N_135rocblas_gemm_batched_general_kernelI19rocblas_complex_numIfELi16ELi16ELi32ELi32ELi8ELi32ELi8ELi8ELi32ELc84ELc84EKS2_S3_S2_EEvlllT_PT11_llS6_llS4_PT12_llPT13_lli.uses_vcc, 1
	.set _ZN12_GLOBAL__N_135rocblas_gemm_batched_general_kernelI19rocblas_complex_numIfELi16ELi16ELi32ELi32ELi8ELi32ELi8ELi8ELi32ELc84ELc84EKS2_S3_S2_EEvlllT_PT11_llS6_llS4_PT12_llPT13_lli.uses_flat_scratch, 0
	.set _ZN12_GLOBAL__N_135rocblas_gemm_batched_general_kernelI19rocblas_complex_numIfELi16ELi16ELi32ELi32ELi8ELi32ELi8ELi8ELi32ELc84ELc84EKS2_S3_S2_EEvlllT_PT11_llS6_llS4_PT12_llPT13_lli.has_dyn_sized_stack, 0
	.set _ZN12_GLOBAL__N_135rocblas_gemm_batched_general_kernelI19rocblas_complex_numIfELi16ELi16ELi32ELi32ELi8ELi32ELi8ELi8ELi32ELc84ELc84EKS2_S3_S2_EEvlllT_PT11_llS6_llS4_PT12_llPT13_lli.has_recursion, 0
	.set _ZN12_GLOBAL__N_135rocblas_gemm_batched_general_kernelI19rocblas_complex_numIfELi16ELi16ELi32ELi32ELi8ELi32ELi8ELi8ELi32ELc84ELc84EKS2_S3_S2_EEvlllT_PT11_llS6_llS4_PT12_llPT13_lli.has_indirect_call, 0
	.section	.AMDGPU.csdata,"",@progbits
; Kernel info:
; codeLenInByte = 3496
; TotalNumSgprs: 50
; NumVgprs: 67
; ScratchSize: 0
; MemoryBound: 1
; FloatMode: 240
; IeeeMode: 1
; LDSByteSize: 4096 bytes/workgroup (compile time only)
; SGPRBlocks: 0
; VGPRBlocks: 8
; NumSGPRsForWavesPerEU: 50
; NumVGPRsForWavesPerEU: 67
; Occupancy: 16
; WaveLimiterHint : 0
; COMPUTE_PGM_RSRC2:SCRATCH_EN: 0
; COMPUTE_PGM_RSRC2:USER_SGPR: 2
; COMPUTE_PGM_RSRC2:TRAP_HANDLER: 0
; COMPUTE_PGM_RSRC2:TGID_X_EN: 1
; COMPUTE_PGM_RSRC2:TGID_Y_EN: 1
; COMPUTE_PGM_RSRC2:TGID_Z_EN: 1
; COMPUTE_PGM_RSRC2:TIDIG_COMP_CNT: 1
	.section	.text._ZN12_GLOBAL__N_135rocblas_gemm_batched_general_kernelI19rocblas_complex_numIfELi16ELi16ELi32ELi32ELi8ELi32ELi8ELi8ELi32ELc67ELc67EKS2_S3_S2_EEvlllT_PT11_llS6_llS4_PT12_llPT13_lli,"axG",@progbits,_ZN12_GLOBAL__N_135rocblas_gemm_batched_general_kernelI19rocblas_complex_numIfELi16ELi16ELi32ELi32ELi8ELi32ELi8ELi8ELi32ELc67ELc67EKS2_S3_S2_EEvlllT_PT11_llS6_llS4_PT12_llPT13_lli,comdat
	.globl	_ZN12_GLOBAL__N_135rocblas_gemm_batched_general_kernelI19rocblas_complex_numIfELi16ELi16ELi32ELi32ELi8ELi32ELi8ELi8ELi32ELc67ELc67EKS2_S3_S2_EEvlllT_PT11_llS6_llS4_PT12_llPT13_lli ; -- Begin function _ZN12_GLOBAL__N_135rocblas_gemm_batched_general_kernelI19rocblas_complex_numIfELi16ELi16ELi32ELi32ELi8ELi32ELi8ELi8ELi32ELc67ELc67EKS2_S3_S2_EEvlllT_PT11_llS6_llS4_PT12_llPT13_lli
	.p2align	8
	.type	_ZN12_GLOBAL__N_135rocblas_gemm_batched_general_kernelI19rocblas_complex_numIfELi16ELi16ELi32ELi32ELi8ELi32ELi8ELi8ELi32ELc67ELc67EKS2_S3_S2_EEvlllT_PT11_llS6_llS4_PT12_llPT13_lli,@function
_ZN12_GLOBAL__N_135rocblas_gemm_batched_general_kernelI19rocblas_complex_numIfELi16ELi16ELi32ELi32ELi8ELi32ELi8ELi8ELi32ELc67ELc67EKS2_S3_S2_EEvlllT_PT11_llS6_llS4_PT12_llPT13_lli: ; @_ZN12_GLOBAL__N_135rocblas_gemm_batched_general_kernelI19rocblas_complex_numIfELi16ELi16ELi32ELi32ELi8ELi32ELi8ELi8ELi32ELc67ELc67EKS2_S3_S2_EEvlllT_PT11_llS6_llS4_PT12_llPT13_lli
; %bb.0:
	s_load_b32 s33, s[0:1], 0x88
	s_lshr_b32 s6, ttmp7, 16
	s_wait_kmcnt 0x0
	s_cmp_ge_i32 s6, s33
	s_cbranch_scc1 .LBB111_38
; %bb.1:
	s_mov_b32 s2, ttmp9
	s_ashr_i32 s3, ttmp9, 31
	v_bfe_u32 v4, v0, 10, 10
	s_lshl_b64 s[44:45], s[2:3], 5
	s_delay_alu instid0(SALU_CYCLE_1)
	v_dual_mov_b32 v1, s45 :: v_dual_and_b32 v8, 0x3ff, v0
	s_clause 0x5
	s_load_b256 s[8:15], s[0:1], 0x0
	s_load_b256 s[24:31], s[0:1], 0x20
	s_load_b128 s[36:39], s[0:1], 0x78
	s_load_b256 s[16:23], s[0:1], 0x58
	s_load_b128 s[40:43], s[0:1], 0x40
	s_load_b64 s[34:35], s[0:1], 0x50
	v_lshl_add_u32 v25, v4, 4, v8
	v_dual_mov_b32 v14, 0 :: v_dual_and_b32 v13, 7, v0
	s_and_b32 s47, ttmp7, 0xffff
	v_lshl_add_u32 v18, v4, 6, 0x800
	s_delay_alu instid0(VALU_DEP_3)
	v_and_b32_e32 v2, 31, v25
	v_lshrrev_b32_e32 v5, 3, v25
	v_lshlrev_b32_e32 v7, 3, v13
	s_lshl_b32 s0, s47, 5
	v_lshrrev_b32_e32 v12, 5, v25
	v_or_b32_e32 v0, s44, v2
	v_lshlrev_b32_e32 v6, 3, v2
	v_add_co_u32 v2, s1, v5, s0
	v_lshl_or_b32 v5, v5, 6, v7
	s_wait_kmcnt 0x0
	v_cmp_gt_i64_e32 vcc_lo, s[8:9], v[0:1]
	v_add_co_u32 v1, s0, s0, v4
	v_lshl_or_b32 v15, v12, 8, v6
	v_mad_co_u64_u32 v[10:11], null, s40, v13, 0
	v_add_nc_u32_e32 v16, 0x800, v5
	s_delay_alu instid0(VALU_DEP_4)
	v_mad_co_u64_u32 v[4:5], null, v1, s36, 0
	v_mad_co_u64_u32 v[6:7], null, v1, s18, 0
	s_wait_alu 0xf1ff
	v_add_co_ci_u32_e64 v3, null, 0, 0, s1
	s_or_b32 s1, s34, s35
	v_lshlrev_b32_e32 v17, 3, v8
	s_wait_alu 0xfffe
	s_bitset0_b32 s1, 31
	v_cmp_gt_i64_e64 s4, s[10:11], v[2:3]
	v_mov_b32_e32 v3, v5
	v_mov_b32_e32 v5, v7
	s_wait_alu 0xfffe
	s_cmp_eq_u32 s1, 0
	v_add_co_u32 v8, s1, s44, v8
	v_add_co_ci_u32_e64 v2, null, 0, 0, s0
	v_mad_co_u64_u32 v[21:22], null, v1, s19, v[5:6]
	v_mad_co_u64_u32 v[22:23], null, v1, s37, v[3:4]
	v_mov_b32_e32 v3, v11
	s_wait_alu 0xf1ff
	v_add_co_ci_u32_e64 v9, null, s45, 0, s1
	v_add_co_u32 v19, s1, v8, 16
	s_delay_alu instid0(VALU_DEP_3)
	v_mad_co_u64_u32 v[23:24], null, s41, v13, v[3:4]
	v_mov_b32_e32 v7, v21
	v_cmp_gt_i64_e64 s0, s[10:11], v[1:2]
	s_wait_alu 0xf1ff
	v_add_co_ci_u32_e64 v20, null, 0, v9, s1
	v_add_co_u32 v1, s1, v1, 16
	s_wait_alu 0xf1ff
	v_add_co_ci_u32_e64 v2, null, 0, v2, s1
	v_mov_b32_e32 v11, v23
	v_lshlrev_b64_e32 v[6:7], 3, v[6:7]
	v_cmp_gt_i64_e64 s2, s[8:9], v[19:20]
	s_delay_alu instid0(VALU_DEP_4) | instskip(SKIP_4) | instid1(VALU_DEP_1)
	v_cmp_gt_i64_e64 s3, s[10:11], v[1:2]
	s_cselect_b32 s46, -1, 0
	v_lshlrev_b64_e32 v[1:2], 3, v[10:11]
	v_mul_lo_u32 v10, s27, v0
	v_add_co_u32 v19, s5, s16, v6
	v_add_co_ci_u32_e64 v20, null, s17, v7, s5
	s_lshl_b32 s5, s47, 8
	v_mad_co_u64_u32 v[6:7], null, s26, v0, 0
	v_and_b32_e32 v3, 0x1ff8, v25
	s_wait_alu 0xfffe
	v_add_co_u32 v0, s5, v1, s5
	s_wait_alu 0xf1ff
	v_add_co_ci_u32_e64 v1, null, 0, v2, s5
	s_mul_i32 s10, s26, s45
	v_add_co_u32 v0, s5, v0, v3
	s_wait_alu 0xfffe
	v_add3_u32 v7, v7, s10, v10
	s_wait_alu 0xf1ff
	v_add_co_ci_u32_e64 v1, null, 0, v1, s5
	v_add_co_u32 v0, s5, s30, v0
	s_delay_alu instid0(VALU_DEP_3) | instskip(SKIP_1) | instid1(VALU_DEP_3)
	v_lshlrev_b64_e32 v[2:3], 3, v[6:7]
	s_wait_alu 0xf1ff
	v_add_co_ci_u32_e64 v1, null, s31, v1, s5
	v_lshlrev_b32_e32 v6, 3, v12
	v_add_co_u32 v0, s5, v0, 4
	s_wait_alu 0xf1ff
	s_delay_alu instid0(VALU_DEP_3) | instskip(NEXT) | instid1(VALU_DEP_3)
	v_add_co_ci_u32_e64 v1, null, 0, v1, s5
	v_add_co_u32 v2, s5, v2, v6
	s_wait_alu 0xf1ff
	v_add_co_ci_u32_e64 v3, null, 0, v3, s5
	v_mov_b32_e32 v5, v22
	s_delay_alu instid0(VALU_DEP_3) | instskip(SKIP_1) | instid1(VALU_DEP_3)
	v_add_co_u32 v2, s5, s24, v2
	s_wait_alu 0xf1ff
	v_add_co_ci_u32_e64 v3, null, s25, v3, s5
	v_cmp_gt_i64_e64 s1, s[8:9], v[8:9]
	s_delay_alu instid0(VALU_DEP_3)
	v_add_co_u32 v2, s5, v2, 4
	v_cmp_gt_i64_e64 s26, s[12:13], 0
	v_lshlrev_b64_e32 v[4:5], 3, v[4:5]
	v_lshlrev_b64_e32 v[6:7], 3, v[8:9]
	s_wait_alu 0xf1ff
	v_add_co_ci_u32_e64 v3, null, 0, v3, s5
	s_lshl_b64 s[8:9], s[36:37], 4
	s_lshl_b64 s[36:37], s[18:19], 4
	s_mov_b32 s7, 0
	s_lshl_b64 s[10:11], s[42:43], 3
	s_lshl_b64 s[16:17], s[40:41], 6
	;; [unrolled: 1-line block ×3, first 2 shown]
	s_xor_b32 s27, vcc_lo, -1
	s_xor_b32 s28, s4, -1
	s_wait_alu 0xfffe
	s_lshl_b64 s[4:5], s[36:37], 3
	s_branch .LBB111_4
.LBB111_2:                              ;   in Loop: Header=BB111_4 Depth=1
	s_wait_alu 0xfffe
	s_or_b32 exec_lo, exec_lo, s29
.LBB111_3:                              ;   in Loop: Header=BB111_4 Depth=1
	s_add_co_i32 s6, s6, 0x10000
	s_wait_alu 0xfffe
	s_cmp_lt_i32 s6, s33
	s_cbranch_scc0 .LBB111_38
.LBB111_4:                              ; =>This Loop Header: Depth=1
                                        ;     Child Loop BB111_7 Depth 2
	v_dual_mov_b32 v27, 0 :: v_dual_mov_b32 v28, 0
	v_dual_mov_b32 v25, 0 :: v_dual_mov_b32 v26, 0
	;; [unrolled: 1-line block ×4, first 2 shown]
	s_and_not1_b32 vcc_lo, exec_lo, s26
	s_wait_alu 0xfffe
	s_cbranch_vccnz .LBB111_15
; %bb.5:                                ;   in Loop: Header=BB111_4 Depth=1
	v_mad_co_u64_u32 v[8:9], null, s10, s6, v[0:1]
	v_mad_co_u64_u32 v[10:11], null, s18, s6, v[2:3]
	v_dual_mov_b32 v21, 0 :: v_dual_mov_b32 v22, 0
	v_dual_mov_b32 v24, 0 :: v_dual_mov_b32 v23, 0
	;; [unrolled: 1-line block ×3, first 2 shown]
	s_delay_alu instid0(VALU_DEP_4) | instskip(SKIP_3) | instid1(VALU_DEP_3)
	v_mad_co_u64_u32 v[27:28], null, s11, s6, v[9:10]
	v_mad_co_u64_u32 v[29:30], null, s19, s6, v[11:12]
	v_mov_b32_e32 v28, 0
	s_mov_b64 s[24:25], 0
	v_mov_b32_e32 v9, v27
	v_mov_b32_e32 v27, 0
	s_delay_alu instid0(VALU_DEP_4)
	v_mov_b32_e32 v11, v29
	s_branch .LBB111_7
.LBB111_6:                              ;   in Loop: Header=BB111_7 Depth=2
	s_or_b32 exec_lo, exec_lo, s29
	ds_store_b32 v16, v29 offset:4
	s_wait_dscnt 0x0
	s_barrier_signal -1
	s_barrier_wait -1
	global_inv scope:SCOPE_SE
	ds_load_b128 v[29:32], v18
	ds_load_2addr_b64 v[33:36], v17 offset1:16
	ds_load_b128 v[37:40], v18 offset:1024
	ds_load_b128 v[41:44], v18 offset:16
	;; [unrolled: 1-line block ×4, first 2 shown]
	ds_load_2addr_b64 v[53:56], v17 offset0:32 offset1:48
	ds_load_b128 v[57:60], v18 offset:1040
	s_add_nc_u64 s[24:25], s[24:25], 8
	v_add_co_u32 v8, vcc_lo, v8, s16
	s_wait_alu 0xfffe
	v_cmp_lt_i64_e64 s29, s[24:25], s[12:13]
	s_wait_alu 0xfffd
	v_add_co_ci_u32_e64 v9, null, s17, v9, vcc_lo
	v_add_co_u32 v10, vcc_lo, v10, 64
	s_wait_alu 0xfffd
	v_add_co_ci_u32_e64 v11, null, 0, v11, vcc_lo
	s_and_b32 vcc_lo, exec_lo, s29
	s_wait_dscnt 0x6
	v_dual_mul_f32 v61, v30, v34 :: v_dual_mul_f32 v64, v29, v36
	v_dual_mul_f32 v62, v29, v34 :: v_dual_mul_f32 v63, v30, v36
	s_wait_dscnt 0x5
	v_mul_f32_e32 v65, v38, v34
	s_delay_alu instid0(VALU_DEP_3)
	v_fma_f32 v61, v29, v33, -v61
	v_mul_f32_e32 v34, v37, v34
	v_fmac_f32_e32 v64, v30, v35
	v_fma_f32 v29, v29, v35, -v63
	v_mul_f32_e32 v66, v38, v36
	v_dual_mul_f32 v36, v37, v36 :: v_dual_add_f32 v27, v27, v61
	s_delay_alu instid0(VALU_DEP_3) | instskip(NEXT) | instid1(VALU_DEP_3)
	v_add_f32_e32 v29, v25, v29
	v_fma_f32 v25, v37, v35, -v66
	s_delay_alu instid0(VALU_DEP_3) | instskip(SKIP_1) | instid1(VALU_DEP_3)
	v_fmac_f32_e32 v36, v38, v35
	v_fmac_f32_e32 v34, v38, v33
	v_add_f32_e32 v35, v22, v25
	s_delay_alu instid0(VALU_DEP_3)
	v_dual_add_f32 v21, v21, v36 :: v_dual_fmac_f32 v62, v30, v33
	v_fma_f32 v30, v37, v33, -v65
	s_wait_dscnt 0x1
	v_dual_mul_f32 v37, v31, v54 :: v_dual_add_f32 v26, v26, v64
	v_add_f32_e32 v33, v24, v34
	v_add_f32_e32 v28, v28, v62
	s_delay_alu instid0(VALU_DEP_3) | instskip(SKIP_4) | instid1(VALU_DEP_1)
	v_dual_fmac_f32 v37, v32, v53 :: v_dual_add_f32 v30, v23, v30
	ds_load_2addr_b64 v[22:25], v17 offset0:64 offset1:80
	v_mul_f32_e32 v36, v31, v56
	v_mul_f32_e32 v38, v32, v56
	v_dual_add_f32 v37, v28, v37 :: v_dual_mul_f32 v28, v39, v54
	v_fmac_f32_e32 v28, v40, v53
	s_delay_alu instid0(VALU_DEP_1) | instskip(SKIP_1) | instid1(VALU_DEP_1)
	v_dual_fmac_f32 v36, v32, v55 :: v_dual_add_f32 v33, v33, v28
	v_mul_f32_e32 v34, v32, v54
	v_fma_f32 v34, v31, v53, -v34
	s_delay_alu instid0(VALU_DEP_1) | instskip(SKIP_3) | instid1(VALU_DEP_2)
	v_add_f32_e32 v34, v27, v34
	v_fma_f32 v27, v31, v55, -v38
	s_wait_dscnt 0x0
	v_dual_mul_f32 v31, v40, v54 :: v_dual_mul_f32 v38, v41, v23
	v_add_f32_e32 v32, v29, v27
	s_delay_alu instid0(VALU_DEP_2) | instskip(SKIP_3) | instid1(VALU_DEP_4)
	v_fma_f32 v27, v39, v53, -v31
	v_mul_f32_e32 v29, v40, v56
	v_add_f32_e32 v31, v26, v36
	v_mul_f32_e32 v36, v39, v56
	v_add_f32_e32 v30, v30, v27
	s_delay_alu instid0(VALU_DEP_4) | instskip(SKIP_1) | instid1(VALU_DEP_2)
	v_fma_f32 v26, v39, v55, -v29
	v_mul_f32_e32 v27, v42, v23
	v_dual_fmac_f32 v36, v40, v55 :: v_dual_add_f32 v35, v35, v26
	s_delay_alu instid0(VALU_DEP_2) | instskip(SKIP_4) | instid1(VALU_DEP_3)
	v_fma_f32 v39, v41, v22, -v27
	ds_load_2addr_b64 v[26:29], v17 offset0:96 offset1:112
	v_fmac_f32_e32 v38, v42, v22
	v_add_f32_e32 v36, v21, v36
	v_dual_mul_f32 v21, v41, v25 :: v_dual_add_f32 v34, v34, v39
	v_dual_add_f32 v37, v37, v38 :: v_dual_mul_f32 v38, v58, v23
	v_mul_f32_e32 v23, v57, v23
	s_delay_alu instid0(VALU_DEP_3) | instskip(NEXT) | instid1(VALU_DEP_2)
	v_fmac_f32_e32 v21, v42, v24
	v_fmac_f32_e32 v23, v58, v22
	v_mul_f32_e32 v40, v42, v25
	s_delay_alu instid0(VALU_DEP_1) | instskip(NEXT) | instid1(VALU_DEP_4)
	v_fma_f32 v39, v41, v24, -v40
	v_add_f32_e32 v40, v31, v21
	s_wait_dscnt 0x0
	v_mul_f32_e32 v31, v43, v27
	s_delay_alu instid0(VALU_DEP_3) | instskip(SKIP_1) | instid1(VALU_DEP_3)
	v_dual_add_f32 v32, v32, v39 :: v_dual_mul_f32 v39, v58, v25
	v_mul_f32_e32 v25, v57, v25
	v_fmac_f32_e32 v31, v44, v26
	v_fma_f32 v38, v57, v22, -v38
	s_delay_alu instid0(VALU_DEP_4) | instskip(NEXT) | instid1(VALU_DEP_4)
	v_fma_f32 v21, v57, v24, -v39
	v_fmac_f32_e32 v25, v58, v24
	s_delay_alu instid0(VALU_DEP_3) | instskip(NEXT) | instid1(VALU_DEP_3)
	v_dual_add_f32 v39, v33, v23 :: v_dual_add_f32 v38, v30, v38
	v_dual_mul_f32 v30, v44, v27 :: v_dual_add_f32 v35, v35, v21
	v_mul_f32_e32 v33, v44, v29
	ds_load_2addr_b64 v[21:24], v17 offset0:128 offset1:144
	v_add_f32_e32 v36, v36, v25
	v_fma_f32 v30, v43, v26, -v30
	v_mul_f32_e32 v25, v43, v29
	v_fma_f32 v33, v43, v28, -v33
	v_mul_f32_e32 v43, v60, v29
	s_delay_alu instid0(VALU_DEP_4) | instskip(NEXT) | instid1(VALU_DEP_4)
	v_dual_add_f32 v41, v37, v31 :: v_dual_add_f32 v34, v34, v30
	v_fmac_f32_e32 v25, v44, v28
	v_mul_f32_e32 v29, v59, v29
	s_delay_alu instid0(VALU_DEP_2) | instskip(SKIP_4) | instid1(VALU_DEP_4)
	v_add_f32_e32 v40, v40, v25
	v_fma_f32 v25, v59, v28, -v43
	v_mul_f32_e32 v30, v60, v27
	v_mul_f32_e32 v27, v59, v27
	v_fmac_f32_e32 v29, v60, v28
	v_add_f32_e32 v43, v35, v25
	s_delay_alu instid0(VALU_DEP_4) | instskip(NEXT) | instid1(VALU_DEP_4)
	v_fma_f32 v37, v59, v26, -v30
	v_fmac_f32_e32 v27, v60, v26
	s_wait_dscnt 0x0
	v_mul_f32_e32 v26, v46, v22
	v_dual_mul_f32 v44, v45, v22 :: v_dual_add_f32 v29, v36, v29
	v_mul_f32_e32 v54, v45, v24
	v_add_f32_e32 v38, v38, v37
	v_dual_add_f32 v42, v32, v33 :: v_dual_add_f32 v39, v39, v27
	ds_load_b128 v[30:33], v18 offset:1056
	v_fma_f32 v35, v45, v21, -v26
	ds_load_2addr_b64 v[25:28], v17 offset0:160 offset1:176
	v_mul_f32_e32 v37, v46, v24
	v_fmac_f32_e32 v54, v46, v23
	v_add_f32_e32 v53, v34, v35
	s_delay_alu instid0(VALU_DEP_3) | instskip(SKIP_4) | instid1(VALU_DEP_2)
	v_fma_f32 v45, v45, v23, -v37
	ds_load_b128 v[34:37], v18 offset:1072
	v_fmac_f32_e32 v44, v46, v21
	s_wait_dscnt 0x2
	v_dual_add_f32 v42, v42, v45 :: v_dual_mul_f32 v55, v31, v22
	v_dual_add_f32 v41, v41, v44 :: v_dual_mul_f32 v22, v30, v22
	v_mul_f32_e32 v45, v31, v24
	v_mul_f32_e32 v46, v30, v24
	s_delay_alu instid0(VALU_DEP_4)
	v_fma_f32 v44, v30, v21, -v55
	v_add_f32_e32 v40, v40, v54
	s_wait_dscnt 0x1
	v_mul_f32_e32 v24, v48, v26
	v_fmac_f32_e32 v46, v31, v23
	v_fmac_f32_e32 v22, v31, v21
	v_fma_f32 v21, v30, v23, -v45
	v_dual_mul_f32 v31, v47, v26 :: v_dual_add_f32 v38, v38, v44
	s_delay_alu instid0(VALU_DEP_4) | instskip(SKIP_1) | instid1(VALU_DEP_3)
	v_add_f32_e32 v45, v29, v46
	v_mul_f32_e32 v29, v47, v28
	v_dual_fmac_f32 v31, v48, v25 :: v_dual_add_f32 v30, v39, v22
	v_add_f32_e32 v39, v43, v21
	v_fma_f32 v43, v47, v25, -v24
	ds_load_2addr_b64 v[21:24], v17 offset0:192 offset1:208
	v_dual_mul_f32 v44, v48, v28 :: v_dual_add_f32 v41, v41, v31
	v_mul_f32_e32 v31, v33, v26
	v_dual_mul_f32 v26, v32, v26 :: v_dual_add_f32 v43, v53, v43
	s_delay_alu instid0(VALU_DEP_3) | instskip(SKIP_1) | instid1(VALU_DEP_4)
	v_fma_f32 v44, v47, v27, -v44
	v_fmac_f32_e32 v29, v48, v27
	v_fma_f32 v31, v32, v25, -v31
	s_delay_alu instid0(VALU_DEP_4) | instskip(NEXT) | instid1(VALU_DEP_4)
	v_fmac_f32_e32 v26, v33, v25
	v_add_f32_e32 v42, v42, v44
	s_delay_alu instid0(VALU_DEP_4) | instskip(SKIP_2) | instid1(VALU_DEP_3)
	v_dual_mul_f32 v44, v33, v28 :: v_dual_add_f32 v25, v40, v29
	v_mul_f32_e32 v28, v32, v28
	v_add_f32_e32 v38, v38, v31
	v_fma_f32 v29, v32, v27, -v44
	s_delay_alu instid0(VALU_DEP_3) | instskip(SKIP_3) | instid1(VALU_DEP_2)
	v_fmac_f32_e32 v28, v33, v27
	s_wait_dscnt 0x0
	v_mul_f32_e32 v44, v49, v24
	v_mul_f32_e32 v33, v49, v22
	v_dual_add_f32 v27, v39, v29 :: v_dual_fmac_f32 v44, v50, v23
	v_mul_f32_e32 v40, v50, v22
	s_delay_alu instid0(VALU_DEP_3) | instskip(NEXT) | instid1(VALU_DEP_2)
	v_fmac_f32_e32 v33, v50, v21
	v_fma_f32 v39, v49, v21, -v40
	s_delay_alu instid0(VALU_DEP_2) | instskip(NEXT) | instid1(VALU_DEP_2)
	v_dual_mul_f32 v40, v50, v24 :: v_dual_add_f32 v33, v41, v33
	v_dual_add_f32 v39, v43, v39 :: v_dual_add_f32 v26, v30, v26
	ds_load_2addr_b64 v[29:32], v17 offset0:224 offset1:240
	v_mul_f32_e32 v43, v35, v22
	v_fma_f32 v40, v49, v23, -v40
	v_mul_f32_e32 v22, v34, v22
	s_wait_loadcnt_dscnt 0x0
	s_barrier_signal -1
	v_fma_f32 v41, v34, v21, -v43
	v_add_f32_e32 v28, v45, v28
	v_dual_fmac_f32 v22, v35, v21 :: v_dual_add_f32 v43, v25, v44
	s_barrier_wait -1
	s_delay_alu instid0(VALU_DEP_3)
	v_add_f32_e32 v21, v38, v41
	v_add_f32_e32 v40, v42, v40
	v_mul_f32_e32 v42, v35, v24
	v_mul_f32_e32 v24, v34, v24
	v_add_f32_e32 v22, v26, v22
	global_inv scope:SCOPE_SE
	v_fma_f32 v25, v34, v23, -v42
	v_fmac_f32_e32 v24, v35, v23
	v_mul_f32_e32 v34, v52, v30
	v_mul_f32_e32 v38, v51, v30
	;; [unrolled: 1-line block ×3, first 2 shown]
	v_add_f32_e32 v35, v27, v25
	v_mul_f32_e32 v25, v52, v32
	v_fma_f32 v23, v51, v29, -v34
	v_fmac_f32_e32 v38, v52, v29
	v_add_f32_e32 v34, v28, v24
	v_mul_f32_e32 v24, v37, v30
	s_delay_alu instid0(VALU_DEP_4) | instskip(NEXT) | instid1(VALU_DEP_4)
	v_dual_mul_f32 v30, v36, v30 :: v_dual_add_f32 v27, v39, v23
	v_add_f32_e32 v28, v33, v38
	v_fma_f32 v23, v51, v31, -v25
	v_mul_f32_e32 v33, v37, v32
	v_mul_f32_e32 v32, v36, v32
	v_fmac_f32_e32 v26, v52, v31
	s_delay_alu instid0(VALU_DEP_4) | instskip(SKIP_4) | instid1(VALU_DEP_4)
	v_dual_fmac_f32 v30, v37, v29 :: v_dual_add_f32 v25, v40, v23
	v_fma_f32 v23, v36, v29, -v24
	v_fma_f32 v29, v36, v31, -v33
	v_fmac_f32_e32 v32, v37, v31
	v_add_f32_e32 v26, v43, v26
	v_dual_add_f32 v24, v22, v30 :: v_dual_add_f32 v23, v21, v23
	s_delay_alu instid0(VALU_DEP_3)
	v_dual_add_f32 v22, v35, v29 :: v_dual_add_f32 v21, v34, v32
	s_wait_alu 0xfffe
	s_cbranch_vccz .LBB111_15
.LBB111_7:                              ;   Parent Loop BB111_4 Depth=1
                                        ; =>  This Inner Loop Header: Depth=2
	s_wait_alu 0xfffe
	v_add_co_u32 v29, s29, v12, s24
	s_wait_alu 0xf1ff
	v_add_co_ci_u32_e64 v30, null, 0, s25, s29
	s_delay_alu instid0(VALU_DEP_1)
	v_cmp_le_i64_e32 vcc_lo, s[12:13], v[29:30]
	s_or_b32 s29, s27, vcc_lo
	s_wait_alu 0xfffe
	s_and_saveexec_b32 s30, s29
	s_wait_alu 0xfffe
	s_xor_b32 s29, exec_lo, s30
; %bb.8:                                ;   in Loop: Header=BB111_7 Depth=2
	ds_store_b32 v15, v14
; %bb.9:                                ;   in Loop: Header=BB111_7 Depth=2
	s_wait_alu 0xfffe
	s_or_saveexec_b32 s29, s29
	v_mov_b32_e32 v29, 0
	s_wait_alu 0xfffe
	s_xor_b32 exec_lo, exec_lo, s29
	s_cbranch_execz .LBB111_11
; %bb.10:                               ;   in Loop: Header=BB111_7 Depth=2
	global_load_b64 v[30:31], v[10:11], off offset:-4
	s_wait_loadcnt 0x0
	v_xor_b32_e32 v29, 0x80000000, v31
	ds_store_b32 v15, v30
.LBB111_11:                             ;   in Loop: Header=BB111_7 Depth=2
	s_or_b32 exec_lo, exec_lo, s29
	v_add_co_u32 v30, s29, v13, s24
	s_wait_alu 0xf1ff
	v_add_co_ci_u32_e64 v31, null, 0, s25, s29
	ds_store_b32 v15, v29 offset:4
	v_cmp_le_i64_e32 vcc_lo, s[12:13], v[30:31]
	s_or_b32 s29, vcc_lo, s28
	s_wait_alu 0xfffe
	s_and_saveexec_b32 s30, s29
	s_wait_alu 0xfffe
	s_xor_b32 s29, exec_lo, s30
; %bb.12:                               ;   in Loop: Header=BB111_7 Depth=2
	ds_store_b32 v16, v14
; %bb.13:                               ;   in Loop: Header=BB111_7 Depth=2
	s_wait_alu 0xfffe
	s_or_saveexec_b32 s29, s29
	v_mov_b32_e32 v29, 0
	s_wait_alu 0xfffe
	s_xor_b32 exec_lo, exec_lo, s29
	s_cbranch_execz .LBB111_6
; %bb.14:                               ;   in Loop: Header=BB111_7 Depth=2
	global_load_b64 v[30:31], v[8:9], off offset:-4
	s_wait_loadcnt 0x0
	v_xor_b32_e32 v29, 0x80000000, v31
	ds_store_b32 v16, v30
	s_branch .LBB111_6
.LBB111_15:                             ;   in Loop: Header=BB111_4 Depth=1
	s_mul_u64 s[24:25], s[38:39], s[6:7]
	s_and_not1_b32 vcc_lo, exec_lo, s46
	s_wait_alu 0xfffe
	s_lshl_b64 s[24:25], s[24:25], 3
	s_mov_b32 s29, -1
	s_wait_alu 0xfffe
	s_add_nc_u64 s[24:25], s[22:23], s[24:25]
	s_cbranch_vccz .LBB111_17
; %bb.16:                               ;   in Loop: Header=BB111_4 Depth=1
	s_and_not1_b32 vcc_lo, exec_lo, s29
	s_wait_alu 0xfffe
	s_cbranch_vccnz .LBB111_3
	s_branch .LBB111_28
.LBB111_17:                             ;   in Loop: Header=BB111_4 Depth=1
	s_and_saveexec_b32 s29, s0
	s_cbranch_execz .LBB111_27
; %bb.18:                               ;   in Loop: Header=BB111_4 Depth=1
	s_wait_alu 0xfffe
	v_add_co_u32 v8, vcc_lo, s24, v4
	s_wait_alu 0xfffd
	v_add_co_ci_u32_e64 v9, null, s25, v5, vcc_lo
	s_and_saveexec_b32 s30, s1
	s_cbranch_execnz .LBB111_21
; %bb.19:                               ;   in Loop: Header=BB111_4 Depth=1
	s_wait_alu 0xfffe
	s_or_b32 exec_lo, exec_lo, s30
	s_and_saveexec_b32 s30, s2
	s_cbranch_execnz .LBB111_22
.LBB111_20:                             ;   in Loop: Header=BB111_4 Depth=1
	s_wait_alu 0xfffe
	s_or_b32 exec_lo, exec_lo, s30
	s_delay_alu instid0(SALU_CYCLE_1)
	s_and_b32 exec_lo, exec_lo, s3
	s_cbranch_execnz .LBB111_23
	s_branch .LBB111_27
.LBB111_21:                             ;   in Loop: Header=BB111_4 Depth=1
	v_mul_f32_e32 v11, s14, v28
	v_mul_f32_e32 v10, s15, v28
	v_add_co_u32 v29, vcc_lo, v8, v6
	s_wait_alu 0xfffd
	v_add_co_ci_u32_e64 v30, null, v9, v7, vcc_lo
	v_fmac_f32_e32 v11, s15, v27
	v_fma_f32 v10, v27, s14, -v10
	global_store_b64 v[29:30], v[10:11], off
	s_wait_alu 0xfffe
	s_or_b32 exec_lo, exec_lo, s30
	s_and_saveexec_b32 s30, s2
	s_cbranch_execz .LBB111_20
.LBB111_22:                             ;   in Loop: Header=BB111_4 Depth=1
	v_mul_f32_e32 v11, s14, v26
	v_mul_f32_e32 v10, s15, v26
	v_add_co_u32 v29, vcc_lo, v8, v6
	s_wait_alu 0xfffd
	v_add_co_ci_u32_e64 v30, null, v9, v7, vcc_lo
	v_fmac_f32_e32 v11, s15, v25
	v_fma_f32 v10, v25, s14, -v10
	global_store_b64 v[29:30], v[10:11], off offset:128
	s_wait_alu 0xfffe
	s_or_b32 exec_lo, exec_lo, s30
	s_delay_alu instid0(SALU_CYCLE_1)
	s_and_b32 exec_lo, exec_lo, s3
	s_cbranch_execz .LBB111_27
.LBB111_23:                             ;   in Loop: Header=BB111_4 Depth=1
	s_lshl_b64 s[30:31], s[8:9], 3
	s_wait_alu 0xfffe
	v_add_co_u32 v8, vcc_lo, v8, s30
	s_wait_alu 0xfffd
	v_add_co_ci_u32_e64 v9, null, s31, v9, vcc_lo
	s_delay_alu instid0(VALU_DEP_2) | instskip(SKIP_1) | instid1(VALU_DEP_2)
	v_add_co_u32 v8, vcc_lo, v8, v6
	s_wait_alu 0xfffd
	v_add_co_ci_u32_e64 v9, null, v9, v7, vcc_lo
	s_and_saveexec_b32 s30, s1
	s_cbranch_execz .LBB111_25
; %bb.24:                               ;   in Loop: Header=BB111_4 Depth=1
	v_mul_f32_e32 v11, s14, v24
	s_delay_alu instid0(VALU_DEP_1) | instskip(NEXT) | instid1(VALU_DEP_1)
	v_dual_mul_f32 v10, s15, v24 :: v_dual_fmac_f32 v11, s15, v23
	v_fma_f32 v10, v23, s14, -v10
	global_store_b64 v[8:9], v[10:11], off
.LBB111_25:                             ;   in Loop: Header=BB111_4 Depth=1
	s_wait_alu 0xfffe
	s_or_b32 exec_lo, exec_lo, s30
	s_delay_alu instid0(SALU_CYCLE_1)
	s_and_b32 exec_lo, exec_lo, s2
	s_cbranch_execz .LBB111_27
; %bb.26:                               ;   in Loop: Header=BB111_4 Depth=1
	v_mul_f32_e32 v11, s14, v21
	s_delay_alu instid0(VALU_DEP_1) | instskip(NEXT) | instid1(VALU_DEP_1)
	v_dual_mul_f32 v10, s15, v21 :: v_dual_fmac_f32 v11, s15, v22
	v_fma_f32 v10, v22, s14, -v10
	global_store_b64 v[8:9], v[10:11], off offset:128
.LBB111_27:                             ;   in Loop: Header=BB111_4 Depth=1
	s_wait_alu 0xfffe
	s_or_b32 exec_lo, exec_lo, s29
	s_cbranch_execnz .LBB111_3
.LBB111_28:                             ;   in Loop: Header=BB111_4 Depth=1
	s_and_saveexec_b32 s29, s0
	s_cbranch_execz .LBB111_2
; %bb.29:                               ;   in Loop: Header=BB111_4 Depth=1
	s_mul_u64 s[30:31], s[20:21], s[6:7]
	s_wait_alu 0xfffe
	s_lshl_b64 s[30:31], s[30:31], 3
	s_wait_alu 0xfffe
	v_add_co_u32 v10, vcc_lo, v19, s30
	s_wait_alu 0xfffd
	v_add_co_ci_u32_e64 v11, null, s31, v20, vcc_lo
	v_add_co_u32 v8, vcc_lo, s24, v4
	s_wait_alu 0xfffd
	v_add_co_ci_u32_e64 v9, null, s25, v5, vcc_lo
	s_and_saveexec_b32 s24, s1
	s_cbranch_execnz .LBB111_32
; %bb.30:                               ;   in Loop: Header=BB111_4 Depth=1
	s_wait_alu 0xfffe
	s_or_b32 exec_lo, exec_lo, s24
	s_and_saveexec_b32 s24, s2
	s_cbranch_execnz .LBB111_33
.LBB111_31:                             ;   in Loop: Header=BB111_4 Depth=1
	s_wait_alu 0xfffe
	s_or_b32 exec_lo, exec_lo, s24
	s_delay_alu instid0(SALU_CYCLE_1)
	s_and_b32 exec_lo, exec_lo, s3
	s_cbranch_execz .LBB111_2
	s_branch .LBB111_34
.LBB111_32:                             ;   in Loop: Header=BB111_4 Depth=1
	v_add_co_u32 v29, vcc_lo, v10, v6
	s_wait_alu 0xfffd
	v_add_co_ci_u32_e64 v30, null, v11, v7, vcc_lo
	global_load_b64 v[29:30], v[29:30], off
	s_wait_loadcnt 0x0
	v_dual_mul_f32 v31, s15, v28 :: v_dual_mul_f32 v32, s35, v30
	v_mul_f32_e32 v30, s34, v30
	s_delay_alu instid0(VALU_DEP_2) | instskip(SKIP_1) | instid1(VALU_DEP_3)
	v_fma_f32 v31, v27, s14, -v31
	v_mul_f32_e32 v28, s14, v28
	v_fmac_f32_e32 v30, s35, v29
	s_delay_alu instid0(VALU_DEP_2) | instskip(SKIP_2) | instid1(VALU_DEP_2)
	v_fmac_f32_e32 v28, s15, v27
	v_fma_f32 v27, v29, s34, -v32
	v_add_co_u32 v29, vcc_lo, v8, v6
	v_dual_add_f32 v28, v28, v30 :: v_dual_add_f32 v27, v31, v27
	s_wait_alu 0xfffd
	v_add_co_ci_u32_e64 v30, null, v9, v7, vcc_lo
	global_store_b64 v[29:30], v[27:28], off
	s_wait_alu 0xfffe
	s_or_b32 exec_lo, exec_lo, s24
	s_and_saveexec_b32 s24, s2
	s_cbranch_execz .LBB111_31
.LBB111_33:                             ;   in Loop: Header=BB111_4 Depth=1
	v_add_co_u32 v27, vcc_lo, v10, v6
	s_wait_alu 0xfffd
	v_add_co_ci_u32_e64 v28, null, v11, v7, vcc_lo
	global_load_b64 v[27:28], v[27:28], off offset:128
	s_wait_loadcnt 0x0
	v_dual_mul_f32 v29, s15, v26 :: v_dual_mul_f32 v30, s35, v28
	v_mul_f32_e32 v28, s34, v28
	s_delay_alu instid0(VALU_DEP_2) | instskip(SKIP_1) | instid1(VALU_DEP_3)
	v_fma_f32 v29, v25, s14, -v29
	v_mul_f32_e32 v26, s14, v26
	v_fmac_f32_e32 v28, s35, v27
	s_delay_alu instid0(VALU_DEP_2) | instskip(SKIP_2) | instid1(VALU_DEP_2)
	v_fmac_f32_e32 v26, s15, v25
	v_fma_f32 v25, v27, s34, -v30
	v_add_co_u32 v27, vcc_lo, v8, v6
	v_dual_add_f32 v26, v26, v28 :: v_dual_add_f32 v25, v29, v25
	s_wait_alu 0xfffd
	v_add_co_ci_u32_e64 v28, null, v9, v7, vcc_lo
	global_store_b64 v[27:28], v[25:26], off offset:128
	s_wait_alu 0xfffe
	s_or_b32 exec_lo, exec_lo, s24
	s_delay_alu instid0(SALU_CYCLE_1)
	s_and_b32 exec_lo, exec_lo, s3
	s_cbranch_execz .LBB111_2
.LBB111_34:                             ;   in Loop: Header=BB111_4 Depth=1
	v_add_co_u32 v10, vcc_lo, v10, s4
	s_lshl_b64 s[24:25], s[8:9], 3
	s_wait_alu 0xfffd
	v_add_co_ci_u32_e64 v11, null, s5, v11, vcc_lo
	s_wait_alu 0xfffe
	v_add_co_u32 v8, vcc_lo, v8, s24
	s_wait_alu 0xfffd
	v_add_co_ci_u32_e64 v9, null, s25, v9, vcc_lo
	v_add_co_u32 v10, vcc_lo, v10, v6
	s_wait_alu 0xfffd
	v_add_co_ci_u32_e64 v11, null, v11, v7, vcc_lo
	;; [unrolled: 3-line block ×3, first 2 shown]
	s_and_saveexec_b32 s24, s1
	s_cbranch_execz .LBB111_36
; %bb.35:                               ;   in Loop: Header=BB111_4 Depth=1
	global_load_b64 v[25:26], v[10:11], off
	s_wait_loadcnt 0x0
	v_dual_mul_f32 v27, s15, v24 :: v_dual_mul_f32 v28, s35, v26
	v_mul_f32_e32 v26, s34, v26
	s_delay_alu instid0(VALU_DEP_2) | instskip(SKIP_1) | instid1(VALU_DEP_3)
	v_fma_f32 v27, v23, s14, -v27
	v_mul_f32_e32 v24, s14, v24
	v_fmac_f32_e32 v26, s35, v25
	s_delay_alu instid0(VALU_DEP_2) | instskip(SKIP_1) | instid1(VALU_DEP_1)
	v_fmac_f32_e32 v24, s15, v23
	v_fma_f32 v23, v25, s34, -v28
	v_dual_add_f32 v24, v24, v26 :: v_dual_add_f32 v23, v27, v23
	global_store_b64 v[8:9], v[23:24], off
.LBB111_36:                             ;   in Loop: Header=BB111_4 Depth=1
	s_wait_alu 0xfffe
	s_or_b32 exec_lo, exec_lo, s24
	s_delay_alu instid0(SALU_CYCLE_1)
	s_and_b32 exec_lo, exec_lo, s2
	s_cbranch_execz .LBB111_2
; %bb.37:                               ;   in Loop: Header=BB111_4 Depth=1
	global_load_b64 v[10:11], v[10:11], off offset:128
	s_wait_loadcnt 0x0
	v_dual_mul_f32 v23, s15, v21 :: v_dual_mul_f32 v24, s35, v11
	v_mul_f32_e32 v11, s34, v11
	s_delay_alu instid0(VALU_DEP_2) | instskip(SKIP_1) | instid1(VALU_DEP_3)
	v_fma_f32 v23, v22, s14, -v23
	v_mul_f32_e32 v21, s14, v21
	v_fmac_f32_e32 v11, s35, v10
	s_delay_alu instid0(VALU_DEP_2) | instskip(SKIP_1) | instid1(VALU_DEP_1)
	v_fmac_f32_e32 v21, s15, v22
	v_fma_f32 v22, v10, s34, -v24
	v_dual_add_f32 v11, v21, v11 :: v_dual_add_f32 v10, v23, v22
	global_store_b64 v[8:9], v[10:11], off offset:128
	s_branch .LBB111_2
.LBB111_38:
	s_endpgm
	.section	.rodata,"a",@progbits
	.p2align	6, 0x0
	.amdhsa_kernel _ZN12_GLOBAL__N_135rocblas_gemm_batched_general_kernelI19rocblas_complex_numIfELi16ELi16ELi32ELi32ELi8ELi32ELi8ELi8ELi32ELc67ELc67EKS2_S3_S2_EEvlllT_PT11_llS6_llS4_PT12_llPT13_lli
		.amdhsa_group_segment_fixed_size 4096
		.amdhsa_private_segment_fixed_size 0
		.amdhsa_kernarg_size 140
		.amdhsa_user_sgpr_count 2
		.amdhsa_user_sgpr_dispatch_ptr 0
		.amdhsa_user_sgpr_queue_ptr 0
		.amdhsa_user_sgpr_kernarg_segment_ptr 1
		.amdhsa_user_sgpr_dispatch_id 0
		.amdhsa_user_sgpr_private_segment_size 0
		.amdhsa_wavefront_size32 1
		.amdhsa_uses_dynamic_stack 0
		.amdhsa_enable_private_segment 0
		.amdhsa_system_sgpr_workgroup_id_x 1
		.amdhsa_system_sgpr_workgroup_id_y 1
		.amdhsa_system_sgpr_workgroup_id_z 1
		.amdhsa_system_sgpr_workgroup_info 0
		.amdhsa_system_vgpr_workitem_id 1
		.amdhsa_next_free_vgpr 67
		.amdhsa_next_free_sgpr 48
		.amdhsa_reserve_vcc 1
		.amdhsa_float_round_mode_32 0
		.amdhsa_float_round_mode_16_64 0
		.amdhsa_float_denorm_mode_32 3
		.amdhsa_float_denorm_mode_16_64 3
		.amdhsa_fp16_overflow 0
		.amdhsa_workgroup_processor_mode 1
		.amdhsa_memory_ordered 1
		.amdhsa_forward_progress 1
		.amdhsa_inst_pref_size 29
		.amdhsa_round_robin_scheduling 0
		.amdhsa_exception_fp_ieee_invalid_op 0
		.amdhsa_exception_fp_denorm_src 0
		.amdhsa_exception_fp_ieee_div_zero 0
		.amdhsa_exception_fp_ieee_overflow 0
		.amdhsa_exception_fp_ieee_underflow 0
		.amdhsa_exception_fp_ieee_inexact 0
		.amdhsa_exception_int_div_zero 0
	.end_amdhsa_kernel
	.section	.text._ZN12_GLOBAL__N_135rocblas_gemm_batched_general_kernelI19rocblas_complex_numIfELi16ELi16ELi32ELi32ELi8ELi32ELi8ELi8ELi32ELc67ELc67EKS2_S3_S2_EEvlllT_PT11_llS6_llS4_PT12_llPT13_lli,"axG",@progbits,_ZN12_GLOBAL__N_135rocblas_gemm_batched_general_kernelI19rocblas_complex_numIfELi16ELi16ELi32ELi32ELi8ELi32ELi8ELi8ELi32ELc67ELc67EKS2_S3_S2_EEvlllT_PT11_llS6_llS4_PT12_llPT13_lli,comdat
.Lfunc_end111:
	.size	_ZN12_GLOBAL__N_135rocblas_gemm_batched_general_kernelI19rocblas_complex_numIfELi16ELi16ELi32ELi32ELi8ELi32ELi8ELi8ELi32ELc67ELc67EKS2_S3_S2_EEvlllT_PT11_llS6_llS4_PT12_llPT13_lli, .Lfunc_end111-_ZN12_GLOBAL__N_135rocblas_gemm_batched_general_kernelI19rocblas_complex_numIfELi16ELi16ELi32ELi32ELi8ELi32ELi8ELi8ELi32ELc67ELc67EKS2_S3_S2_EEvlllT_PT11_llS6_llS4_PT12_llPT13_lli
                                        ; -- End function
	.set _ZN12_GLOBAL__N_135rocblas_gemm_batched_general_kernelI19rocblas_complex_numIfELi16ELi16ELi32ELi32ELi8ELi32ELi8ELi8ELi32ELc67ELc67EKS2_S3_S2_EEvlllT_PT11_llS6_llS4_PT12_llPT13_lli.num_vgpr, 67
	.set _ZN12_GLOBAL__N_135rocblas_gemm_batched_general_kernelI19rocblas_complex_numIfELi16ELi16ELi32ELi32ELi8ELi32ELi8ELi8ELi32ELc67ELc67EKS2_S3_S2_EEvlllT_PT11_llS6_llS4_PT12_llPT13_lli.num_agpr, 0
	.set _ZN12_GLOBAL__N_135rocblas_gemm_batched_general_kernelI19rocblas_complex_numIfELi16ELi16ELi32ELi32ELi8ELi32ELi8ELi8ELi32ELc67ELc67EKS2_S3_S2_EEvlllT_PT11_llS6_llS4_PT12_llPT13_lli.numbered_sgpr, 48
	.set _ZN12_GLOBAL__N_135rocblas_gemm_batched_general_kernelI19rocblas_complex_numIfELi16ELi16ELi32ELi32ELi8ELi32ELi8ELi8ELi32ELc67ELc67EKS2_S3_S2_EEvlllT_PT11_llS6_llS4_PT12_llPT13_lli.num_named_barrier, 0
	.set _ZN12_GLOBAL__N_135rocblas_gemm_batched_general_kernelI19rocblas_complex_numIfELi16ELi16ELi32ELi32ELi8ELi32ELi8ELi8ELi32ELc67ELc67EKS2_S3_S2_EEvlllT_PT11_llS6_llS4_PT12_llPT13_lli.private_seg_size, 0
	.set _ZN12_GLOBAL__N_135rocblas_gemm_batched_general_kernelI19rocblas_complex_numIfELi16ELi16ELi32ELi32ELi8ELi32ELi8ELi8ELi32ELc67ELc67EKS2_S3_S2_EEvlllT_PT11_llS6_llS4_PT12_llPT13_lli.uses_vcc, 1
	.set _ZN12_GLOBAL__N_135rocblas_gemm_batched_general_kernelI19rocblas_complex_numIfELi16ELi16ELi32ELi32ELi8ELi32ELi8ELi8ELi32ELc67ELc67EKS2_S3_S2_EEvlllT_PT11_llS6_llS4_PT12_llPT13_lli.uses_flat_scratch, 0
	.set _ZN12_GLOBAL__N_135rocblas_gemm_batched_general_kernelI19rocblas_complex_numIfELi16ELi16ELi32ELi32ELi8ELi32ELi8ELi8ELi32ELc67ELc67EKS2_S3_S2_EEvlllT_PT11_llS6_llS4_PT12_llPT13_lli.has_dyn_sized_stack, 0
	.set _ZN12_GLOBAL__N_135rocblas_gemm_batched_general_kernelI19rocblas_complex_numIfELi16ELi16ELi32ELi32ELi8ELi32ELi8ELi8ELi32ELc67ELc67EKS2_S3_S2_EEvlllT_PT11_llS6_llS4_PT12_llPT13_lli.has_recursion, 0
	.set _ZN12_GLOBAL__N_135rocblas_gemm_batched_general_kernelI19rocblas_complex_numIfELi16ELi16ELi32ELi32ELi8ELi32ELi8ELi8ELi32ELc67ELc67EKS2_S3_S2_EEvlllT_PT11_llS6_llS4_PT12_llPT13_lli.has_indirect_call, 0
	.section	.AMDGPU.csdata,"",@progbits
; Kernel info:
; codeLenInByte = 3588
; TotalNumSgprs: 50
; NumVgprs: 67
; ScratchSize: 0
; MemoryBound: 0
; FloatMode: 240
; IeeeMode: 1
; LDSByteSize: 4096 bytes/workgroup (compile time only)
; SGPRBlocks: 0
; VGPRBlocks: 8
; NumSGPRsForWavesPerEU: 50
; NumVGPRsForWavesPerEU: 67
; Occupancy: 16
; WaveLimiterHint : 0
; COMPUTE_PGM_RSRC2:SCRATCH_EN: 0
; COMPUTE_PGM_RSRC2:USER_SGPR: 2
; COMPUTE_PGM_RSRC2:TRAP_HANDLER: 0
; COMPUTE_PGM_RSRC2:TGID_X_EN: 1
; COMPUTE_PGM_RSRC2:TGID_Y_EN: 1
; COMPUTE_PGM_RSRC2:TGID_Z_EN: 1
; COMPUTE_PGM_RSRC2:TIDIG_COMP_CNT: 1
	.section	.text._ZN12_GLOBAL__N_135rocblas_gemm_batched_general_kernelI19rocblas_complex_numIfELi16ELi16ELi32ELi32ELi8ELi32ELi8ELi8ELi32ELc67ELc78EKS2_S3_S2_EEvlllT_PT11_llS6_llS4_PT12_llPT13_lli,"axG",@progbits,_ZN12_GLOBAL__N_135rocblas_gemm_batched_general_kernelI19rocblas_complex_numIfELi16ELi16ELi32ELi32ELi8ELi32ELi8ELi8ELi32ELc67ELc78EKS2_S3_S2_EEvlllT_PT11_llS6_llS4_PT12_llPT13_lli,comdat
	.globl	_ZN12_GLOBAL__N_135rocblas_gemm_batched_general_kernelI19rocblas_complex_numIfELi16ELi16ELi32ELi32ELi8ELi32ELi8ELi8ELi32ELc67ELc78EKS2_S3_S2_EEvlllT_PT11_llS6_llS4_PT12_llPT13_lli ; -- Begin function _ZN12_GLOBAL__N_135rocblas_gemm_batched_general_kernelI19rocblas_complex_numIfELi16ELi16ELi32ELi32ELi8ELi32ELi8ELi8ELi32ELc67ELc78EKS2_S3_S2_EEvlllT_PT11_llS6_llS4_PT12_llPT13_lli
	.p2align	8
	.type	_ZN12_GLOBAL__N_135rocblas_gemm_batched_general_kernelI19rocblas_complex_numIfELi16ELi16ELi32ELi32ELi8ELi32ELi8ELi8ELi32ELc67ELc78EKS2_S3_S2_EEvlllT_PT11_llS6_llS4_PT12_llPT13_lli,@function
_ZN12_GLOBAL__N_135rocblas_gemm_batched_general_kernelI19rocblas_complex_numIfELi16ELi16ELi32ELi32ELi8ELi32ELi8ELi8ELi32ELc67ELc78EKS2_S3_S2_EEvlllT_PT11_llS6_llS4_PT12_llPT13_lli: ; @_ZN12_GLOBAL__N_135rocblas_gemm_batched_general_kernelI19rocblas_complex_numIfELi16ELi16ELi32ELi32ELi8ELi32ELi8ELi8ELi32ELc67ELc78EKS2_S3_S2_EEvlllT_PT11_llS6_llS4_PT12_llPT13_lli
; %bb.0:
	s_load_b32 s33, s[0:1], 0x88
	s_lshr_b32 s6, ttmp7, 16
	s_wait_kmcnt 0x0
	s_cmp_ge_i32 s6, s33
	s_cbranch_scc1 .LBB112_38
; %bb.1:
	s_mov_b32 s2, ttmp9
	s_ashr_i32 s3, ttmp9, 31
	v_bfe_u32 v8, v0, 10, 10
	s_lshl_b64 s[44:45], s[2:3], 5
	s_delay_alu instid0(SALU_CYCLE_1)
	v_dual_mov_b32 v2, s45 :: v_dual_and_b32 v9, 0x3ff, v0
	s_clause 0x4
	s_load_b256 s[8:15], s[0:1], 0x0
	s_load_b256 s[24:31], s[0:1], 0x20
	s_load_b128 s[36:39], s[0:1], 0x78
	s_load_b128 s[40:43], s[0:1], 0x40
	s_load_b64 s[34:35], s[0:1], 0x50
	v_and_b32_e32 v15, 7, v0
	v_lshl_add_u32 v1, v8, 4, v9
	s_load_b256 s[16:23], s[0:1], 0x58
	s_and_b32 s0, ttmp7, 0xffff
	v_lshl_add_u32 v19, v8, 6, 0x800
	s_lshl_b32 s0, s0, 5
	v_and_b32_e32 v3, 31, v1
	v_lshrrev_b32_e32 v0, 3, v1
	v_lshrrev_b32_e32 v14, 5, v1
	s_mov_b32 s7, 0
	s_delay_alu instid0(VALU_DEP_3)
	v_or_b32_e32 v1, s44, v3
	v_lshlrev_b32_e32 v5, 3, v3
	v_add_co_u32 v3, s1, v0, s0
	s_wait_alu 0xf1ff
	v_add_co_ci_u32_e64 v4, null, 0, 0, s1
	s_wait_kmcnt 0x0
	v_cmp_gt_i64_e32 vcc_lo, s[8:9], v[1:2]
	v_mad_co_u64_u32 v[12:13], null, s40, v3, 0
	v_lshlrev_b32_e32 v24, 3, v15
	v_cmp_gt_i64_e64 s4, s[10:11], v[3:4]
	v_add_co_u32 v4, s0, s0, v8
	s_mul_i32 s5, s26, s45
	v_lshl_or_b32 v6, v0, 6, v24
	s_or_b32 s1, s34, s35
	v_mad_co_u64_u32 v[10:11], null, v4, s18, 0
	s_wait_alu 0xfffe
	s_bitset0_b32 s1, 31
	v_add_nc_u32_e32 v17, 0x800, v6
	v_mad_co_u64_u32 v[6:7], null, v4, s36, 0
	s_wait_alu 0xfffe
	s_cmp_eq_u32 s1, 0
	v_mov_b32_e32 v0, 0
	s_cselect_b32 s46, -1, 0
	s_delay_alu instid0(VALU_DEP_2) | instskip(NEXT) | instid1(VALU_DEP_1)
	v_mov_b32_e32 v2, v7
	v_mad_co_u64_u32 v[22:23], null, v4, s37, v[2:3]
	v_mov_b32_e32 v2, v11
	v_lshl_or_b32 v16, v14, 8, v5
	v_add_co_ci_u32_e64 v5, null, 0, 0, s0
	v_add_co_u32 v8, s0, s44, v9
	v_dual_mov_b32 v7, v22 :: v_dual_lshlrev_b32 v18, 3, v9
	s_wait_alu 0xf1ff
	v_add_co_ci_u32_e64 v9, null, s45, 0, s0
	s_delay_alu instid0(VALU_DEP_3) | instskip(SKIP_2) | instid1(VALU_DEP_3)
	v_add_co_u32 v20, s0, v8, 16
	v_mov_b32_e32 v11, v13
	s_wait_alu 0xf1ff
	v_add_co_ci_u32_e64 v21, null, 0, v9, s0
	v_cmp_gt_i64_e64 s0, s[10:11], v[4:5]
	v_mad_co_u64_u32 v[22:23], null, s26, v1, 0
	s_delay_alu instid0(VALU_DEP_3) | instskip(SKIP_3) | instid1(VALU_DEP_1)
	v_cmp_gt_i64_e64 s2, s[8:9], v[20:21]
	v_mad_co_u64_u32 v[20:21], null, v4, s19, v[2:3]
	v_mad_co_u64_u32 v[2:3], null, s41, v3, v[11:12]
	v_add_co_u32 v3, s3, v4, 16
	v_add_co_ci_u32_e64 v4, null, 0, v5, s3
	s_delay_alu instid0(VALU_DEP_4) | instskip(SKIP_2) | instid1(VALU_DEP_4)
	v_mov_b32_e32 v11, v20
	v_mul_lo_u32 v5, s27, v1
	v_mov_b32_e32 v13, v2
	v_cmp_gt_i64_e64 s3, s[10:11], v[3:4]
	v_cmp_gt_i64_e64 s1, s[8:9], v[8:9]
	v_lshlrev_b64_e32 v[1:2], 3, v[10:11]
	v_lshlrev_b64_e32 v[6:7], 3, v[6:7]
	;; [unrolled: 1-line block ×4, first 2 shown]
	v_add3_u32 v23, v23, s5, v5
	v_lshlrev_b32_e32 v5, 3, v14
	v_add_co_u32 v20, s5, s16, v1
	s_wait_alu 0xf1ff
	v_add_co_ci_u32_e64 v21, null, s17, v2, s5
	v_lshlrev_b64_e32 v[1:2], 3, v[22:23]
	v_add_co_u32 v3, s5, v3, v24
	s_wait_alu 0xf1ff
	v_add_co_ci_u32_e64 v4, null, 0, v4, s5
	s_lshl_b64 s[18:19], s[18:19], 4
	v_add_co_u32 v1, s5, v1, v5
	s_wait_alu 0xf1ff
	v_add_co_ci_u32_e64 v5, null, 0, v2, s5
	v_add_co_u32 v2, s5, s30, v3
	s_wait_alu 0xf1ff
	v_add_co_ci_u32_e64 v3, null, s31, v4, s5
	;; [unrolled: 3-line block ×3, first 2 shown]
	v_cmp_gt_i64_e64 s24, s[12:13], 0
	s_delay_alu instid0(VALU_DEP_3) | instskip(SKIP_1) | instid1(VALU_DEP_3)
	v_add_co_u32 v4, s5, v1, 4
	s_wait_alu 0xf1ff
	v_add_co_ci_u32_e64 v5, null, 0, v5, s5
	s_lshl_b64 s[8:9], s[36:37], 4
	s_lshl_b64 s[10:11], s[42:43], 3
	;; [unrolled: 1-line block ×3, first 2 shown]
	s_xor_b32 s25, vcc_lo, -1
	s_xor_b32 s26, s4, -1
	s_wait_alu 0xfffe
	s_lshl_b64 s[4:5], s[18:19], 3
	s_branch .LBB112_4
.LBB112_2:                              ;   in Loop: Header=BB112_4 Depth=1
	s_wait_alu 0xfffe
	s_or_b32 exec_lo, exec_lo, s27
.LBB112_3:                              ;   in Loop: Header=BB112_4 Depth=1
	s_add_co_i32 s6, s6, 0x10000
	s_wait_alu 0xfffe
	s_cmp_lt_i32 s6, s33
	s_cbranch_scc0 .LBB112_38
.LBB112_4:                              ; =>This Loop Header: Depth=1
                                        ;     Child Loop BB112_7 Depth 2
	v_dual_mov_b32 v28, v0 :: v_dual_mov_b32 v29, v0
	v_dual_mov_b32 v26, v0 :: v_dual_mov_b32 v27, v0
	v_dual_mov_b32 v24, v0 :: v_dual_mov_b32 v25, v0
	v_dual_mov_b32 v23, v0 :: v_dual_mov_b32 v22, v0
	s_and_not1_b32 vcc_lo, exec_lo, s24
	s_wait_alu 0xfffe
	s_cbranch_vccnz .LBB112_15
; %bb.5:                                ;   in Loop: Header=BB112_4 Depth=1
	v_mad_co_u64_u32 v[10:11], null, s10, s6, v[2:3]
	v_mad_co_u64_u32 v[12:13], null, s16, s6, v[4:5]
	v_dual_mov_b32 v23, 0 :: v_dual_mov_b32 v26, 0
	v_mov_b32_e32 v25, 0
	v_mov_b32_e32 v27, 0
	v_dual_mov_b32 v1, v11 :: v_dual_mov_b32 v22, 0
	v_dual_mov_b32 v11, v13 :: v_dual_mov_b32 v24, 0
	s_mov_b64 s[18:19], 0
	s_delay_alu instid0(VALU_DEP_2) | instskip(NEXT) | instid1(VALU_DEP_2)
	v_mad_co_u64_u32 v[28:29], null, s11, s6, v[1:2]
	v_mad_co_u64_u32 v[30:31], null, s17, s6, v[11:12]
	v_mov_b32_e32 v29, 0
	s_delay_alu instid0(VALU_DEP_3) | instskip(NEXT) | instid1(VALU_DEP_3)
	v_dual_mov_b32 v11, v28 :: v_dual_mov_b32 v28, 0
	v_mov_b32_e32 v13, v30
	s_branch .LBB112_7
.LBB112_6:                              ;   in Loop: Header=BB112_7 Depth=2
	s_wait_alu 0xfffe
	s_or_b32 exec_lo, exec_lo, s27
	s_wait_dscnt 0x0
	s_barrier_signal -1
	s_barrier_wait -1
	global_inv scope:SCOPE_SE
	ds_load_b128 v[30:33], v19
	ds_load_2addr_b64 v[34:37], v18 offset1:16
	ds_load_b128 v[38:41], v19 offset:1024
	ds_load_b128 v[42:45], v19 offset:16
	;; [unrolled: 1-line block ×4, first 2 shown]
	ds_load_2addr_b64 v[54:57], v18 offset0:32 offset1:48
	ds_load_b128 v[58:61], v19 offset:1040
	s_add_nc_u64 s[18:19], s[18:19], 8
	v_add_co_u32 v10, vcc_lo, v10, 64
	s_wait_alu 0xfffe
	v_cmp_lt_i64_e64 s27, s[18:19], s[12:13]
	s_wait_alu 0xfffd
	v_add_co_ci_u32_e64 v11, null, 0, v11, vcc_lo
	v_add_co_u32 v12, vcc_lo, v12, 64
	s_wait_alu 0xfffd
	v_add_co_ci_u32_e64 v13, null, 0, v13, vcc_lo
	s_and_b32 vcc_lo, exec_lo, s27
	s_wait_dscnt 0x6
	v_dual_mul_f32 v1, v31, v35 :: v_dual_mul_f32 v64, v30, v37
	v_dual_mul_f32 v62, v30, v35 :: v_dual_mul_f32 v63, v31, v37
	s_wait_dscnt 0x5
	v_mul_f32_e32 v66, v39, v37
	s_delay_alu instid0(VALU_DEP_3) | instskip(SKIP_3) | instid1(VALU_DEP_4)
	v_fma_f32 v1, v30, v34, -v1
	v_dual_mul_f32 v37, v38, v37 :: v_dual_fmac_f32 v64, v31, v36
	v_fmac_f32_e32 v62, v31, v34
	v_fma_f32 v30, v30, v36, -v63
	v_add_f32_e32 v1, v28, v1
	v_mul_f32_e32 v65, v39, v35
	s_delay_alu instid0(VALU_DEP_4) | instskip(NEXT) | instid1(VALU_DEP_4)
	v_dual_mul_f32 v35, v38, v35 :: v_dual_add_f32 v28, v29, v62
	v_add_f32_e32 v29, v26, v30
	v_fmac_f32_e32 v37, v39, v36
	s_delay_alu instid0(VALU_DEP_4) | instskip(NEXT) | instid1(VALU_DEP_4)
	v_fma_f32 v31, v38, v34, -v65
	v_fmac_f32_e32 v35, v39, v34
	v_fma_f32 v34, v38, v36, -v66
	s_wait_dscnt 0x1
	v_dual_mul_f32 v36, v32, v55 :: v_dual_add_f32 v27, v27, v64
	v_mul_f32_e32 v38, v33, v57
	v_add_f32_e32 v30, v24, v31
	v_dual_add_f32 v31, v25, v35 :: v_dual_add_f32 v34, v23, v34
	ds_load_2addr_b64 v[23:26], v18 offset0:64 offset1:80
	v_fmac_f32_e32 v36, v33, v54
	v_dual_mul_f32 v35, v33, v55 :: v_dual_add_f32 v22, v22, v37
	v_mul_f32_e32 v37, v32, v57
	s_delay_alu instid0(VALU_DEP_3) | instskip(NEXT) | instid1(VALU_DEP_3)
	v_add_f32_e32 v36, v28, v36
	v_fma_f32 v35, v32, v54, -v35
	v_fma_f32 v32, v32, v56, -v38
	v_mul_f32_e32 v28, v40, v55
	s_delay_alu instid0(VALU_DEP_3) | instskip(SKIP_1) | instid1(VALU_DEP_4)
	v_add_f32_e32 v1, v1, v35
	v_mul_f32_e32 v35, v41, v55
	v_add_f32_e32 v32, v29, v32
	v_fmac_f32_e32 v37, v33, v56
	v_mul_f32_e32 v33, v41, v57
	v_fmac_f32_e32 v28, v41, v54
	v_fma_f32 v29, v40, v54, -v35
	s_delay_alu instid0(VALU_DEP_4) | instskip(SKIP_4) | instid1(VALU_DEP_3)
	v_add_f32_e32 v35, v27, v37
	v_mul_f32_e32 v37, v40, v57
	v_fma_f32 v27, v40, v56, -v33
	s_wait_dscnt 0x0
	v_dual_add_f32 v38, v30, v29 :: v_dual_mul_f32 v29, v43, v24
	v_dual_mul_f32 v40, v43, v26 :: v_dual_fmac_f32 v37, v41, v56
	v_mul_f32_e32 v33, v42, v24
	v_add_f32_e32 v34, v34, v27
	s_delay_alu instid0(VALU_DEP_3) | instskip(SKIP_3) | instid1(VALU_DEP_2)
	v_add_f32_e32 v37, v22, v37
	v_mul_f32_e32 v22, v42, v26
	v_fma_f32 v39, v42, v23, -v29
	v_fmac_f32_e32 v33, v43, v23
	v_dual_fmac_f32 v22, v43, v25 :: v_dual_add_f32 v1, v1, v39
	v_fma_f32 v39, v42, v25, -v40
	v_add_f32_e32 v31, v31, v28
	ds_load_2addr_b64 v[27:30], v18 offset0:96 offset1:112
	v_dual_add_f32 v33, v36, v33 :: v_dual_mul_f32 v36, v59, v24
	v_mul_f32_e32 v24, v58, v24
	v_dual_add_f32 v32, v32, v39 :: v_dual_mul_f32 v39, v59, v26
	v_mul_f32_e32 v26, v58, v26
	s_delay_alu instid0(VALU_DEP_4) | instskip(NEXT) | instid1(VALU_DEP_4)
	v_fma_f32 v36, v58, v23, -v36
	v_fmac_f32_e32 v24, v59, v23
	v_add_f32_e32 v35, v35, v22
	v_fma_f32 v22, v58, v25, -v39
	v_fmac_f32_e32 v26, v59, v25
	v_add_f32_e32 v36, v38, v36
	s_delay_alu instid0(VALU_DEP_3)
	v_dual_add_f32 v38, v31, v24 :: v_dual_add_f32 v39, v34, v22
	ds_load_2addr_b64 v[22:25], v18 offset0:128 offset1:144
	s_wait_dscnt 0x1
	v_mul_f32_e32 v31, v45, v28
	v_mul_f32_e32 v34, v44, v28
	;; [unrolled: 1-line block ×4, first 2 shown]
	s_delay_alu instid0(VALU_DEP_4) | instskip(NEXT) | instid1(VALU_DEP_4)
	v_fma_f32 v31, v44, v27, -v31
	v_fmac_f32_e32 v34, v45, v27
	s_delay_alu instid0(VALU_DEP_2) | instskip(SKIP_1) | instid1(VALU_DEP_3)
	v_add_f32_e32 v1, v1, v31
	v_mul_f32_e32 v31, v61, v28
	v_dual_mul_f32 v28, v60, v28 :: v_dual_add_f32 v41, v33, v34
	s_delay_alu instid0(VALU_DEP_2) | instskip(NEXT) | instid1(VALU_DEP_2)
	v_fma_f32 v42, v60, v27, -v31
	v_fmac_f32_e32 v28, v61, v27
	s_wait_dscnt 0x0
	v_mul_f32_e32 v27, v47, v23
	v_fma_f32 v40, v44, v29, -v40
	v_add_f32_e32 v37, v37, v26
	v_mul_f32_e32 v26, v44, v30
	v_mul_f32_e32 v54, v46, v25
	s_delay_alu instid0(VALU_DEP_4) | instskip(SKIP_2) | instid1(VALU_DEP_1)
	v_add_f32_e32 v40, v32, v40
	ds_load_b128 v[31:34], v19 offset:1056
	v_dual_fmac_f32 v26, v45, v29 :: v_dual_mul_f32 v45, v46, v23
	v_add_f32_e32 v44, v35, v26
	v_fma_f32 v26, v60, v29, -v43
	v_fma_f32 v35, v46, v22, -v27
	v_mul_f32_e32 v30, v60, v30
	v_fmac_f32_e32 v45, v47, v22
	v_add_f32_e32 v42, v36, v42
	v_add_f32_e32 v39, v39, v26
	;; [unrolled: 1-line block ×4, first 2 shown]
	v_fmac_f32_e32 v30, v61, v29
	ds_load_2addr_b64 v[26:29], v18 offset0:160 offset1:176
	v_mul_f32_e32 v36, v47, v25
	v_add_f32_e32 v41, v41, v45
	v_add_f32_e32 v30, v37, v30
	s_delay_alu instid0(VALU_DEP_3)
	v_fma_f32 v46, v46, v24, -v36
	ds_load_b128 v[35:38], v19 offset:1072
	s_wait_dscnt 0x2
	v_mul_f32_e32 v55, v32, v23
	v_dual_mul_f32 v23, v31, v23 :: v_dual_add_f32 v40, v40, v46
	v_fmac_f32_e32 v54, v47, v24
	v_mul_f32_e32 v46, v32, v25
	s_delay_alu instid0(VALU_DEP_4) | instskip(NEXT) | instid1(VALU_DEP_4)
	v_fma_f32 v45, v31, v22, -v55
	v_fmac_f32_e32 v23, v32, v22
	s_delay_alu instid0(VALU_DEP_4) | instskip(SKIP_1) | instid1(VALU_DEP_3)
	v_dual_mul_f32 v47, v31, v25 :: v_dual_add_f32 v44, v44, v54
	s_wait_dscnt 0x1
	v_dual_add_f32 v42, v42, v45 :: v_dual_mul_f32 v25, v49, v27
	v_fma_f32 v22, v31, v24, -v46
	v_add_f32_e32 v31, v43, v23
	v_fmac_f32_e32 v47, v32, v24
	v_mul_f32_e32 v32, v48, v27
	v_fma_f32 v43, v48, v26, -v25
	v_add_f32_e32 v39, v39, v22
	ds_load_2addr_b64 v[22:25], v18 offset0:192 offset1:208
	v_fmac_f32_e32 v32, v49, v26
	v_dual_mul_f32 v45, v49, v29 :: v_dual_add_f32 v46, v30, v47
	v_dual_add_f32 v1, v1, v43 :: v_dual_mul_f32 v30, v48, v29
	s_delay_alu instid0(VALU_DEP_3) | instskip(NEXT) | instid1(VALU_DEP_3)
	v_dual_add_f32 v41, v41, v32 :: v_dual_mul_f32 v32, v34, v27
	v_fma_f32 v43, v48, v28, -v45
	s_delay_alu instid0(VALU_DEP_3) | instskip(NEXT) | instid1(VALU_DEP_3)
	v_fmac_f32_e32 v30, v49, v28
	v_fma_f32 v32, v33, v26, -v32
	s_delay_alu instid0(VALU_DEP_3) | instskip(SKIP_1) | instid1(VALU_DEP_3)
	v_dual_add_f32 v40, v40, v43 :: v_dual_mul_f32 v43, v34, v29
	v_mul_f32_e32 v27, v33, v27
	v_dual_mul_f32 v29, v33, v29 :: v_dual_add_f32 v42, v42, v32
	s_delay_alu instid0(VALU_DEP_2) | instskip(SKIP_2) | instid1(VALU_DEP_4)
	v_fmac_f32_e32 v27, v34, v26
	v_add_f32_e32 v26, v44, v30
	v_fma_f32 v30, v33, v28, -v43
	v_fmac_f32_e32 v29, v34, v28
	s_wait_dscnt 0x0
	v_mul_f32_e32 v34, v50, v23
	v_dual_add_f32 v27, v31, v27 :: v_dual_mul_f32 v44, v50, v25
	v_add_f32_e32 v28, v39, v30
	ds_load_2addr_b64 v[30:33], v18 offset0:224 offset1:240
	v_dual_add_f32 v29, v46, v29 :: v_dual_fmac_f32 v34, v51, v22
	v_mul_f32_e32 v43, v51, v23
	v_fmac_f32_e32 v44, v51, v24
	s_wait_loadcnt_dscnt 0x0
	s_barrier_signal -1
	v_add_f32_e32 v34, v41, v34
	v_fma_f32 v39, v50, v22, -v43
	v_mul_f32_e32 v43, v51, v25
	v_mul_f32_e32 v41, v36, v25
	;; [unrolled: 1-line block ×3, first 2 shown]
	s_barrier_wait -1
	v_add_f32_e32 v1, v1, v39
	v_fma_f32 v43, v50, v24, -v43
	v_mul_f32_e32 v39, v36, v23
	v_fmac_f32_e32 v25, v36, v24
	global_inv scope:SCOPE_SE
	v_dual_add_f32 v40, v40, v43 :: v_dual_add_f32 v43, v26, v44
	v_fma_f32 v26, v35, v24, -v41
	v_mul_f32_e32 v23, v35, v23
	s_delay_alu instid0(VALU_DEP_1) | instskip(NEXT) | instid1(VALU_DEP_3)
	v_fmac_f32_e32 v23, v36, v22
	v_add_f32_e32 v36, v28, v26
	v_mul_f32_e32 v26, v53, v33
	v_fma_f32 v39, v35, v22, -v39
	v_mul_f32_e32 v35, v53, v31
	s_delay_alu instid0(VALU_DEP_2) | instskip(NEXT) | instid1(VALU_DEP_2)
	v_add_f32_e32 v22, v42, v39
	v_fma_f32 v24, v52, v30, -v35
	v_add_f32_e32 v35, v29, v25
	v_mul_f32_e32 v25, v37, v31
	s_delay_alu instid0(VALU_DEP_3) | instskip(SKIP_4) | instid1(VALU_DEP_4)
	v_add_f32_e32 v28, v1, v24
	v_fma_f32 v1, v52, v32, -v26
	v_mul_f32_e32 v24, v38, v31
	v_add_f32_e32 v23, v27, v23
	v_mul_f32_e32 v27, v52, v33
	v_dual_fmac_f32 v25, v38, v30 :: v_dual_add_f32 v26, v40, v1
	s_delay_alu instid0(VALU_DEP_4) | instskip(SKIP_3) | instid1(VALU_DEP_4)
	v_fma_f32 v1, v37, v30, -v24
	v_mul_f32_e32 v39, v52, v31
	v_mul_f32_e32 v31, v38, v33
	;; [unrolled: 1-line block ×3, first 2 shown]
	v_dual_fmac_f32 v27, v53, v32 :: v_dual_add_f32 v24, v22, v1
	s_delay_alu instid0(VALU_DEP_4) | instskip(NEXT) | instid1(VALU_DEP_4)
	v_fmac_f32_e32 v39, v53, v30
	v_fma_f32 v30, v37, v32, -v31
	s_delay_alu instid0(VALU_DEP_4) | instskip(NEXT) | instid1(VALU_DEP_4)
	v_fmac_f32_e32 v33, v38, v32
	v_add_f32_e32 v27, v43, v27
	v_add_f32_e32 v25, v23, v25
	;; [unrolled: 1-line block ×3, first 2 shown]
	s_delay_alu instid0(VALU_DEP_4)
	v_dual_add_f32 v23, v36, v30 :: v_dual_add_f32 v22, v35, v33
	s_wait_alu 0xfffe
	s_cbranch_vccz .LBB112_15
.LBB112_7:                              ;   Parent Loop BB112_4 Depth=1
                                        ; =>  This Inner Loop Header: Depth=2
	s_wait_alu 0xfffe
	v_add_co_u32 v30, s27, v14, s18
	s_wait_alu 0xf1ff
	v_add_co_ci_u32_e64 v31, null, 0, s19, s27
	s_delay_alu instid0(VALU_DEP_1)
	v_cmp_le_i64_e32 vcc_lo, s[12:13], v[30:31]
	s_or_b32 s27, s25, vcc_lo
	s_wait_alu 0xfffe
	s_and_saveexec_b32 s28, s27
	s_wait_alu 0xfffe
	s_xor_b32 s27, exec_lo, s28
; %bb.8:                                ;   in Loop: Header=BB112_7 Depth=2
	ds_store_b32 v16, v0
; %bb.9:                                ;   in Loop: Header=BB112_7 Depth=2
	s_wait_alu 0xfffe
	s_or_saveexec_b32 s27, s27
	v_mov_b32_e32 v1, 0
	s_wait_alu 0xfffe
	s_xor_b32 exec_lo, exec_lo, s27
	s_cbranch_execz .LBB112_11
; %bb.10:                               ;   in Loop: Header=BB112_7 Depth=2
	global_load_b64 v[30:31], v[12:13], off offset:-4
	s_wait_loadcnt 0x0
	v_xor_b32_e32 v1, 0x80000000, v31
	ds_store_b32 v16, v30
.LBB112_11:                             ;   in Loop: Header=BB112_7 Depth=2
	s_or_b32 exec_lo, exec_lo, s27
	v_add_co_u32 v30, s27, v15, s18
	s_wait_alu 0xf1ff
	v_add_co_ci_u32_e64 v31, null, 0, s19, s27
	ds_store_b32 v16, v1 offset:4
	v_cmp_le_i64_e32 vcc_lo, s[12:13], v[30:31]
	s_or_b32 s27, vcc_lo, s26
	s_wait_alu 0xfffe
	s_and_saveexec_b32 s28, s27
	s_wait_alu 0xfffe
	s_xor_b32 s27, exec_lo, s28
; %bb.12:                               ;   in Loop: Header=BB112_7 Depth=2
	v_mov_b32_e32 v1, v0
	ds_store_b64 v17, v[0:1]
; %bb.13:                               ;   in Loop: Header=BB112_7 Depth=2
	s_wait_alu 0xfffe
	s_and_not1_saveexec_b32 s27, s27
	s_cbranch_execz .LBB112_6
; %bb.14:                               ;   in Loop: Header=BB112_7 Depth=2
	global_load_b64 v[30:31], v[10:11], off
	s_wait_loadcnt 0x0
	ds_store_b64 v17, v[30:31]
	s_branch .LBB112_6
.LBB112_15:                             ;   in Loop: Header=BB112_4 Depth=1
	s_mul_u64 s[18:19], s[38:39], s[6:7]
	s_and_not1_b32 vcc_lo, exec_lo, s46
	s_wait_alu 0xfffe
	s_lshl_b64 s[18:19], s[18:19], 3
	s_mov_b32 s27, -1
	s_wait_alu 0xfffe
	s_add_nc_u64 s[18:19], s[22:23], s[18:19]
	s_cbranch_vccz .LBB112_17
; %bb.16:                               ;   in Loop: Header=BB112_4 Depth=1
	s_and_not1_b32 vcc_lo, exec_lo, s27
	s_wait_alu 0xfffe
	s_cbranch_vccnz .LBB112_3
	s_branch .LBB112_28
.LBB112_17:                             ;   in Loop: Header=BB112_4 Depth=1
	s_and_saveexec_b32 s27, s0
	s_cbranch_execz .LBB112_27
; %bb.18:                               ;   in Loop: Header=BB112_4 Depth=1
	s_wait_alu 0xfffe
	v_add_co_u32 v1, vcc_lo, s18, v6
	s_wait_alu 0xfffd
	v_add_co_ci_u32_e64 v10, null, s19, v7, vcc_lo
	s_and_saveexec_b32 s28, s1
	s_cbranch_execnz .LBB112_21
; %bb.19:                               ;   in Loop: Header=BB112_4 Depth=1
	s_wait_alu 0xfffe
	s_or_b32 exec_lo, exec_lo, s28
	s_and_saveexec_b32 s28, s2
	s_cbranch_execnz .LBB112_22
.LBB112_20:                             ;   in Loop: Header=BB112_4 Depth=1
	s_wait_alu 0xfffe
	s_or_b32 exec_lo, exec_lo, s28
	s_delay_alu instid0(SALU_CYCLE_1)
	s_and_b32 exec_lo, exec_lo, s3
	s_cbranch_execnz .LBB112_23
	s_branch .LBB112_27
.LBB112_21:                             ;   in Loop: Header=BB112_4 Depth=1
	v_mul_f32_e32 v12, s14, v29
	v_mul_f32_e32 v11, s15, v29
	v_add_co_u32 v30, vcc_lo, v1, v8
	s_wait_alu 0xfffd
	v_add_co_ci_u32_e64 v31, null, v10, v9, vcc_lo
	v_fmac_f32_e32 v12, s15, v28
	v_fma_f32 v11, v28, s14, -v11
	global_store_b64 v[30:31], v[11:12], off
	s_wait_alu 0xfffe
	s_or_b32 exec_lo, exec_lo, s28
	s_and_saveexec_b32 s28, s2
	s_cbranch_execz .LBB112_20
.LBB112_22:                             ;   in Loop: Header=BB112_4 Depth=1
	v_mul_f32_e32 v12, s14, v27
	v_mul_f32_e32 v11, s15, v27
	v_add_co_u32 v30, vcc_lo, v1, v8
	s_wait_alu 0xfffd
	v_add_co_ci_u32_e64 v31, null, v10, v9, vcc_lo
	v_fmac_f32_e32 v12, s15, v26
	v_fma_f32 v11, v26, s14, -v11
	global_store_b64 v[30:31], v[11:12], off offset:128
	s_wait_alu 0xfffe
	s_or_b32 exec_lo, exec_lo, s28
	s_delay_alu instid0(SALU_CYCLE_1)
	s_and_b32 exec_lo, exec_lo, s3
	s_cbranch_execz .LBB112_27
.LBB112_23:                             ;   in Loop: Header=BB112_4 Depth=1
	s_lshl_b64 s[28:29], s[8:9], 3
	s_wait_alu 0xfffe
	v_add_co_u32 v1, vcc_lo, v1, s28
	s_wait_alu 0xfffd
	v_add_co_ci_u32_e64 v11, null, s29, v10, vcc_lo
	s_delay_alu instid0(VALU_DEP_2) | instskip(SKIP_1) | instid1(VALU_DEP_2)
	v_add_co_u32 v10, vcc_lo, v1, v8
	s_wait_alu 0xfffd
	v_add_co_ci_u32_e64 v11, null, v11, v9, vcc_lo
	s_and_saveexec_b32 s28, s1
	s_cbranch_execz .LBB112_25
; %bb.24:                               ;   in Loop: Header=BB112_4 Depth=1
	v_mul_f32_e32 v1, s15, v25
	v_mul_f32_e32 v13, s14, v25
	s_delay_alu instid0(VALU_DEP_2) | instskip(NEXT) | instid1(VALU_DEP_2)
	v_fma_f32 v12, v24, s14, -v1
	v_fmac_f32_e32 v13, s15, v24
	global_store_b64 v[10:11], v[12:13], off
.LBB112_25:                             ;   in Loop: Header=BB112_4 Depth=1
	s_wait_alu 0xfffe
	s_or_b32 exec_lo, exec_lo, s28
	s_delay_alu instid0(SALU_CYCLE_1)
	s_and_b32 exec_lo, exec_lo, s2
	s_cbranch_execz .LBB112_27
; %bb.26:                               ;   in Loop: Header=BB112_4 Depth=1
	v_mul_f32_e32 v1, s15, v22
	v_mul_f32_e32 v13, s14, v22
	s_delay_alu instid0(VALU_DEP_2) | instskip(NEXT) | instid1(VALU_DEP_2)
	v_fma_f32 v12, v23, s14, -v1
	v_fmac_f32_e32 v13, s15, v23
	global_store_b64 v[10:11], v[12:13], off offset:128
.LBB112_27:                             ;   in Loop: Header=BB112_4 Depth=1
	s_wait_alu 0xfffe
	s_or_b32 exec_lo, exec_lo, s27
	s_cbranch_execnz .LBB112_3
.LBB112_28:                             ;   in Loop: Header=BB112_4 Depth=1
	s_and_saveexec_b32 s27, s0
	s_cbranch_execz .LBB112_2
; %bb.29:                               ;   in Loop: Header=BB112_4 Depth=1
	s_mul_u64 s[28:29], s[20:21], s[6:7]
	s_wait_alu 0xfffe
	s_lshl_b64 s[28:29], s[28:29], 3
	s_wait_alu 0xfffe
	v_add_co_u32 v11, vcc_lo, v20, s28
	s_wait_alu 0xfffd
	v_add_co_ci_u32_e64 v12, null, s29, v21, vcc_lo
	v_add_co_u32 v1, vcc_lo, s18, v6
	s_wait_alu 0xfffd
	v_add_co_ci_u32_e64 v10, null, s19, v7, vcc_lo
	s_and_saveexec_b32 s18, s1
	s_cbranch_execnz .LBB112_32
; %bb.30:                               ;   in Loop: Header=BB112_4 Depth=1
	s_wait_alu 0xfffe
	s_or_b32 exec_lo, exec_lo, s18
	s_and_saveexec_b32 s18, s2
	s_cbranch_execnz .LBB112_33
.LBB112_31:                             ;   in Loop: Header=BB112_4 Depth=1
	s_wait_alu 0xfffe
	s_or_b32 exec_lo, exec_lo, s18
	s_delay_alu instid0(SALU_CYCLE_1)
	s_and_b32 exec_lo, exec_lo, s3
	s_cbranch_execz .LBB112_2
	s_branch .LBB112_34
.LBB112_32:                             ;   in Loop: Header=BB112_4 Depth=1
	v_add_co_u32 v30, vcc_lo, v11, v8
	s_wait_alu 0xfffd
	v_add_co_ci_u32_e64 v31, null, v12, v9, vcc_lo
	global_load_b64 v[30:31], v[30:31], off
	s_wait_loadcnt 0x0
	v_dual_mul_f32 v13, s15, v29 :: v_dual_mul_f32 v32, s35, v31
	v_mul_f32_e32 v31, s34, v31
	s_delay_alu instid0(VALU_DEP_2) | instskip(SKIP_1) | instid1(VALU_DEP_3)
	v_fma_f32 v13, v28, s14, -v13
	v_mul_f32_e32 v29, s14, v29
	v_fmac_f32_e32 v31, s35, v30
	s_delay_alu instid0(VALU_DEP_2) | instskip(SKIP_2) | instid1(VALU_DEP_3)
	v_fmac_f32_e32 v29, s15, v28
	v_fma_f32 v28, v30, s34, -v32
	v_add_co_u32 v30, vcc_lo, v1, v8
	v_add_f32_e32 v29, v29, v31
	s_delay_alu instid0(VALU_DEP_3)
	v_add_f32_e32 v28, v13, v28
	s_wait_alu 0xfffd
	v_add_co_ci_u32_e64 v31, null, v10, v9, vcc_lo
	global_store_b64 v[30:31], v[28:29], off
	s_wait_alu 0xfffe
	s_or_b32 exec_lo, exec_lo, s18
	s_and_saveexec_b32 s18, s2
	s_cbranch_execz .LBB112_31
.LBB112_33:                             ;   in Loop: Header=BB112_4 Depth=1
	v_add_co_u32 v28, vcc_lo, v11, v8
	s_wait_alu 0xfffd
	v_add_co_ci_u32_e64 v29, null, v12, v9, vcc_lo
	global_load_b64 v[28:29], v[28:29], off offset:128
	s_wait_loadcnt 0x0
	v_dual_mul_f32 v13, s15, v27 :: v_dual_mul_f32 v30, s35, v29
	v_mul_f32_e32 v29, s34, v29
	s_delay_alu instid0(VALU_DEP_2) | instskip(SKIP_1) | instid1(VALU_DEP_3)
	v_fma_f32 v13, v26, s14, -v13
	v_mul_f32_e32 v27, s14, v27
	v_fmac_f32_e32 v29, s35, v28
	s_delay_alu instid0(VALU_DEP_2) | instskip(SKIP_2) | instid1(VALU_DEP_2)
	v_fmac_f32_e32 v27, s15, v26
	v_fma_f32 v26, v28, s34, -v30
	v_add_co_u32 v28, vcc_lo, v1, v8
	v_dual_add_f32 v27, v27, v29 :: v_dual_add_f32 v26, v13, v26
	s_wait_alu 0xfffd
	v_add_co_ci_u32_e64 v29, null, v10, v9, vcc_lo
	global_store_b64 v[28:29], v[26:27], off offset:128
	s_wait_alu 0xfffe
	s_or_b32 exec_lo, exec_lo, s18
	s_delay_alu instid0(SALU_CYCLE_1)
	s_and_b32 exec_lo, exec_lo, s3
	s_cbranch_execz .LBB112_2
.LBB112_34:                             ;   in Loop: Header=BB112_4 Depth=1
	v_add_co_u32 v11, vcc_lo, v11, s4
	s_lshl_b64 s[18:19], s[8:9], 3
	s_wait_alu 0xfffd
	v_add_co_ci_u32_e64 v13, null, s5, v12, vcc_lo
	s_wait_alu 0xfffe
	v_add_co_u32 v1, vcc_lo, v1, s18
	s_wait_alu 0xfffd
	v_add_co_ci_u32_e64 v26, null, s19, v10, vcc_lo
	v_add_co_u32 v12, vcc_lo, v11, v8
	s_wait_alu 0xfffd
	v_add_co_ci_u32_e64 v13, null, v13, v9, vcc_lo
	;; [unrolled: 3-line block ×3, first 2 shown]
	s_and_saveexec_b32 s18, s1
	s_cbranch_execz .LBB112_36
; %bb.35:                               ;   in Loop: Header=BB112_4 Depth=1
	global_load_b64 v[26:27], v[12:13], off
	s_wait_loadcnt 0x0
	v_dual_mul_f32 v1, s15, v25 :: v_dual_mul_f32 v28, s35, v27
	v_mul_f32_e32 v27, s34, v27
	s_delay_alu instid0(VALU_DEP_2) | instskip(SKIP_1) | instid1(VALU_DEP_3)
	v_fma_f32 v1, v24, s14, -v1
	v_mul_f32_e32 v25, s14, v25
	v_fmac_f32_e32 v27, s35, v26
	s_delay_alu instid0(VALU_DEP_2) | instskip(SKIP_1) | instid1(VALU_DEP_2)
	v_fmac_f32_e32 v25, s15, v24
	v_fma_f32 v24, v26, s34, -v28
	v_add_f32_e32 v25, v25, v27
	s_delay_alu instid0(VALU_DEP_2)
	v_add_f32_e32 v24, v1, v24
	global_store_b64 v[10:11], v[24:25], off
.LBB112_36:                             ;   in Loop: Header=BB112_4 Depth=1
	s_wait_alu 0xfffe
	s_or_b32 exec_lo, exec_lo, s18
	s_delay_alu instid0(SALU_CYCLE_1)
	s_and_b32 exec_lo, exec_lo, s2
	s_cbranch_execz .LBB112_2
; %bb.37:                               ;   in Loop: Header=BB112_4 Depth=1
	global_load_b64 v[12:13], v[12:13], off offset:128
	v_mul_f32_e32 v1, s15, v22
	v_mul_f32_e32 v22, s14, v22
	s_wait_loadcnt 0x0
	v_mul_f32_e32 v24, s35, v13
	v_mul_f32_e32 v13, s34, v13
	v_fma_f32 v1, v23, s14, -v1
	v_fmac_f32_e32 v22, s15, v23
	s_delay_alu instid0(VALU_DEP_4) | instskip(NEXT) | instid1(VALU_DEP_1)
	v_fma_f32 v23, v12, s34, -v24
	v_dual_fmac_f32 v13, s35, v12 :: v_dual_add_f32 v12, v1, v23
	s_delay_alu instid0(VALU_DEP_1)
	v_add_f32_e32 v13, v22, v13
	global_store_b64 v[10:11], v[12:13], off offset:128
	s_branch .LBB112_2
.LBB112_38:
	s_endpgm
	.section	.rodata,"a",@progbits
	.p2align	6, 0x0
	.amdhsa_kernel _ZN12_GLOBAL__N_135rocblas_gemm_batched_general_kernelI19rocblas_complex_numIfELi16ELi16ELi32ELi32ELi8ELi32ELi8ELi8ELi32ELc67ELc78EKS2_S3_S2_EEvlllT_PT11_llS6_llS4_PT12_llPT13_lli
		.amdhsa_group_segment_fixed_size 4096
		.amdhsa_private_segment_fixed_size 0
		.amdhsa_kernarg_size 140
		.amdhsa_user_sgpr_count 2
		.amdhsa_user_sgpr_dispatch_ptr 0
		.amdhsa_user_sgpr_queue_ptr 0
		.amdhsa_user_sgpr_kernarg_segment_ptr 1
		.amdhsa_user_sgpr_dispatch_id 0
		.amdhsa_user_sgpr_private_segment_size 0
		.amdhsa_wavefront_size32 1
		.amdhsa_uses_dynamic_stack 0
		.amdhsa_enable_private_segment 0
		.amdhsa_system_sgpr_workgroup_id_x 1
		.amdhsa_system_sgpr_workgroup_id_y 1
		.amdhsa_system_sgpr_workgroup_id_z 1
		.amdhsa_system_sgpr_workgroup_info 0
		.amdhsa_system_vgpr_workitem_id 1
		.amdhsa_next_free_vgpr 67
		.amdhsa_next_free_sgpr 47
		.amdhsa_reserve_vcc 1
		.amdhsa_float_round_mode_32 0
		.amdhsa_float_round_mode_16_64 0
		.amdhsa_float_denorm_mode_32 3
		.amdhsa_float_denorm_mode_16_64 3
		.amdhsa_fp16_overflow 0
		.amdhsa_workgroup_processor_mode 1
		.amdhsa_memory_ordered 1
		.amdhsa_forward_progress 1
		.amdhsa_inst_pref_size 28
		.amdhsa_round_robin_scheduling 0
		.amdhsa_exception_fp_ieee_invalid_op 0
		.amdhsa_exception_fp_denorm_src 0
		.amdhsa_exception_fp_ieee_div_zero 0
		.amdhsa_exception_fp_ieee_overflow 0
		.amdhsa_exception_fp_ieee_underflow 0
		.amdhsa_exception_fp_ieee_inexact 0
		.amdhsa_exception_int_div_zero 0
	.end_amdhsa_kernel
	.section	.text._ZN12_GLOBAL__N_135rocblas_gemm_batched_general_kernelI19rocblas_complex_numIfELi16ELi16ELi32ELi32ELi8ELi32ELi8ELi8ELi32ELc67ELc78EKS2_S3_S2_EEvlllT_PT11_llS6_llS4_PT12_llPT13_lli,"axG",@progbits,_ZN12_GLOBAL__N_135rocblas_gemm_batched_general_kernelI19rocblas_complex_numIfELi16ELi16ELi32ELi32ELi8ELi32ELi8ELi8ELi32ELc67ELc78EKS2_S3_S2_EEvlllT_PT11_llS6_llS4_PT12_llPT13_lli,comdat
.Lfunc_end112:
	.size	_ZN12_GLOBAL__N_135rocblas_gemm_batched_general_kernelI19rocblas_complex_numIfELi16ELi16ELi32ELi32ELi8ELi32ELi8ELi8ELi32ELc67ELc78EKS2_S3_S2_EEvlllT_PT11_llS6_llS4_PT12_llPT13_lli, .Lfunc_end112-_ZN12_GLOBAL__N_135rocblas_gemm_batched_general_kernelI19rocblas_complex_numIfELi16ELi16ELi32ELi32ELi8ELi32ELi8ELi8ELi32ELc67ELc78EKS2_S3_S2_EEvlllT_PT11_llS6_llS4_PT12_llPT13_lli
                                        ; -- End function
	.set _ZN12_GLOBAL__N_135rocblas_gemm_batched_general_kernelI19rocblas_complex_numIfELi16ELi16ELi32ELi32ELi8ELi32ELi8ELi8ELi32ELc67ELc78EKS2_S3_S2_EEvlllT_PT11_llS6_llS4_PT12_llPT13_lli.num_vgpr, 67
	.set _ZN12_GLOBAL__N_135rocblas_gemm_batched_general_kernelI19rocblas_complex_numIfELi16ELi16ELi32ELi32ELi8ELi32ELi8ELi8ELi32ELc67ELc78EKS2_S3_S2_EEvlllT_PT11_llS6_llS4_PT12_llPT13_lli.num_agpr, 0
	.set _ZN12_GLOBAL__N_135rocblas_gemm_batched_general_kernelI19rocblas_complex_numIfELi16ELi16ELi32ELi32ELi8ELi32ELi8ELi8ELi32ELc67ELc78EKS2_S3_S2_EEvlllT_PT11_llS6_llS4_PT12_llPT13_lli.numbered_sgpr, 47
	.set _ZN12_GLOBAL__N_135rocblas_gemm_batched_general_kernelI19rocblas_complex_numIfELi16ELi16ELi32ELi32ELi8ELi32ELi8ELi8ELi32ELc67ELc78EKS2_S3_S2_EEvlllT_PT11_llS6_llS4_PT12_llPT13_lli.num_named_barrier, 0
	.set _ZN12_GLOBAL__N_135rocblas_gemm_batched_general_kernelI19rocblas_complex_numIfELi16ELi16ELi32ELi32ELi8ELi32ELi8ELi8ELi32ELc67ELc78EKS2_S3_S2_EEvlllT_PT11_llS6_llS4_PT12_llPT13_lli.private_seg_size, 0
	.set _ZN12_GLOBAL__N_135rocblas_gemm_batched_general_kernelI19rocblas_complex_numIfELi16ELi16ELi32ELi32ELi8ELi32ELi8ELi8ELi32ELc67ELc78EKS2_S3_S2_EEvlllT_PT11_llS6_llS4_PT12_llPT13_lli.uses_vcc, 1
	.set _ZN12_GLOBAL__N_135rocblas_gemm_batched_general_kernelI19rocblas_complex_numIfELi16ELi16ELi32ELi32ELi8ELi32ELi8ELi8ELi32ELc67ELc78EKS2_S3_S2_EEvlllT_PT11_llS6_llS4_PT12_llPT13_lli.uses_flat_scratch, 0
	.set _ZN12_GLOBAL__N_135rocblas_gemm_batched_general_kernelI19rocblas_complex_numIfELi16ELi16ELi32ELi32ELi8ELi32ELi8ELi8ELi32ELc67ELc78EKS2_S3_S2_EEvlllT_PT11_llS6_llS4_PT12_llPT13_lli.has_dyn_sized_stack, 0
	.set _ZN12_GLOBAL__N_135rocblas_gemm_batched_general_kernelI19rocblas_complex_numIfELi16ELi16ELi32ELi32ELi8ELi32ELi8ELi8ELi32ELc67ELc78EKS2_S3_S2_EEvlllT_PT11_llS6_llS4_PT12_llPT13_lli.has_recursion, 0
	.set _ZN12_GLOBAL__N_135rocblas_gemm_batched_general_kernelI19rocblas_complex_numIfELi16ELi16ELi32ELi32ELi8ELi32ELi8ELi8ELi32ELc67ELc78EKS2_S3_S2_EEvlllT_PT11_llS6_llS4_PT12_llPT13_lli.has_indirect_call, 0
	.section	.AMDGPU.csdata,"",@progbits
; Kernel info:
; codeLenInByte = 3496
; TotalNumSgprs: 49
; NumVgprs: 67
; ScratchSize: 0
; MemoryBound: 1
; FloatMode: 240
; IeeeMode: 1
; LDSByteSize: 4096 bytes/workgroup (compile time only)
; SGPRBlocks: 0
; VGPRBlocks: 8
; NumSGPRsForWavesPerEU: 49
; NumVGPRsForWavesPerEU: 67
; Occupancy: 16
; WaveLimiterHint : 0
; COMPUTE_PGM_RSRC2:SCRATCH_EN: 0
; COMPUTE_PGM_RSRC2:USER_SGPR: 2
; COMPUTE_PGM_RSRC2:TRAP_HANDLER: 0
; COMPUTE_PGM_RSRC2:TGID_X_EN: 1
; COMPUTE_PGM_RSRC2:TGID_Y_EN: 1
; COMPUTE_PGM_RSRC2:TGID_Z_EN: 1
; COMPUTE_PGM_RSRC2:TIDIG_COMP_CNT: 1
	.section	.text._ZN12_GLOBAL__N_135rocblas_gemm_batched_general_kernelI19rocblas_complex_numIfELi16ELi16ELi32ELi32ELi8ELi32ELi8ELi8ELi32ELc67ELc84EKS2_S3_S2_EEvlllT_PT11_llS6_llS4_PT12_llPT13_lli,"axG",@progbits,_ZN12_GLOBAL__N_135rocblas_gemm_batched_general_kernelI19rocblas_complex_numIfELi16ELi16ELi32ELi32ELi8ELi32ELi8ELi8ELi32ELc67ELc84EKS2_S3_S2_EEvlllT_PT11_llS6_llS4_PT12_llPT13_lli,comdat
	.globl	_ZN12_GLOBAL__N_135rocblas_gemm_batched_general_kernelI19rocblas_complex_numIfELi16ELi16ELi32ELi32ELi8ELi32ELi8ELi8ELi32ELc67ELc84EKS2_S3_S2_EEvlllT_PT11_llS6_llS4_PT12_llPT13_lli ; -- Begin function _ZN12_GLOBAL__N_135rocblas_gemm_batched_general_kernelI19rocblas_complex_numIfELi16ELi16ELi32ELi32ELi8ELi32ELi8ELi8ELi32ELc67ELc84EKS2_S3_S2_EEvlllT_PT11_llS6_llS4_PT12_llPT13_lli
	.p2align	8
	.type	_ZN12_GLOBAL__N_135rocblas_gemm_batched_general_kernelI19rocblas_complex_numIfELi16ELi16ELi32ELi32ELi8ELi32ELi8ELi8ELi32ELc67ELc84EKS2_S3_S2_EEvlllT_PT11_llS6_llS4_PT12_llPT13_lli,@function
_ZN12_GLOBAL__N_135rocblas_gemm_batched_general_kernelI19rocblas_complex_numIfELi16ELi16ELi32ELi32ELi8ELi32ELi8ELi8ELi32ELc67ELc84EKS2_S3_S2_EEvlllT_PT11_llS6_llS4_PT12_llPT13_lli: ; @_ZN12_GLOBAL__N_135rocblas_gemm_batched_general_kernelI19rocblas_complex_numIfELi16ELi16ELi32ELi32ELi8ELi32ELi8ELi8ELi32ELc67ELc84EKS2_S3_S2_EEvlllT_PT11_llS6_llS4_PT12_llPT13_lli
; %bb.0:
	s_load_b32 s33, s[0:1], 0x88
	s_lshr_b32 s6, ttmp7, 16
	s_wait_kmcnt 0x0
	s_cmp_ge_i32 s6, s33
	s_cbranch_scc1 .LBB113_38
; %bb.1:
	s_clause 0x4
	s_load_b256 s[8:15], s[0:1], 0x0
	s_load_b256 s[24:31], s[0:1], 0x20
	s_load_b128 s[36:39], s[0:1], 0x78
	s_load_b128 s[40:43], s[0:1], 0x40
	s_load_b64 s[34:35], s[0:1], 0x50
	v_and_b32_e32 v15, 7, v0
	v_bfe_u32 v5, v0, 10, 10
	s_load_b256 s[16:23], s[0:1], 0x58
	s_mov_b32 s2, ttmp9
	s_ashr_i32 s3, ttmp9, 31
	s_and_b32 s47, ttmp7, 0xffff
	s_lshl_b64 s[44:45], s[2:3], 5
	v_lshlrev_b32_e32 v7, 3, v15
	s_lshl_b32 s0, s47, 5
	v_lshl_add_u32 v19, v5, 6, 0x800
	s_mov_b32 s7, 0
	v_mov_b32_e32 v2, s45
	s_wait_kmcnt 0x0
	v_mad_co_u64_u32 v[10:11], null, s40, v15, 0
	v_and_b32_e32 v8, 0x3ff, v0
	s_delay_alu instid0(VALU_DEP_1) | instskip(SKIP_1) | instid1(VALU_DEP_2)
	v_lshl_add_u32 v24, v5, 4, v8
	v_lshlrev_b32_e32 v18, 3, v8
	v_and_b32_e32 v3, 31, v24
	v_lshrrev_b32_e32 v0, 3, v24
	v_lshrrev_b32_e32 v14, 5, v24
	s_delay_alu instid0(VALU_DEP_3) | instskip(SKIP_1) | instid1(VALU_DEP_4)
	v_or_b32_e32 v1, s44, v3
	v_lshlrev_b32_e32 v6, 3, v3
	v_add_co_u32 v3, s1, v0, s0
	s_wait_alu 0xf1ff
	v_add_co_ci_u32_e64 v4, null, 0, 0, s1
	v_lshl_or_b32 v7, v0, 6, v7
	v_cmp_gt_i64_e32 vcc_lo, s[8:9], v[1:2]
	v_add_co_u32 v2, s0, s0, v5
	v_lshl_or_b32 v16, v14, 8, v6
	v_cmp_gt_i64_e64 s4, s[10:11], v[3:4]
	v_add_nc_u32_e32 v17, 0x800, v7
	s_delay_alu instid0(VALU_DEP_4)
	v_mad_co_u64_u32 v[6:7], null, v2, s36, 0
	v_mad_co_u64_u32 v[4:5], null, v2, s18, 0
	s_or_b32 s1, s34, s35
	v_mov_b32_e32 v0, 0
	s_wait_alu 0xfffe
	s_bitset0_b32 s1, 31
	v_add_co_ci_u32_e64 v3, null, 0, 0, s0
	s_wait_alu 0xfffe
	s_cmp_eq_u32 s1, 0
	v_add_co_u32 v8, s1, s44, v8
	v_mad_co_u64_u32 v[20:21], null, v2, s19, v[5:6]
	s_wait_alu 0xf1ff
	v_add_co_ci_u32_e64 v9, null, s45, 0, s1
	s_delay_alu instid0(VALU_DEP_3) | instskip(SKIP_4) | instid1(VALU_DEP_4)
	v_mad_co_u64_u32 v[21:22], null, v2, s37, v[7:8]
	v_mov_b32_e32 v7, v11
	v_add_co_u32 v12, s1, v8, 16
	v_mov_b32_e32 v5, v20
	v_cmp_gt_i64_e64 s0, s[10:11], v[2:3]
	v_mad_co_u64_u32 v[22:23], null, s41, v15, v[7:8]
	s_wait_alu 0xf1ff
	v_add_co_ci_u32_e64 v13, null, 0, v9, s1
	v_lshlrev_b64_e32 v[4:5], 3, v[4:5]
	v_add_co_u32 v2, s1, v2, 16
	s_wait_alu 0xf1ff
	v_add_co_ci_u32_e64 v3, null, 0, v3, s1
	v_mov_b32_e32 v11, v22
	s_delay_alu instid0(VALU_DEP_4) | instskip(SKIP_1) | instid1(VALU_DEP_4)
	v_add_co_u32 v20, s5, s16, v4
	v_mov_b32_e32 v7, v21
	v_cmp_gt_i64_e64 s3, s[10:11], v[2:3]
	v_add_co_ci_u32_e64 v21, null, s17, v5, s5
	v_lshlrev_b64_e32 v[2:3], 3, v[10:11]
	v_mul_lo_u32 v10, s27, v1
	v_mad_co_u64_u32 v[4:5], null, s26, v1, 0
	s_cselect_b32 s46, -1, 0
	s_lshl_b32 s5, s47, 8
	s_mul_i32 s10, s26, s45
	v_and_b32_e32 v1, 0x1ff8, v24
	s_wait_alu 0xfffe
	v_add_co_u32 v2, s5, v2, s5
	v_add3_u32 v5, v5, s10, v10
	s_wait_alu 0xf1ff
	v_add_co_ci_u32_e64 v3, null, 0, v3, s5
	s_delay_alu instid0(VALU_DEP_3) | instskip(NEXT) | instid1(VALU_DEP_3)
	v_add_co_u32 v1, s5, v2, v1
	v_lshlrev_b64_e32 v[4:5], 3, v[4:5]
	s_wait_alu 0xf1ff
	s_delay_alu instid0(VALU_DEP_3) | instskip(SKIP_3) | instid1(VALU_DEP_3)
	v_add_co_ci_u32_e64 v3, null, 0, v3, s5
	v_lshlrev_b32_e32 v10, 3, v14
	v_add_co_u32 v2, s5, s30, v1
	s_wait_alu 0xf1ff
	v_add_co_ci_u32_e64 v3, null, s31, v3, s5
	s_delay_alu instid0(VALU_DEP_3) | instskip(SKIP_3) | instid1(VALU_DEP_3)
	v_add_co_u32 v1, s5, v4, v10
	s_wait_alu 0xf1ff
	v_add_co_ci_u32_e64 v4, null, 0, v5, s5
	v_cmp_gt_i64_e64 s1, s[8:9], v[8:9]
	v_add_co_u32 v1, s5, s24, v1
	s_wait_alu 0xf1ff
	s_delay_alu instid0(VALU_DEP_3) | instskip(SKIP_1) | instid1(VALU_DEP_3)
	v_add_co_ci_u32_e64 v5, null, s25, v4, s5
	v_cmp_gt_i64_e64 s2, s[8:9], v[12:13]
	v_add_co_u32 v4, s5, v1, 4
	v_cmp_gt_i64_e64 s26, s[12:13], 0
	v_lshlrev_b64_e32 v[6:7], 3, v[6:7]
	v_lshlrev_b64_e32 v[8:9], 3, v[8:9]
	s_wait_alu 0xf1ff
	v_add_co_ci_u32_e64 v5, null, 0, v5, s5
	s_lshl_b64 s[8:9], s[36:37], 4
	s_lshl_b64 s[36:37], s[18:19], 4
	;; [unrolled: 1-line block ×5, first 2 shown]
	s_xor_b32 s27, vcc_lo, -1
	s_xor_b32 s28, s4, -1
	s_wait_alu 0xfffe
	s_lshl_b64 s[4:5], s[36:37], 3
	s_branch .LBB113_4
.LBB113_2:                              ;   in Loop: Header=BB113_4 Depth=1
	s_wait_alu 0xfffe
	s_or_b32 exec_lo, exec_lo, s29
.LBB113_3:                              ;   in Loop: Header=BB113_4 Depth=1
	s_add_co_i32 s6, s6, 0x10000
	s_wait_alu 0xfffe
	s_cmp_lt_i32 s6, s33
	s_cbranch_scc0 .LBB113_38
.LBB113_4:                              ; =>This Loop Header: Depth=1
                                        ;     Child Loop BB113_7 Depth 2
	v_dual_mov_b32 v28, v0 :: v_dual_mov_b32 v29, v0
	v_dual_mov_b32 v26, v0 :: v_dual_mov_b32 v27, v0
	;; [unrolled: 1-line block ×4, first 2 shown]
	s_and_not1_b32 vcc_lo, exec_lo, s26
	s_wait_alu 0xfffe
	s_cbranch_vccnz .LBB113_15
; %bb.5:                                ;   in Loop: Header=BB113_4 Depth=1
	v_mad_co_u64_u32 v[10:11], null, s10, s6, v[2:3]
	v_mad_co_u64_u32 v[12:13], null, s18, s6, v[4:5]
	v_dual_mov_b32 v23, 0 :: v_dual_mov_b32 v26, 0
	v_mov_b32_e32 v25, 0
	v_mov_b32_e32 v27, 0
	v_dual_mov_b32 v1, v11 :: v_dual_mov_b32 v22, 0
	v_dual_mov_b32 v11, v13 :: v_dual_mov_b32 v24, 0
	s_mov_b64 s[24:25], 0
	s_delay_alu instid0(VALU_DEP_2) | instskip(NEXT) | instid1(VALU_DEP_2)
	v_mad_co_u64_u32 v[28:29], null, s11, s6, v[1:2]
	v_mad_co_u64_u32 v[30:31], null, s19, s6, v[11:12]
	v_mov_b32_e32 v29, 0
	s_delay_alu instid0(VALU_DEP_3) | instskip(NEXT) | instid1(VALU_DEP_3)
	v_dual_mov_b32 v11, v28 :: v_dual_mov_b32 v28, 0
	v_mov_b32_e32 v13, v30
	s_branch .LBB113_7
.LBB113_6:                              ;   in Loop: Header=BB113_7 Depth=2
	s_wait_alu 0xfffe
	s_or_b32 exec_lo, exec_lo, s29
	s_wait_dscnt 0x0
	s_barrier_signal -1
	s_barrier_wait -1
	global_inv scope:SCOPE_SE
	ds_load_b128 v[30:33], v19
	ds_load_2addr_b64 v[34:37], v18 offset1:16
	ds_load_b128 v[38:41], v19 offset:1024
	ds_load_b128 v[42:45], v19 offset:16
	;; [unrolled: 1-line block ×4, first 2 shown]
	ds_load_2addr_b64 v[54:57], v18 offset0:32 offset1:48
	ds_load_b128 v[58:61], v19 offset:1040
	s_add_nc_u64 s[24:25], s[24:25], 8
	v_add_co_u32 v10, vcc_lo, v10, s16
	s_wait_alu 0xfffe
	v_cmp_lt_i64_e64 s29, s[24:25], s[12:13]
	s_wait_alu 0xfffd
	v_add_co_ci_u32_e64 v11, null, s17, v11, vcc_lo
	v_add_co_u32 v12, vcc_lo, v12, 64
	s_wait_alu 0xfffd
	v_add_co_ci_u32_e64 v13, null, 0, v13, vcc_lo
	s_and_b32 vcc_lo, exec_lo, s29
	s_wait_dscnt 0x6
	v_dual_mul_f32 v1, v31, v35 :: v_dual_mul_f32 v64, v30, v37
	v_dual_mul_f32 v62, v30, v35 :: v_dual_mul_f32 v63, v31, v37
	s_wait_dscnt 0x5
	v_mul_f32_e32 v66, v39, v37
	s_delay_alu instid0(VALU_DEP_3) | instskip(SKIP_3) | instid1(VALU_DEP_4)
	v_fma_f32 v1, v30, v34, -v1
	v_dual_mul_f32 v37, v38, v37 :: v_dual_fmac_f32 v64, v31, v36
	v_fmac_f32_e32 v62, v31, v34
	v_fma_f32 v30, v30, v36, -v63
	v_add_f32_e32 v1, v28, v1
	v_mul_f32_e32 v65, v39, v35
	s_delay_alu instid0(VALU_DEP_4) | instskip(NEXT) | instid1(VALU_DEP_4)
	v_dual_mul_f32 v35, v38, v35 :: v_dual_add_f32 v28, v29, v62
	v_add_f32_e32 v29, v26, v30
	v_fmac_f32_e32 v37, v39, v36
	s_delay_alu instid0(VALU_DEP_4) | instskip(NEXT) | instid1(VALU_DEP_4)
	v_fma_f32 v31, v38, v34, -v65
	v_fmac_f32_e32 v35, v39, v34
	v_fma_f32 v34, v38, v36, -v66
	s_wait_dscnt 0x1
	v_dual_mul_f32 v36, v32, v55 :: v_dual_add_f32 v27, v27, v64
	v_mul_f32_e32 v38, v33, v57
	v_add_f32_e32 v30, v24, v31
	v_dual_add_f32 v31, v25, v35 :: v_dual_add_f32 v34, v23, v34
	ds_load_2addr_b64 v[23:26], v18 offset0:64 offset1:80
	v_fmac_f32_e32 v36, v33, v54
	v_dual_mul_f32 v35, v33, v55 :: v_dual_add_f32 v22, v22, v37
	v_mul_f32_e32 v37, v32, v57
	s_delay_alu instid0(VALU_DEP_3) | instskip(NEXT) | instid1(VALU_DEP_3)
	v_add_f32_e32 v36, v28, v36
	v_fma_f32 v35, v32, v54, -v35
	v_fma_f32 v32, v32, v56, -v38
	v_mul_f32_e32 v28, v40, v55
	s_delay_alu instid0(VALU_DEP_3) | instskip(SKIP_1) | instid1(VALU_DEP_4)
	v_add_f32_e32 v1, v1, v35
	v_mul_f32_e32 v35, v41, v55
	v_add_f32_e32 v32, v29, v32
	v_fmac_f32_e32 v37, v33, v56
	v_mul_f32_e32 v33, v41, v57
	v_fmac_f32_e32 v28, v41, v54
	v_fma_f32 v29, v40, v54, -v35
	s_delay_alu instid0(VALU_DEP_4) | instskip(SKIP_4) | instid1(VALU_DEP_3)
	v_add_f32_e32 v35, v27, v37
	v_mul_f32_e32 v37, v40, v57
	v_fma_f32 v27, v40, v56, -v33
	s_wait_dscnt 0x0
	v_dual_add_f32 v38, v30, v29 :: v_dual_mul_f32 v29, v43, v24
	v_dual_mul_f32 v40, v43, v26 :: v_dual_fmac_f32 v37, v41, v56
	v_mul_f32_e32 v33, v42, v24
	v_add_f32_e32 v34, v34, v27
	s_delay_alu instid0(VALU_DEP_3) | instskip(SKIP_3) | instid1(VALU_DEP_2)
	v_add_f32_e32 v37, v22, v37
	v_mul_f32_e32 v22, v42, v26
	v_fma_f32 v39, v42, v23, -v29
	v_fmac_f32_e32 v33, v43, v23
	v_dual_fmac_f32 v22, v43, v25 :: v_dual_add_f32 v1, v1, v39
	v_fma_f32 v39, v42, v25, -v40
	v_add_f32_e32 v31, v31, v28
	ds_load_2addr_b64 v[27:30], v18 offset0:96 offset1:112
	v_dual_add_f32 v33, v36, v33 :: v_dual_mul_f32 v36, v59, v24
	v_mul_f32_e32 v24, v58, v24
	v_dual_add_f32 v32, v32, v39 :: v_dual_mul_f32 v39, v59, v26
	v_mul_f32_e32 v26, v58, v26
	s_delay_alu instid0(VALU_DEP_4) | instskip(NEXT) | instid1(VALU_DEP_4)
	v_fma_f32 v36, v58, v23, -v36
	v_fmac_f32_e32 v24, v59, v23
	v_add_f32_e32 v35, v35, v22
	v_fma_f32 v22, v58, v25, -v39
	v_fmac_f32_e32 v26, v59, v25
	v_add_f32_e32 v36, v38, v36
	s_delay_alu instid0(VALU_DEP_3)
	v_dual_add_f32 v38, v31, v24 :: v_dual_add_f32 v39, v34, v22
	ds_load_2addr_b64 v[22:25], v18 offset0:128 offset1:144
	s_wait_dscnt 0x1
	v_mul_f32_e32 v31, v45, v28
	v_mul_f32_e32 v34, v44, v28
	;; [unrolled: 1-line block ×4, first 2 shown]
	s_delay_alu instid0(VALU_DEP_4) | instskip(NEXT) | instid1(VALU_DEP_4)
	v_fma_f32 v31, v44, v27, -v31
	v_fmac_f32_e32 v34, v45, v27
	s_delay_alu instid0(VALU_DEP_2) | instskip(SKIP_1) | instid1(VALU_DEP_3)
	v_add_f32_e32 v1, v1, v31
	v_mul_f32_e32 v31, v61, v28
	v_dual_mul_f32 v28, v60, v28 :: v_dual_add_f32 v41, v33, v34
	s_delay_alu instid0(VALU_DEP_2) | instskip(NEXT) | instid1(VALU_DEP_2)
	v_fma_f32 v42, v60, v27, -v31
	v_fmac_f32_e32 v28, v61, v27
	s_wait_dscnt 0x0
	v_mul_f32_e32 v27, v47, v23
	v_fma_f32 v40, v44, v29, -v40
	v_add_f32_e32 v37, v37, v26
	v_mul_f32_e32 v26, v44, v30
	v_mul_f32_e32 v54, v46, v25
	s_delay_alu instid0(VALU_DEP_4) | instskip(SKIP_2) | instid1(VALU_DEP_1)
	v_add_f32_e32 v40, v32, v40
	ds_load_b128 v[31:34], v19 offset:1056
	v_dual_fmac_f32 v26, v45, v29 :: v_dual_mul_f32 v45, v46, v23
	v_add_f32_e32 v44, v35, v26
	v_fma_f32 v26, v60, v29, -v43
	v_fma_f32 v35, v46, v22, -v27
	v_mul_f32_e32 v30, v60, v30
	v_fmac_f32_e32 v45, v47, v22
	v_add_f32_e32 v42, v36, v42
	v_add_f32_e32 v39, v39, v26
	;; [unrolled: 1-line block ×4, first 2 shown]
	v_fmac_f32_e32 v30, v61, v29
	ds_load_2addr_b64 v[26:29], v18 offset0:160 offset1:176
	v_mul_f32_e32 v36, v47, v25
	v_add_f32_e32 v41, v41, v45
	v_add_f32_e32 v30, v37, v30
	s_delay_alu instid0(VALU_DEP_3)
	v_fma_f32 v46, v46, v24, -v36
	ds_load_b128 v[35:38], v19 offset:1072
	s_wait_dscnt 0x2
	v_mul_f32_e32 v55, v32, v23
	v_dual_mul_f32 v23, v31, v23 :: v_dual_add_f32 v40, v40, v46
	v_fmac_f32_e32 v54, v47, v24
	v_mul_f32_e32 v46, v32, v25
	s_delay_alu instid0(VALU_DEP_4) | instskip(NEXT) | instid1(VALU_DEP_4)
	v_fma_f32 v45, v31, v22, -v55
	v_fmac_f32_e32 v23, v32, v22
	s_delay_alu instid0(VALU_DEP_4) | instskip(SKIP_1) | instid1(VALU_DEP_3)
	v_dual_mul_f32 v47, v31, v25 :: v_dual_add_f32 v44, v44, v54
	s_wait_dscnt 0x1
	v_dual_add_f32 v42, v42, v45 :: v_dual_mul_f32 v25, v49, v27
	v_fma_f32 v22, v31, v24, -v46
	v_add_f32_e32 v31, v43, v23
	v_fmac_f32_e32 v47, v32, v24
	v_mul_f32_e32 v32, v48, v27
	v_fma_f32 v43, v48, v26, -v25
	v_add_f32_e32 v39, v39, v22
	ds_load_2addr_b64 v[22:25], v18 offset0:192 offset1:208
	v_fmac_f32_e32 v32, v49, v26
	v_dual_mul_f32 v45, v49, v29 :: v_dual_add_f32 v46, v30, v47
	v_dual_add_f32 v1, v1, v43 :: v_dual_mul_f32 v30, v48, v29
	s_delay_alu instid0(VALU_DEP_3) | instskip(NEXT) | instid1(VALU_DEP_3)
	v_dual_add_f32 v41, v41, v32 :: v_dual_mul_f32 v32, v34, v27
	v_fma_f32 v43, v48, v28, -v45
	s_delay_alu instid0(VALU_DEP_3) | instskip(NEXT) | instid1(VALU_DEP_3)
	v_fmac_f32_e32 v30, v49, v28
	v_fma_f32 v32, v33, v26, -v32
	s_delay_alu instid0(VALU_DEP_3) | instskip(SKIP_1) | instid1(VALU_DEP_3)
	v_dual_add_f32 v40, v40, v43 :: v_dual_mul_f32 v43, v34, v29
	v_mul_f32_e32 v27, v33, v27
	v_dual_mul_f32 v29, v33, v29 :: v_dual_add_f32 v42, v42, v32
	s_delay_alu instid0(VALU_DEP_2) | instskip(SKIP_2) | instid1(VALU_DEP_4)
	v_fmac_f32_e32 v27, v34, v26
	v_add_f32_e32 v26, v44, v30
	v_fma_f32 v30, v33, v28, -v43
	v_fmac_f32_e32 v29, v34, v28
	s_wait_dscnt 0x0
	v_mul_f32_e32 v34, v50, v23
	v_dual_add_f32 v27, v31, v27 :: v_dual_mul_f32 v44, v50, v25
	v_add_f32_e32 v28, v39, v30
	ds_load_2addr_b64 v[30:33], v18 offset0:224 offset1:240
	v_dual_add_f32 v29, v46, v29 :: v_dual_fmac_f32 v34, v51, v22
	v_mul_f32_e32 v43, v51, v23
	v_fmac_f32_e32 v44, v51, v24
	s_wait_loadcnt_dscnt 0x0
	s_barrier_signal -1
	v_add_f32_e32 v34, v41, v34
	v_fma_f32 v39, v50, v22, -v43
	v_mul_f32_e32 v43, v51, v25
	v_mul_f32_e32 v41, v36, v25
	;; [unrolled: 1-line block ×3, first 2 shown]
	s_barrier_wait -1
	v_add_f32_e32 v1, v1, v39
	v_fma_f32 v43, v50, v24, -v43
	v_mul_f32_e32 v39, v36, v23
	v_fmac_f32_e32 v25, v36, v24
	global_inv scope:SCOPE_SE
	v_dual_add_f32 v40, v40, v43 :: v_dual_add_f32 v43, v26, v44
	v_fma_f32 v26, v35, v24, -v41
	v_mul_f32_e32 v23, v35, v23
	s_delay_alu instid0(VALU_DEP_1) | instskip(NEXT) | instid1(VALU_DEP_3)
	v_fmac_f32_e32 v23, v36, v22
	v_add_f32_e32 v36, v28, v26
	v_mul_f32_e32 v26, v53, v33
	v_fma_f32 v39, v35, v22, -v39
	v_mul_f32_e32 v35, v53, v31
	s_delay_alu instid0(VALU_DEP_2) | instskip(NEXT) | instid1(VALU_DEP_2)
	v_add_f32_e32 v22, v42, v39
	v_fma_f32 v24, v52, v30, -v35
	v_add_f32_e32 v35, v29, v25
	v_mul_f32_e32 v25, v37, v31
	s_delay_alu instid0(VALU_DEP_3) | instskip(SKIP_4) | instid1(VALU_DEP_4)
	v_add_f32_e32 v28, v1, v24
	v_fma_f32 v1, v52, v32, -v26
	v_mul_f32_e32 v24, v38, v31
	v_add_f32_e32 v23, v27, v23
	v_mul_f32_e32 v27, v52, v33
	v_dual_fmac_f32 v25, v38, v30 :: v_dual_add_f32 v26, v40, v1
	s_delay_alu instid0(VALU_DEP_4) | instskip(SKIP_3) | instid1(VALU_DEP_4)
	v_fma_f32 v1, v37, v30, -v24
	v_mul_f32_e32 v39, v52, v31
	v_mul_f32_e32 v31, v38, v33
	;; [unrolled: 1-line block ×3, first 2 shown]
	v_dual_fmac_f32 v27, v53, v32 :: v_dual_add_f32 v24, v22, v1
	s_delay_alu instid0(VALU_DEP_4) | instskip(NEXT) | instid1(VALU_DEP_4)
	v_fmac_f32_e32 v39, v53, v30
	v_fma_f32 v30, v37, v32, -v31
	s_delay_alu instid0(VALU_DEP_4) | instskip(NEXT) | instid1(VALU_DEP_4)
	v_fmac_f32_e32 v33, v38, v32
	v_add_f32_e32 v27, v43, v27
	v_add_f32_e32 v25, v23, v25
	;; [unrolled: 1-line block ×3, first 2 shown]
	s_delay_alu instid0(VALU_DEP_4)
	v_dual_add_f32 v23, v36, v30 :: v_dual_add_f32 v22, v35, v33
	s_wait_alu 0xfffe
	s_cbranch_vccz .LBB113_15
.LBB113_7:                              ;   Parent Loop BB113_4 Depth=1
                                        ; =>  This Inner Loop Header: Depth=2
	s_wait_alu 0xfffe
	v_add_co_u32 v30, s29, v14, s24
	s_wait_alu 0xf1ff
	v_add_co_ci_u32_e64 v31, null, 0, s25, s29
	s_delay_alu instid0(VALU_DEP_1)
	v_cmp_le_i64_e32 vcc_lo, s[12:13], v[30:31]
	s_or_b32 s29, s27, vcc_lo
	s_wait_alu 0xfffe
	s_and_saveexec_b32 s30, s29
	s_wait_alu 0xfffe
	s_xor_b32 s29, exec_lo, s30
; %bb.8:                                ;   in Loop: Header=BB113_7 Depth=2
	ds_store_b32 v16, v0
; %bb.9:                                ;   in Loop: Header=BB113_7 Depth=2
	s_wait_alu 0xfffe
	s_or_saveexec_b32 s29, s29
	v_mov_b32_e32 v1, 0
	s_wait_alu 0xfffe
	s_xor_b32 exec_lo, exec_lo, s29
	s_cbranch_execz .LBB113_11
; %bb.10:                               ;   in Loop: Header=BB113_7 Depth=2
	global_load_b64 v[30:31], v[12:13], off offset:-4
	s_wait_loadcnt 0x0
	v_xor_b32_e32 v1, 0x80000000, v31
	ds_store_b32 v16, v30
.LBB113_11:                             ;   in Loop: Header=BB113_7 Depth=2
	s_or_b32 exec_lo, exec_lo, s29
	v_add_co_u32 v30, s29, v15, s24
	s_wait_alu 0xf1ff
	v_add_co_ci_u32_e64 v31, null, 0, s25, s29
	ds_store_b32 v16, v1 offset:4
	v_cmp_le_i64_e32 vcc_lo, s[12:13], v[30:31]
	s_or_b32 s29, vcc_lo, s28
	s_wait_alu 0xfffe
	s_and_saveexec_b32 s30, s29
	s_wait_alu 0xfffe
	s_xor_b32 s29, exec_lo, s30
; %bb.12:                               ;   in Loop: Header=BB113_7 Depth=2
	v_mov_b32_e32 v1, v0
	ds_store_b64 v17, v[0:1]
; %bb.13:                               ;   in Loop: Header=BB113_7 Depth=2
	s_wait_alu 0xfffe
	s_and_not1_saveexec_b32 s29, s29
	s_cbranch_execz .LBB113_6
; %bb.14:                               ;   in Loop: Header=BB113_7 Depth=2
	global_load_b64 v[30:31], v[10:11], off
	s_wait_loadcnt 0x0
	ds_store_b64 v17, v[30:31]
	s_branch .LBB113_6
.LBB113_15:                             ;   in Loop: Header=BB113_4 Depth=1
	s_mul_u64 s[24:25], s[38:39], s[6:7]
	s_and_not1_b32 vcc_lo, exec_lo, s46
	s_wait_alu 0xfffe
	s_lshl_b64 s[24:25], s[24:25], 3
	s_mov_b32 s29, -1
	s_wait_alu 0xfffe
	s_add_nc_u64 s[24:25], s[22:23], s[24:25]
	s_cbranch_vccz .LBB113_17
; %bb.16:                               ;   in Loop: Header=BB113_4 Depth=1
	s_and_not1_b32 vcc_lo, exec_lo, s29
	s_wait_alu 0xfffe
	s_cbranch_vccnz .LBB113_3
	s_branch .LBB113_28
.LBB113_17:                             ;   in Loop: Header=BB113_4 Depth=1
	s_and_saveexec_b32 s29, s0
	s_cbranch_execz .LBB113_27
; %bb.18:                               ;   in Loop: Header=BB113_4 Depth=1
	s_wait_alu 0xfffe
	v_add_co_u32 v1, vcc_lo, s24, v6
	s_wait_alu 0xfffd
	v_add_co_ci_u32_e64 v10, null, s25, v7, vcc_lo
	s_and_saveexec_b32 s30, s1
	s_cbranch_execnz .LBB113_21
; %bb.19:                               ;   in Loop: Header=BB113_4 Depth=1
	s_wait_alu 0xfffe
	s_or_b32 exec_lo, exec_lo, s30
	s_and_saveexec_b32 s30, s2
	s_cbranch_execnz .LBB113_22
.LBB113_20:                             ;   in Loop: Header=BB113_4 Depth=1
	s_wait_alu 0xfffe
	s_or_b32 exec_lo, exec_lo, s30
	s_delay_alu instid0(SALU_CYCLE_1)
	s_and_b32 exec_lo, exec_lo, s3
	s_cbranch_execnz .LBB113_23
	s_branch .LBB113_27
.LBB113_21:                             ;   in Loop: Header=BB113_4 Depth=1
	v_mul_f32_e32 v12, s14, v29
	v_mul_f32_e32 v11, s15, v29
	v_add_co_u32 v30, vcc_lo, v1, v8
	s_wait_alu 0xfffd
	v_add_co_ci_u32_e64 v31, null, v10, v9, vcc_lo
	v_fmac_f32_e32 v12, s15, v28
	v_fma_f32 v11, v28, s14, -v11
	global_store_b64 v[30:31], v[11:12], off
	s_wait_alu 0xfffe
	s_or_b32 exec_lo, exec_lo, s30
	s_and_saveexec_b32 s30, s2
	s_cbranch_execz .LBB113_20
.LBB113_22:                             ;   in Loop: Header=BB113_4 Depth=1
	v_mul_f32_e32 v12, s14, v27
	v_mul_f32_e32 v11, s15, v27
	v_add_co_u32 v30, vcc_lo, v1, v8
	s_wait_alu 0xfffd
	v_add_co_ci_u32_e64 v31, null, v10, v9, vcc_lo
	v_fmac_f32_e32 v12, s15, v26
	v_fma_f32 v11, v26, s14, -v11
	global_store_b64 v[30:31], v[11:12], off offset:128
	s_wait_alu 0xfffe
	s_or_b32 exec_lo, exec_lo, s30
	s_delay_alu instid0(SALU_CYCLE_1)
	s_and_b32 exec_lo, exec_lo, s3
	s_cbranch_execz .LBB113_27
.LBB113_23:                             ;   in Loop: Header=BB113_4 Depth=1
	s_lshl_b64 s[30:31], s[8:9], 3
	s_wait_alu 0xfffe
	v_add_co_u32 v1, vcc_lo, v1, s30
	s_wait_alu 0xfffd
	v_add_co_ci_u32_e64 v11, null, s31, v10, vcc_lo
	s_delay_alu instid0(VALU_DEP_2) | instskip(SKIP_1) | instid1(VALU_DEP_2)
	v_add_co_u32 v10, vcc_lo, v1, v8
	s_wait_alu 0xfffd
	v_add_co_ci_u32_e64 v11, null, v11, v9, vcc_lo
	s_and_saveexec_b32 s30, s1
	s_cbranch_execz .LBB113_25
; %bb.24:                               ;   in Loop: Header=BB113_4 Depth=1
	v_mul_f32_e32 v1, s15, v25
	v_mul_f32_e32 v13, s14, v25
	s_delay_alu instid0(VALU_DEP_2) | instskip(NEXT) | instid1(VALU_DEP_2)
	v_fma_f32 v12, v24, s14, -v1
	v_fmac_f32_e32 v13, s15, v24
	global_store_b64 v[10:11], v[12:13], off
.LBB113_25:                             ;   in Loop: Header=BB113_4 Depth=1
	s_wait_alu 0xfffe
	s_or_b32 exec_lo, exec_lo, s30
	s_delay_alu instid0(SALU_CYCLE_1)
	s_and_b32 exec_lo, exec_lo, s2
	s_cbranch_execz .LBB113_27
; %bb.26:                               ;   in Loop: Header=BB113_4 Depth=1
	v_mul_f32_e32 v1, s15, v22
	v_mul_f32_e32 v13, s14, v22
	s_delay_alu instid0(VALU_DEP_2) | instskip(NEXT) | instid1(VALU_DEP_2)
	v_fma_f32 v12, v23, s14, -v1
	v_fmac_f32_e32 v13, s15, v23
	global_store_b64 v[10:11], v[12:13], off offset:128
.LBB113_27:                             ;   in Loop: Header=BB113_4 Depth=1
	s_wait_alu 0xfffe
	s_or_b32 exec_lo, exec_lo, s29
	s_cbranch_execnz .LBB113_3
.LBB113_28:                             ;   in Loop: Header=BB113_4 Depth=1
	s_and_saveexec_b32 s29, s0
	s_cbranch_execz .LBB113_2
; %bb.29:                               ;   in Loop: Header=BB113_4 Depth=1
	s_mul_u64 s[30:31], s[20:21], s[6:7]
	s_wait_alu 0xfffe
	s_lshl_b64 s[30:31], s[30:31], 3
	s_wait_alu 0xfffe
	v_add_co_u32 v11, vcc_lo, v20, s30
	s_wait_alu 0xfffd
	v_add_co_ci_u32_e64 v12, null, s31, v21, vcc_lo
	v_add_co_u32 v1, vcc_lo, s24, v6
	s_wait_alu 0xfffd
	v_add_co_ci_u32_e64 v10, null, s25, v7, vcc_lo
	s_and_saveexec_b32 s24, s1
	s_cbranch_execnz .LBB113_32
; %bb.30:                               ;   in Loop: Header=BB113_4 Depth=1
	s_wait_alu 0xfffe
	s_or_b32 exec_lo, exec_lo, s24
	s_and_saveexec_b32 s24, s2
	s_cbranch_execnz .LBB113_33
.LBB113_31:                             ;   in Loop: Header=BB113_4 Depth=1
	s_wait_alu 0xfffe
	s_or_b32 exec_lo, exec_lo, s24
	s_delay_alu instid0(SALU_CYCLE_1)
	s_and_b32 exec_lo, exec_lo, s3
	s_cbranch_execz .LBB113_2
	s_branch .LBB113_34
.LBB113_32:                             ;   in Loop: Header=BB113_4 Depth=1
	v_add_co_u32 v30, vcc_lo, v11, v8
	s_wait_alu 0xfffd
	v_add_co_ci_u32_e64 v31, null, v12, v9, vcc_lo
	global_load_b64 v[30:31], v[30:31], off
	s_wait_loadcnt 0x0
	v_dual_mul_f32 v13, s15, v29 :: v_dual_mul_f32 v32, s35, v31
	v_mul_f32_e32 v31, s34, v31
	s_delay_alu instid0(VALU_DEP_2) | instskip(SKIP_1) | instid1(VALU_DEP_3)
	v_fma_f32 v13, v28, s14, -v13
	v_mul_f32_e32 v29, s14, v29
	v_fmac_f32_e32 v31, s35, v30
	s_delay_alu instid0(VALU_DEP_2) | instskip(SKIP_2) | instid1(VALU_DEP_3)
	v_fmac_f32_e32 v29, s15, v28
	v_fma_f32 v28, v30, s34, -v32
	v_add_co_u32 v30, vcc_lo, v1, v8
	v_add_f32_e32 v29, v29, v31
	s_delay_alu instid0(VALU_DEP_3)
	v_add_f32_e32 v28, v13, v28
	s_wait_alu 0xfffd
	v_add_co_ci_u32_e64 v31, null, v10, v9, vcc_lo
	global_store_b64 v[30:31], v[28:29], off
	s_wait_alu 0xfffe
	s_or_b32 exec_lo, exec_lo, s24
	s_and_saveexec_b32 s24, s2
	s_cbranch_execz .LBB113_31
.LBB113_33:                             ;   in Loop: Header=BB113_4 Depth=1
	v_add_co_u32 v28, vcc_lo, v11, v8
	s_wait_alu 0xfffd
	v_add_co_ci_u32_e64 v29, null, v12, v9, vcc_lo
	global_load_b64 v[28:29], v[28:29], off offset:128
	s_wait_loadcnt 0x0
	v_dual_mul_f32 v13, s15, v27 :: v_dual_mul_f32 v30, s35, v29
	v_mul_f32_e32 v29, s34, v29
	s_delay_alu instid0(VALU_DEP_2) | instskip(SKIP_1) | instid1(VALU_DEP_3)
	v_fma_f32 v13, v26, s14, -v13
	v_mul_f32_e32 v27, s14, v27
	v_fmac_f32_e32 v29, s35, v28
	s_delay_alu instid0(VALU_DEP_2) | instskip(SKIP_2) | instid1(VALU_DEP_2)
	v_fmac_f32_e32 v27, s15, v26
	v_fma_f32 v26, v28, s34, -v30
	v_add_co_u32 v28, vcc_lo, v1, v8
	v_dual_add_f32 v27, v27, v29 :: v_dual_add_f32 v26, v13, v26
	s_wait_alu 0xfffd
	v_add_co_ci_u32_e64 v29, null, v10, v9, vcc_lo
	global_store_b64 v[28:29], v[26:27], off offset:128
	s_wait_alu 0xfffe
	s_or_b32 exec_lo, exec_lo, s24
	s_delay_alu instid0(SALU_CYCLE_1)
	s_and_b32 exec_lo, exec_lo, s3
	s_cbranch_execz .LBB113_2
.LBB113_34:                             ;   in Loop: Header=BB113_4 Depth=1
	v_add_co_u32 v11, vcc_lo, v11, s4
	s_lshl_b64 s[24:25], s[8:9], 3
	s_wait_alu 0xfffd
	v_add_co_ci_u32_e64 v13, null, s5, v12, vcc_lo
	s_wait_alu 0xfffe
	v_add_co_u32 v1, vcc_lo, v1, s24
	s_wait_alu 0xfffd
	v_add_co_ci_u32_e64 v26, null, s25, v10, vcc_lo
	v_add_co_u32 v12, vcc_lo, v11, v8
	s_wait_alu 0xfffd
	v_add_co_ci_u32_e64 v13, null, v13, v9, vcc_lo
	;; [unrolled: 3-line block ×3, first 2 shown]
	s_and_saveexec_b32 s24, s1
	s_cbranch_execz .LBB113_36
; %bb.35:                               ;   in Loop: Header=BB113_4 Depth=1
	global_load_b64 v[26:27], v[12:13], off
	s_wait_loadcnt 0x0
	v_dual_mul_f32 v1, s15, v25 :: v_dual_mul_f32 v28, s35, v27
	v_mul_f32_e32 v27, s34, v27
	s_delay_alu instid0(VALU_DEP_2) | instskip(SKIP_1) | instid1(VALU_DEP_3)
	v_fma_f32 v1, v24, s14, -v1
	v_mul_f32_e32 v25, s14, v25
	v_fmac_f32_e32 v27, s35, v26
	s_delay_alu instid0(VALU_DEP_2) | instskip(SKIP_1) | instid1(VALU_DEP_2)
	v_fmac_f32_e32 v25, s15, v24
	v_fma_f32 v24, v26, s34, -v28
	v_add_f32_e32 v25, v25, v27
	s_delay_alu instid0(VALU_DEP_2)
	v_add_f32_e32 v24, v1, v24
	global_store_b64 v[10:11], v[24:25], off
.LBB113_36:                             ;   in Loop: Header=BB113_4 Depth=1
	s_wait_alu 0xfffe
	s_or_b32 exec_lo, exec_lo, s24
	s_delay_alu instid0(SALU_CYCLE_1)
	s_and_b32 exec_lo, exec_lo, s2
	s_cbranch_execz .LBB113_2
; %bb.37:                               ;   in Loop: Header=BB113_4 Depth=1
	global_load_b64 v[12:13], v[12:13], off offset:128
	v_mul_f32_e32 v1, s15, v22
	v_mul_f32_e32 v22, s14, v22
	s_wait_loadcnt 0x0
	v_mul_f32_e32 v24, s35, v13
	v_mul_f32_e32 v13, s34, v13
	v_fma_f32 v1, v23, s14, -v1
	v_fmac_f32_e32 v22, s15, v23
	s_delay_alu instid0(VALU_DEP_4) | instskip(NEXT) | instid1(VALU_DEP_1)
	v_fma_f32 v23, v12, s34, -v24
	v_dual_fmac_f32 v13, s35, v12 :: v_dual_add_f32 v12, v1, v23
	s_delay_alu instid0(VALU_DEP_1)
	v_add_f32_e32 v13, v22, v13
	global_store_b64 v[10:11], v[12:13], off offset:128
	s_branch .LBB113_2
.LBB113_38:
	s_endpgm
	.section	.rodata,"a",@progbits
	.p2align	6, 0x0
	.amdhsa_kernel _ZN12_GLOBAL__N_135rocblas_gemm_batched_general_kernelI19rocblas_complex_numIfELi16ELi16ELi32ELi32ELi8ELi32ELi8ELi8ELi32ELc67ELc84EKS2_S3_S2_EEvlllT_PT11_llS6_llS4_PT12_llPT13_lli
		.amdhsa_group_segment_fixed_size 4096
		.amdhsa_private_segment_fixed_size 0
		.amdhsa_kernarg_size 140
		.amdhsa_user_sgpr_count 2
		.amdhsa_user_sgpr_dispatch_ptr 0
		.amdhsa_user_sgpr_queue_ptr 0
		.amdhsa_user_sgpr_kernarg_segment_ptr 1
		.amdhsa_user_sgpr_dispatch_id 0
		.amdhsa_user_sgpr_private_segment_size 0
		.amdhsa_wavefront_size32 1
		.amdhsa_uses_dynamic_stack 0
		.amdhsa_enable_private_segment 0
		.amdhsa_system_sgpr_workgroup_id_x 1
		.amdhsa_system_sgpr_workgroup_id_y 1
		.amdhsa_system_sgpr_workgroup_id_z 1
		.amdhsa_system_sgpr_workgroup_info 0
		.amdhsa_system_vgpr_workitem_id 1
		.amdhsa_next_free_vgpr 67
		.amdhsa_next_free_sgpr 48
		.amdhsa_reserve_vcc 1
		.amdhsa_float_round_mode_32 0
		.amdhsa_float_round_mode_16_64 0
		.amdhsa_float_denorm_mode_32 3
		.amdhsa_float_denorm_mode_16_64 3
		.amdhsa_fp16_overflow 0
		.amdhsa_workgroup_processor_mode 1
		.amdhsa_memory_ordered 1
		.amdhsa_forward_progress 1
		.amdhsa_inst_pref_size 28
		.amdhsa_round_robin_scheduling 0
		.amdhsa_exception_fp_ieee_invalid_op 0
		.amdhsa_exception_fp_denorm_src 0
		.amdhsa_exception_fp_ieee_div_zero 0
		.amdhsa_exception_fp_ieee_overflow 0
		.amdhsa_exception_fp_ieee_underflow 0
		.amdhsa_exception_fp_ieee_inexact 0
		.amdhsa_exception_int_div_zero 0
	.end_amdhsa_kernel
	.section	.text._ZN12_GLOBAL__N_135rocblas_gemm_batched_general_kernelI19rocblas_complex_numIfELi16ELi16ELi32ELi32ELi8ELi32ELi8ELi8ELi32ELc67ELc84EKS2_S3_S2_EEvlllT_PT11_llS6_llS4_PT12_llPT13_lli,"axG",@progbits,_ZN12_GLOBAL__N_135rocblas_gemm_batched_general_kernelI19rocblas_complex_numIfELi16ELi16ELi32ELi32ELi8ELi32ELi8ELi8ELi32ELc67ELc84EKS2_S3_S2_EEvlllT_PT11_llS6_llS4_PT12_llPT13_lli,comdat
.Lfunc_end113:
	.size	_ZN12_GLOBAL__N_135rocblas_gemm_batched_general_kernelI19rocblas_complex_numIfELi16ELi16ELi32ELi32ELi8ELi32ELi8ELi8ELi32ELc67ELc84EKS2_S3_S2_EEvlllT_PT11_llS6_llS4_PT12_llPT13_lli, .Lfunc_end113-_ZN12_GLOBAL__N_135rocblas_gemm_batched_general_kernelI19rocblas_complex_numIfELi16ELi16ELi32ELi32ELi8ELi32ELi8ELi8ELi32ELc67ELc84EKS2_S3_S2_EEvlllT_PT11_llS6_llS4_PT12_llPT13_lli
                                        ; -- End function
	.set _ZN12_GLOBAL__N_135rocblas_gemm_batched_general_kernelI19rocblas_complex_numIfELi16ELi16ELi32ELi32ELi8ELi32ELi8ELi8ELi32ELc67ELc84EKS2_S3_S2_EEvlllT_PT11_llS6_llS4_PT12_llPT13_lli.num_vgpr, 67
	.set _ZN12_GLOBAL__N_135rocblas_gemm_batched_general_kernelI19rocblas_complex_numIfELi16ELi16ELi32ELi32ELi8ELi32ELi8ELi8ELi32ELc67ELc84EKS2_S3_S2_EEvlllT_PT11_llS6_llS4_PT12_llPT13_lli.num_agpr, 0
	.set _ZN12_GLOBAL__N_135rocblas_gemm_batched_general_kernelI19rocblas_complex_numIfELi16ELi16ELi32ELi32ELi8ELi32ELi8ELi8ELi32ELc67ELc84EKS2_S3_S2_EEvlllT_PT11_llS6_llS4_PT12_llPT13_lli.numbered_sgpr, 48
	.set _ZN12_GLOBAL__N_135rocblas_gemm_batched_general_kernelI19rocblas_complex_numIfELi16ELi16ELi32ELi32ELi8ELi32ELi8ELi8ELi32ELc67ELc84EKS2_S3_S2_EEvlllT_PT11_llS6_llS4_PT12_llPT13_lli.num_named_barrier, 0
	.set _ZN12_GLOBAL__N_135rocblas_gemm_batched_general_kernelI19rocblas_complex_numIfELi16ELi16ELi32ELi32ELi8ELi32ELi8ELi8ELi32ELc67ELc84EKS2_S3_S2_EEvlllT_PT11_llS6_llS4_PT12_llPT13_lli.private_seg_size, 0
	.set _ZN12_GLOBAL__N_135rocblas_gemm_batched_general_kernelI19rocblas_complex_numIfELi16ELi16ELi32ELi32ELi8ELi32ELi8ELi8ELi32ELc67ELc84EKS2_S3_S2_EEvlllT_PT11_llS6_llS4_PT12_llPT13_lli.uses_vcc, 1
	.set _ZN12_GLOBAL__N_135rocblas_gemm_batched_general_kernelI19rocblas_complex_numIfELi16ELi16ELi32ELi32ELi8ELi32ELi8ELi8ELi32ELc67ELc84EKS2_S3_S2_EEvlllT_PT11_llS6_llS4_PT12_llPT13_lli.uses_flat_scratch, 0
	.set _ZN12_GLOBAL__N_135rocblas_gemm_batched_general_kernelI19rocblas_complex_numIfELi16ELi16ELi32ELi32ELi8ELi32ELi8ELi8ELi32ELc67ELc84EKS2_S3_S2_EEvlllT_PT11_llS6_llS4_PT12_llPT13_lli.has_dyn_sized_stack, 0
	.set _ZN12_GLOBAL__N_135rocblas_gemm_batched_general_kernelI19rocblas_complex_numIfELi16ELi16ELi32ELi32ELi8ELi32ELi8ELi8ELi32ELc67ELc84EKS2_S3_S2_EEvlllT_PT11_llS6_llS4_PT12_llPT13_lli.has_recursion, 0
	.set _ZN12_GLOBAL__N_135rocblas_gemm_batched_general_kernelI19rocblas_complex_numIfELi16ELi16ELi32ELi32ELi8ELi32ELi8ELi8ELi32ELc67ELc84EKS2_S3_S2_EEvlllT_PT11_llS6_llS4_PT12_llPT13_lli.has_indirect_call, 0
	.section	.AMDGPU.csdata,"",@progbits
; Kernel info:
; codeLenInByte = 3536
; TotalNumSgprs: 50
; NumVgprs: 67
; ScratchSize: 0
; MemoryBound: 1
; FloatMode: 240
; IeeeMode: 1
; LDSByteSize: 4096 bytes/workgroup (compile time only)
; SGPRBlocks: 0
; VGPRBlocks: 8
; NumSGPRsForWavesPerEU: 50
; NumVGPRsForWavesPerEU: 67
; Occupancy: 16
; WaveLimiterHint : 0
; COMPUTE_PGM_RSRC2:SCRATCH_EN: 0
; COMPUTE_PGM_RSRC2:USER_SGPR: 2
; COMPUTE_PGM_RSRC2:TRAP_HANDLER: 0
; COMPUTE_PGM_RSRC2:TGID_X_EN: 1
; COMPUTE_PGM_RSRC2:TGID_Y_EN: 1
; COMPUTE_PGM_RSRC2:TGID_Z_EN: 1
; COMPUTE_PGM_RSRC2:TIDIG_COMP_CNT: 1
	.section	.text._ZN12_GLOBAL__N_135rocblas_gemm_batched_general_kernelI19rocblas_complex_numIfELi16ELi16ELi32ELi32ELi8ELi32ELi8ELi8ELi32ELc78ELc67EKS2_S3_S2_EEvlllT_PT11_llS6_llS4_PT12_llPT13_lli,"axG",@progbits,_ZN12_GLOBAL__N_135rocblas_gemm_batched_general_kernelI19rocblas_complex_numIfELi16ELi16ELi32ELi32ELi8ELi32ELi8ELi8ELi32ELc78ELc67EKS2_S3_S2_EEvlllT_PT11_llS6_llS4_PT12_llPT13_lli,comdat
	.globl	_ZN12_GLOBAL__N_135rocblas_gemm_batched_general_kernelI19rocblas_complex_numIfELi16ELi16ELi32ELi32ELi8ELi32ELi8ELi8ELi32ELc78ELc67EKS2_S3_S2_EEvlllT_PT11_llS6_llS4_PT12_llPT13_lli ; -- Begin function _ZN12_GLOBAL__N_135rocblas_gemm_batched_general_kernelI19rocblas_complex_numIfELi16ELi16ELi32ELi32ELi8ELi32ELi8ELi8ELi32ELc78ELc67EKS2_S3_S2_EEvlllT_PT11_llS6_llS4_PT12_llPT13_lli
	.p2align	8
	.type	_ZN12_GLOBAL__N_135rocblas_gemm_batched_general_kernelI19rocblas_complex_numIfELi16ELi16ELi32ELi32ELi8ELi32ELi8ELi8ELi32ELc78ELc67EKS2_S3_S2_EEvlllT_PT11_llS6_llS4_PT12_llPT13_lli,@function
_ZN12_GLOBAL__N_135rocblas_gemm_batched_general_kernelI19rocblas_complex_numIfELi16ELi16ELi32ELi32ELi8ELi32ELi8ELi8ELi32ELc78ELc67EKS2_S3_S2_EEvlllT_PT11_llS6_llS4_PT12_llPT13_lli: ; @_ZN12_GLOBAL__N_135rocblas_gemm_batched_general_kernelI19rocblas_complex_numIfELi16ELi16ELi32ELi32ELi8ELi32ELi8ELi8ELi32ELc78ELc67EKS2_S3_S2_EEvlllT_PT11_llS6_llS4_PT12_llPT13_lli
; %bb.0:
	s_load_b32 s33, s[0:1], 0x88
	s_lshr_b32 s6, ttmp7, 16
	s_wait_kmcnt 0x0
	s_cmp_ge_i32 s6, s33
	s_cbranch_scc1 .LBB114_38
; %bb.1:
	v_bfe_u32 v5, v0, 10, 10
	v_and_b32_e32 v8, 0x3ff, v0
	s_clause 0x2
	s_load_b256 s[8:15], s[0:1], 0x0
	s_load_b256 s[24:31], s[0:1], 0x20
	s_load_b128 s[36:39], s[0:1], 0x78
	s_mov_b32 s44, ttmp9
	s_ashr_i32 s45, ttmp9, 31
	s_load_b256 s[16:23], s[0:1], 0x58
	v_lshl_add_u32 v24, v5, 4, v8
	s_clause 0x1
	s_load_b128 s[40:43], s[0:1], 0x40
	s_load_b64 s[34:35], s[0:1], 0x50
	v_and_b32_e32 v15, 7, v0
	s_lshl_b64 s[0:1], s[44:45], 5
	s_and_b32 s5, ttmp7, 0xffff
	v_dual_mov_b32 v2, s1 :: v_dual_and_b32 v3, 31, v24
	v_lshrrev_b32_e32 v0, 3, v24
	v_lshlrev_b32_e32 v6, 3, v15
	s_lshl_b32 s2, s5, 5
	s_delay_alu instid0(VALU_DEP_3)
	v_or_b32_e32 v1, s0, v3
	v_lshlrev_b32_e32 v25, 3, v3
	v_add_co_u32 v3, s3, v0, s2
	v_lshl_or_b32 v6, v0, 6, v6
	s_wait_kmcnt 0x0
	v_cmp_gt_i64_e32 vcc_lo, s[8:9], v[1:2]
	v_add_co_u32 v1, s2, s2, v5
	s_wait_alu 0xf1ff
	v_add_co_ci_u32_e64 v4, null, 0, 0, s3
	v_add_nc_u32_e32 v17, 0x800, v6
	s_delay_alu instid0(VALU_DEP_3) | instskip(NEXT) | instid1(VALU_DEP_3)
	v_mad_co_u64_u32 v[6:7], null, v1, s36, 0
	v_cmp_gt_i64_e64 s4, s[10:11], v[3:4]
	v_lshl_add_u32 v19, v5, 6, 0x800
	v_mad_co_u64_u32 v[4:5], null, v1, s18, 0
	v_mov_b32_e32 v0, 0
	v_mad_co_u64_u32 v[10:11], null, s40, v15, 0
	v_mov_b32_e32 v3, v7
	v_add_co_ci_u32_e64 v2, null, 0, 0, s2
	s_or_b32 s3, s34, s35
	v_lshrrev_b32_e32 v14, 5, v24
	v_mad_co_u64_u32 v[20:21], null, v1, s37, v[3:4]
	v_lshlrev_b32_e32 v18, 3, v8
	v_add_co_u32 v8, s0, s0, v8
	s_wait_alu 0xf1ff
	v_add_co_ci_u32_e64 v9, null, s1, 0, s0
	v_mov_b32_e32 v3, v11
	s_delay_alu instid0(VALU_DEP_3) | instskip(SKIP_1) | instid1(VALU_DEP_3)
	v_add_co_u32 v12, s0, v8, 16
	s_wait_alu 0xf1ff
	v_add_co_ci_u32_e64 v13, null, 0, v9, s0
	s_wait_alu 0xfffe
	s_bitset0_b32 s3, 31
	v_cmp_gt_i64_e64 s0, s[10:11], v[1:2]
	s_wait_alu 0xfffe
	s_cmp_eq_u32 s3, 0
	v_cmp_gt_i64_e64 s2, s[8:9], v[12:13]
	v_mad_co_u64_u32 v[11:12], null, s41, v15, v[3:4]
	v_mad_co_u64_u32 v[12:13], null, v1, s19, v[5:6]
	v_add_co_u32 v1, s3, v1, 16
	s_wait_alu 0xf1ff
	v_add_co_ci_u32_e64 v2, null, 0, v2, s3
	v_mad_co_u64_u32 v[22:23], null, s26, v14, 0
	s_delay_alu instid0(VALU_DEP_4) | instskip(NEXT) | instid1(VALU_DEP_3)
	v_dual_mov_b32 v5, v12 :: v_dual_and_b32 v12, 0x1ff8, v24
	v_cmp_gt_i64_e64 s3, s[10:11], v[1:2]
	v_lshlrev_b64_e32 v[1:2], 3, v[10:11]
	s_cselect_b32 s46, -1, 0
	v_lshlrev_b64_e32 v[3:4], 3, v[4:5]
	v_mov_b32_e32 v5, v23
	s_lshl_b32 s5, s5, 8
	v_mov_b32_e32 v7, v20
	v_add_co_u32 v10, s5, v1, s5
	s_wait_alu 0xf1ff
	v_add_co_ci_u32_e64 v11, null, 0, v2, s5
	v_mad_co_u64_u32 v[1:2], null, s27, v14, v[5:6]
	v_add_co_u32 v20, s5, s16, v3
	s_wait_alu 0xf1ff
	v_add_co_ci_u32_e64 v21, null, s17, v4, s5
	v_add_co_u32 v2, s5, v10, v12
	s_delay_alu instid0(VALU_DEP_4) | instskip(SKIP_2) | instid1(VALU_DEP_3)
	v_mov_b32_e32 v23, v1
	s_wait_alu 0xf1ff
	v_add_co_ci_u32_e64 v3, null, 0, v11, s5
	v_add_co_u32 v1, s5, s30, v2
	s_delay_alu instid0(VALU_DEP_3) | instskip(SKIP_1) | instid1(VALU_DEP_3)
	v_lshlrev_b64_e32 v[4:5], 3, v[22:23]
	s_wait_alu 0xf1ff
	v_add_co_ci_u32_e64 v3, null, s31, v3, s5
	s_delay_alu instid0(VALU_DEP_3)
	v_add_co_u32 v2, s5, v1, 4
	s_lshl_b64 s[10:11], s[44:45], 8
	s_wait_alu 0xf1ff
	v_add_co_ci_u32_e64 v3, null, 0, v3, s5
	s_wait_alu 0xfffe
	v_add_co_u32 v1, s5, v4, s10
	s_wait_alu 0xf1ff
	v_add_co_ci_u32_e64 v4, null, s11, v5, s5
	v_cmp_gt_i64_e64 s1, s[8:9], v[8:9]
	s_delay_alu instid0(VALU_DEP_3) | instskip(SKIP_1) | instid1(VALU_DEP_3)
	v_add_co_u32 v1, s5, v1, v25
	s_wait_alu 0xf1ff
	v_add_co_ci_u32_e64 v5, null, 0, v4, s5
	s_lshl_b64 s[8:9], s[36:37], 4
	v_add_co_u32 v4, s5, s24, v1
	s_lshl_b64 s[36:37], s[18:19], 4
	s_lshl_b64 s[18:19], s[28:29], 3
	v_cmp_gt_i64_e64 s28, s[12:13], 0
	v_lshlrev_b64_e32 v[6:7], 3, v[6:7]
	v_lshlrev_b64_e32 v[8:9], 3, v[8:9]
	v_lshl_or_b32 v16, v14, 8, v25
	v_add_co_ci_u32_e64 v5, null, s25, v5, s5
	s_mov_b32 s7, 0
	s_lshl_b64 s[10:11], s[42:43], 3
	s_lshl_b64 s[16:17], s[40:41], 6
	;; [unrolled: 1-line block ×3, first 2 shown]
	s_xor_b32 s29, vcc_lo, -1
	s_xor_b32 s30, s4, -1
	s_wait_alu 0xfffe
	s_lshl_b64 s[4:5], s[36:37], 3
	s_branch .LBB114_4
.LBB114_2:                              ;   in Loop: Header=BB114_4 Depth=1
	s_wait_alu 0xfffe
	s_or_b32 exec_lo, exec_lo, s31
.LBB114_3:                              ;   in Loop: Header=BB114_4 Depth=1
	s_add_co_i32 s6, s6, 0x10000
	s_wait_alu 0xfffe
	s_cmp_lt_i32 s6, s33
	s_cbranch_scc0 .LBB114_38
.LBB114_4:                              ; =>This Loop Header: Depth=1
                                        ;     Child Loop BB114_7 Depth 2
	v_dual_mov_b32 v28, v0 :: v_dual_mov_b32 v29, v0
	v_dual_mov_b32 v26, v0 :: v_dual_mov_b32 v27, v0
	;; [unrolled: 1-line block ×4, first 2 shown]
	s_and_not1_b32 vcc_lo, exec_lo, s28
	s_wait_alu 0xfffe
	s_cbranch_vccnz .LBB114_15
; %bb.5:                                ;   in Loop: Header=BB114_4 Depth=1
	v_mad_co_u64_u32 v[10:11], null, s10, s6, v[2:3]
	v_mad_co_u64_u32 v[12:13], null, s18, s6, v[4:5]
	v_dual_mov_b32 v23, 0 :: v_dual_mov_b32 v26, 0
	v_mov_b32_e32 v25, 0
	v_mov_b32_e32 v27, 0
	v_dual_mov_b32 v1, v11 :: v_dual_mov_b32 v22, 0
	v_dual_mov_b32 v11, v13 :: v_dual_mov_b32 v24, 0
	s_mov_b64 s[26:27], 0
	s_delay_alu instid0(VALU_DEP_2) | instskip(NEXT) | instid1(VALU_DEP_2)
	v_mad_co_u64_u32 v[28:29], null, s11, s6, v[1:2]
	v_mad_co_u64_u32 v[30:31], null, s19, s6, v[11:12]
	v_mov_b32_e32 v29, 0
	s_delay_alu instid0(VALU_DEP_3) | instskip(NEXT) | instid1(VALU_DEP_3)
	v_dual_mov_b32 v11, v28 :: v_dual_mov_b32 v28, 0
	v_mov_b32_e32 v13, v30
	s_branch .LBB114_7
.LBB114_6:                              ;   in Loop: Header=BB114_7 Depth=2
	s_or_b32 exec_lo, exec_lo, s31
	ds_store_b32 v17, v1 offset:4
	s_wait_dscnt 0x0
	s_barrier_signal -1
	s_barrier_wait -1
	global_inv scope:SCOPE_SE
	ds_load_b128 v[30:33], v19
	ds_load_2addr_b64 v[34:37], v18 offset1:16
	ds_load_b128 v[38:41], v19 offset:1024
	ds_load_b128 v[42:45], v19 offset:16
	;; [unrolled: 1-line block ×4, first 2 shown]
	ds_load_2addr_b64 v[54:57], v18 offset0:32 offset1:48
	ds_load_b128 v[58:61], v19 offset:1040
	s_add_nc_u64 s[26:27], s[26:27], 8
	v_add_co_u32 v10, vcc_lo, v10, s16
	s_wait_alu 0xfffe
	v_cmp_lt_i64_e64 s31, s[26:27], s[12:13]
	s_wait_alu 0xfffd
	v_add_co_ci_u32_e64 v11, null, s17, v11, vcc_lo
	v_add_co_u32 v12, vcc_lo, v12, s24
	s_wait_alu 0xfffd
	v_add_co_ci_u32_e64 v13, null, s25, v13, vcc_lo
	s_and_b32 vcc_lo, exec_lo, s31
	s_wait_dscnt 0x6
	v_dual_mul_f32 v1, v31, v35 :: v_dual_mul_f32 v64, v30, v37
	v_dual_mul_f32 v62, v30, v35 :: v_dual_mul_f32 v63, v31, v37
	s_wait_dscnt 0x5
	v_mul_f32_e32 v66, v39, v37
	s_delay_alu instid0(VALU_DEP_3) | instskip(SKIP_3) | instid1(VALU_DEP_4)
	v_fma_f32 v1, v30, v34, -v1
	v_dual_mul_f32 v37, v38, v37 :: v_dual_fmac_f32 v64, v31, v36
	v_fmac_f32_e32 v62, v31, v34
	v_fma_f32 v30, v30, v36, -v63
	v_add_f32_e32 v1, v28, v1
	v_mul_f32_e32 v65, v39, v35
	s_delay_alu instid0(VALU_DEP_4) | instskip(NEXT) | instid1(VALU_DEP_4)
	v_dual_mul_f32 v35, v38, v35 :: v_dual_add_f32 v28, v29, v62
	v_add_f32_e32 v29, v26, v30
	v_fma_f32 v26, v38, v36, -v66
	s_delay_alu instid0(VALU_DEP_4) | instskip(NEXT) | instid1(VALU_DEP_4)
	v_fma_f32 v31, v38, v34, -v65
	v_fmac_f32_e32 v35, v39, v34
	s_wait_dscnt 0x1
	v_dual_add_f32 v27, v27, v64 :: v_dual_mul_f32 v34, v33, v55
	v_dual_fmac_f32 v37, v39, v36 :: v_dual_mul_f32 v38, v33, v57
	v_add_f32_e32 v30, v24, v31
	v_add_f32_e32 v31, v25, v35
	v_dual_add_f32 v35, v23, v26 :: v_dual_mul_f32 v36, v32, v55
	ds_load_2addr_b64 v[23:26], v18 offset0:64 offset1:80
	v_fma_f32 v34, v32, v54, -v34
	v_add_f32_e32 v22, v22, v37
	v_dual_mul_f32 v37, v32, v57 :: v_dual_fmac_f32 v36, v33, v54
	v_fma_f32 v32, v32, v56, -v38
	s_delay_alu instid0(VALU_DEP_4) | instskip(SKIP_1) | instid1(VALU_DEP_4)
	v_add_f32_e32 v1, v1, v34
	v_mul_f32_e32 v34, v41, v55
	v_fmac_f32_e32 v37, v33, v56
	v_add_f32_e32 v36, v28, v36
	v_mul_f32_e32 v28, v40, v55
	v_add_f32_e32 v32, v29, v32
	v_fma_f32 v29, v40, v54, -v34
	v_mul_f32_e32 v33, v41, v57
	v_add_f32_e32 v34, v27, v37
	v_dual_mul_f32 v37, v40, v57 :: v_dual_fmac_f32 v28, v41, v54
	s_delay_alu instid0(VALU_DEP_4) | instskip(NEXT) | instid1(VALU_DEP_4)
	v_add_f32_e32 v38, v30, v29
	v_fma_f32 v27, v40, v56, -v33
	s_wait_dscnt 0x0
	v_mul_f32_e32 v29, v43, v24
	v_fmac_f32_e32 v37, v41, v56
	v_add_f32_e32 v31, v31, v28
	v_add_f32_e32 v35, v35, v27
	v_mul_f32_e32 v40, v43, v26
	v_fma_f32 v39, v42, v23, -v29
	ds_load_2addr_b64 v[27:30], v18 offset0:96 offset1:112
	v_add_f32_e32 v37, v22, v37
	v_mul_f32_e32 v22, v42, v26
	v_mul_f32_e32 v33, v42, v24
	v_add_f32_e32 v1, v1, v39
	v_fma_f32 v39, v42, v25, -v40
	s_delay_alu instid0(VALU_DEP_4) | instskip(NEXT) | instid1(VALU_DEP_4)
	v_fmac_f32_e32 v22, v43, v25
	v_fmac_f32_e32 v33, v43, v23
	s_delay_alu instid0(VALU_DEP_3) | instskip(NEXT) | instid1(VALU_DEP_2)
	v_dual_add_f32 v32, v32, v39 :: v_dual_mul_f32 v39, v59, v26
	v_dual_mul_f32 v26, v58, v26 :: v_dual_add_f32 v33, v36, v33
	v_mul_f32_e32 v36, v59, v24
	v_mul_f32_e32 v24, v58, v24
	v_add_f32_e32 v40, v34, v22
	v_fma_f32 v22, v58, v25, -v39
	s_delay_alu instid0(VALU_DEP_4) | instskip(SKIP_2) | instid1(VALU_DEP_3)
	v_fma_f32 v36, v58, v23, -v36
	s_wait_dscnt 0x0
	v_dual_fmac_f32 v24, v59, v23 :: v_dual_mul_f32 v39, v45, v30
	v_add_f32_e32 v35, v35, v22
	s_delay_alu instid0(VALU_DEP_3) | instskip(NEXT) | instid1(VALU_DEP_3)
	v_dual_mul_f32 v43, v61, v30 :: v_dual_add_f32 v36, v38, v36
	v_add_f32_e32 v38, v31, v24
	v_mul_f32_e32 v31, v45, v28
	v_fma_f32 v39, v44, v29, -v39
	s_delay_alu instid0(VALU_DEP_2)
	v_fma_f32 v31, v44, v27, -v31
	v_fmac_f32_e32 v26, v59, v25
	ds_load_2addr_b64 v[22:25], v18 offset0:128 offset1:144
	v_add_f32_e32 v39, v32, v39
	v_dual_add_f32 v1, v1, v31 :: v_dual_mul_f32 v34, v44, v28
	v_add_f32_e32 v37, v37, v26
	v_dual_mul_f32 v26, v44, v30 :: v_dual_mul_f32 v31, v61, v28
	v_mul_f32_e32 v28, v60, v28
	v_mul_f32_e32 v30, v60, v30
	s_delay_alu instid0(VALU_DEP_3) | instskip(NEXT) | instid1(VALU_DEP_4)
	v_fmac_f32_e32 v26, v45, v29
	v_fma_f32 v42, v60, v27, -v31
	s_delay_alu instid0(VALU_DEP_4) | instskip(SKIP_1) | instid1(VALU_DEP_4)
	v_fmac_f32_e32 v28, v61, v27
	v_fmac_f32_e32 v34, v45, v27
	v_add_f32_e32 v40, v40, v26
	v_fma_f32 v26, v60, v29, -v43
	s_wait_dscnt 0x0
	v_mul_f32_e32 v45, v46, v23
	v_dual_mul_f32 v27, v47, v23 :: v_dual_mul_f32 v54, v46, v25
	s_delay_alu instid0(VALU_DEP_2)
	v_fmac_f32_e32 v45, v47, v22
	v_add_f32_e32 v43, v38, v28
	v_add_f32_e32 v41, v33, v34
	ds_load_b128 v[31:34], v19 offset:1056
	v_fmac_f32_e32 v30, v61, v29
	v_add_f32_e32 v44, v35, v26
	v_fma_f32 v35, v46, v22, -v27
	v_add_f32_e32 v42, v36, v42
	ds_load_2addr_b64 v[26:29], v18 offset0:160 offset1:176
	v_mul_f32_e32 v36, v47, v25
	v_add_f32_e32 v30, v37, v30
	v_add_f32_e32 v1, v1, v35
	;; [unrolled: 1-line block ×3, first 2 shown]
	s_delay_alu instid0(VALU_DEP_4)
	v_fma_f32 v46, v46, v24, -v36
	ds_load_b128 v[35:38], v19 offset:1072
	v_add_f32_e32 v39, v39, v46
	s_wait_dscnt 0x2
	v_mul_f32_e32 v55, v32, v23
	v_mul_f32_e32 v23, v31, v23
	v_fmac_f32_e32 v54, v47, v24
	v_mul_f32_e32 v46, v32, v25
	v_mul_f32_e32 v47, v31, v25
	v_fma_f32 v45, v31, v22, -v55
	v_fmac_f32_e32 v23, v32, v22
	s_wait_dscnt 0x1
	v_dual_add_f32 v40, v40, v54 :: v_dual_mul_f32 v25, v49, v27
	v_fma_f32 v22, v31, v24, -v46
	v_fmac_f32_e32 v47, v32, v24
	v_mul_f32_e32 v32, v48, v27
	v_dual_add_f32 v42, v42, v45 :: v_dual_add_f32 v31, v43, v23
	v_mul_f32_e32 v45, v49, v29
	s_delay_alu instid0(VALU_DEP_3)
	v_fmac_f32_e32 v32, v49, v26
	v_dual_add_f32 v43, v44, v22 :: v_dual_add_f32 v46, v30, v47
	v_fma_f32 v44, v48, v26, -v25
	ds_load_2addr_b64 v[22:25], v18 offset0:192 offset1:208
	v_dual_mul_f32 v30, v48, v29 :: v_dual_add_f32 v41, v41, v32
	v_dual_mul_f32 v32, v34, v27 :: v_dual_add_f32 v1, v1, v44
	v_fma_f32 v44, v48, v28, -v45
	v_mul_f32_e32 v27, v33, v27
	s_delay_alu instid0(VALU_DEP_3) | instskip(NEXT) | instid1(VALU_DEP_3)
	v_fma_f32 v32, v33, v26, -v32
	v_dual_add_f32 v39, v39, v44 :: v_dual_mul_f32 v44, v34, v29
	s_delay_alu instid0(VALU_DEP_3) | instskip(NEXT) | instid1(VALU_DEP_1)
	v_dual_fmac_f32 v30, v49, v28 :: v_dual_fmac_f32 v27, v34, v26
	v_dual_mul_f32 v29, v33, v29 :: v_dual_add_f32 v26, v40, v30
	s_delay_alu instid0(VALU_DEP_3) | instskip(NEXT) | instid1(VALU_DEP_3)
	v_fma_f32 v30, v33, v28, -v44
	v_dual_add_f32 v40, v42, v32 :: v_dual_add_f32 v27, v31, v27
	s_wait_dscnt 0x0
	v_mul_f32_e32 v44, v50, v25
	v_dual_mul_f32 v42, v51, v23 :: v_dual_fmac_f32 v29, v34, v28
	v_add_f32_e32 v28, v43, v30
	ds_load_2addr_b64 v[30:33], v18 offset0:224 offset1:240
	v_dual_mul_f32 v34, v50, v23 :: v_dual_mul_f32 v43, v51, v25
	v_fma_f32 v42, v50, v22, -v42
	v_dual_fmac_f32 v44, v51, v24 :: v_dual_add_f32 v29, v46, v29
	s_delay_alu instid0(VALU_DEP_3) | instskip(NEXT) | instid1(VALU_DEP_4)
	v_fmac_f32_e32 v34, v51, v22
	v_fma_f32 v43, v50, v24, -v43
	s_delay_alu instid0(VALU_DEP_4) | instskip(SKIP_2) | instid1(VALU_DEP_3)
	v_dual_add_f32 v1, v1, v42 :: v_dual_mul_f32 v42, v36, v23
	v_mul_f32_e32 v23, v35, v23
	s_wait_loadcnt_dscnt 0x0
	v_add_f32_e32 v39, v39, v43
	v_dual_add_f32 v43, v26, v44 :: v_dual_add_f32 v34, v41, v34
	v_fma_f32 v41, v35, v22, -v42
	v_mul_f32_e32 v42, v36, v25
	v_fmac_f32_e32 v23, v36, v22
	v_mul_f32_e32 v25, v35, v25
	s_barrier_signal -1
	v_add_f32_e32 v22, v40, v41
	v_fma_f32 v26, v35, v24, -v42
	v_mul_f32_e32 v35, v53, v31
	v_mul_f32_e32 v40, v52, v31
	v_add_f32_e32 v23, v27, v23
	v_fmac_f32_e32 v25, v36, v24
	v_add_f32_e32 v36, v28, v26
	v_fma_f32 v24, v52, v30, -v35
	v_fmac_f32_e32 v40, v53, v30
	v_mul_f32_e32 v26, v53, v33
	v_mul_f32_e32 v27, v52, v33
	v_add_f32_e32 v35, v29, v25
	v_add_f32_e32 v28, v1, v24
	v_add_f32_e32 v29, v34, v40
	v_fma_f32 v1, v52, v32, -v26
	v_dual_mul_f32 v24, v38, v31 :: v_dual_fmac_f32 v27, v53, v32
	s_barrier_wait -1
	global_inv scope:SCOPE_SE
	v_add_f32_e32 v26, v39, v1
	v_fma_f32 v1, v37, v30, -v24
	v_mul_f32_e32 v25, v37, v31
	v_mul_f32_e32 v31, v38, v33
	;; [unrolled: 1-line block ×3, first 2 shown]
	s_delay_alu instid0(VALU_DEP_4) | instskip(NEXT) | instid1(VALU_DEP_2)
	v_dual_add_f32 v27, v43, v27 :: v_dual_add_f32 v24, v22, v1
	v_fmac_f32_e32 v33, v38, v32
	v_fmac_f32_e32 v25, v38, v30
	v_fma_f32 v30, v37, v32, -v31
	s_delay_alu instid0(VALU_DEP_3) | instskip(NEXT) | instid1(VALU_DEP_3)
	v_add_f32_e32 v22, v35, v33
	v_add_f32_e32 v25, v23, v25
	s_delay_alu instid0(VALU_DEP_3)
	v_add_f32_e32 v23, v36, v30
	s_wait_alu 0xfffe
	s_cbranch_vccz .LBB114_15
.LBB114_7:                              ;   Parent Loop BB114_4 Depth=1
                                        ; =>  This Inner Loop Header: Depth=2
	s_wait_alu 0xfffe
	v_add_co_u32 v30, s31, v14, s26
	s_wait_alu 0xf1ff
	v_add_co_ci_u32_e64 v31, null, 0, s27, s31
	s_delay_alu instid0(VALU_DEP_1)
	v_cmp_le_i64_e32 vcc_lo, s[12:13], v[30:31]
	s_or_b32 s31, s29, vcc_lo
	s_wait_alu 0xfffe
	s_and_saveexec_b32 s36, s31
	s_wait_alu 0xfffe
	s_xor_b32 s31, exec_lo, s36
; %bb.8:                                ;   in Loop: Header=BB114_7 Depth=2
	v_mov_b32_e32 v1, v0
	ds_store_b64 v16, v[0:1]
; %bb.9:                                ;   in Loop: Header=BB114_7 Depth=2
	s_wait_alu 0xfffe
	s_and_not1_saveexec_b32 s31, s31
	s_cbranch_execz .LBB114_11
; %bb.10:                               ;   in Loop: Header=BB114_7 Depth=2
	global_load_b64 v[30:31], v[12:13], off
	s_wait_loadcnt 0x0
	ds_store_b64 v16, v[30:31]
.LBB114_11:                             ;   in Loop: Header=BB114_7 Depth=2
	s_wait_alu 0xfffe
	s_or_b32 exec_lo, exec_lo, s31
	v_add_co_u32 v30, s31, v15, s26
	s_wait_alu 0xf1ff
	v_add_co_ci_u32_e64 v31, null, 0, s27, s31
	s_delay_alu instid0(VALU_DEP_1)
	v_cmp_le_i64_e32 vcc_lo, s[12:13], v[30:31]
	s_or_b32 s31, vcc_lo, s30
	s_wait_alu 0xfffe
	s_and_saveexec_b32 s36, s31
	s_wait_alu 0xfffe
	s_xor_b32 s31, exec_lo, s36
; %bb.12:                               ;   in Loop: Header=BB114_7 Depth=2
	ds_store_b32 v17, v0
; %bb.13:                               ;   in Loop: Header=BB114_7 Depth=2
	s_wait_alu 0xfffe
	s_or_saveexec_b32 s31, s31
	v_mov_b32_e32 v1, 0
	s_wait_alu 0xfffe
	s_xor_b32 exec_lo, exec_lo, s31
	s_cbranch_execz .LBB114_6
; %bb.14:                               ;   in Loop: Header=BB114_7 Depth=2
	global_load_b64 v[30:31], v[10:11], off offset:-4
	s_wait_loadcnt 0x0
	v_xor_b32_e32 v1, 0x80000000, v31
	ds_store_b32 v17, v30
	s_branch .LBB114_6
.LBB114_15:                             ;   in Loop: Header=BB114_4 Depth=1
	s_mul_u64 s[26:27], s[38:39], s[6:7]
	s_and_not1_b32 vcc_lo, exec_lo, s46
	s_wait_alu 0xfffe
	s_lshl_b64 s[26:27], s[26:27], 3
	s_mov_b32 s31, -1
	s_wait_alu 0xfffe
	s_add_nc_u64 s[26:27], s[22:23], s[26:27]
	s_cbranch_vccz .LBB114_17
; %bb.16:                               ;   in Loop: Header=BB114_4 Depth=1
	s_and_not1_b32 vcc_lo, exec_lo, s31
	s_wait_alu 0xfffe
	s_cbranch_vccnz .LBB114_3
	s_branch .LBB114_28
.LBB114_17:                             ;   in Loop: Header=BB114_4 Depth=1
	s_and_saveexec_b32 s31, s0
	s_cbranch_execz .LBB114_27
; %bb.18:                               ;   in Loop: Header=BB114_4 Depth=1
	s_wait_alu 0xfffe
	v_add_co_u32 v1, vcc_lo, s26, v6
	s_wait_alu 0xfffd
	v_add_co_ci_u32_e64 v10, null, s27, v7, vcc_lo
	s_and_saveexec_b32 s36, s1
	s_cbranch_execnz .LBB114_21
; %bb.19:                               ;   in Loop: Header=BB114_4 Depth=1
	s_wait_alu 0xfffe
	s_or_b32 exec_lo, exec_lo, s36
	s_and_saveexec_b32 s36, s2
	s_cbranch_execnz .LBB114_22
.LBB114_20:                             ;   in Loop: Header=BB114_4 Depth=1
	s_wait_alu 0xfffe
	s_or_b32 exec_lo, exec_lo, s36
	s_delay_alu instid0(SALU_CYCLE_1)
	s_and_b32 exec_lo, exec_lo, s3
	s_cbranch_execnz .LBB114_23
	s_branch .LBB114_27
.LBB114_21:                             ;   in Loop: Header=BB114_4 Depth=1
	v_mul_f32_e32 v12, s14, v29
	v_mul_f32_e32 v11, s15, v29
	v_add_co_u32 v30, vcc_lo, v1, v8
	s_wait_alu 0xfffd
	v_add_co_ci_u32_e64 v31, null, v10, v9, vcc_lo
	v_fmac_f32_e32 v12, s15, v28
	v_fma_f32 v11, v28, s14, -v11
	global_store_b64 v[30:31], v[11:12], off
	s_wait_alu 0xfffe
	s_or_b32 exec_lo, exec_lo, s36
	s_and_saveexec_b32 s36, s2
	s_cbranch_execz .LBB114_20
.LBB114_22:                             ;   in Loop: Header=BB114_4 Depth=1
	v_mul_f32_e32 v12, s14, v27
	v_mul_f32_e32 v11, s15, v27
	v_add_co_u32 v30, vcc_lo, v1, v8
	s_wait_alu 0xfffd
	v_add_co_ci_u32_e64 v31, null, v10, v9, vcc_lo
	v_fmac_f32_e32 v12, s15, v26
	v_fma_f32 v11, v26, s14, -v11
	global_store_b64 v[30:31], v[11:12], off offset:128
	s_wait_alu 0xfffe
	s_or_b32 exec_lo, exec_lo, s36
	s_delay_alu instid0(SALU_CYCLE_1)
	s_and_b32 exec_lo, exec_lo, s3
	s_cbranch_execz .LBB114_27
.LBB114_23:                             ;   in Loop: Header=BB114_4 Depth=1
	s_lshl_b64 s[36:37], s[8:9], 3
	s_wait_alu 0xfffe
	v_add_co_u32 v1, vcc_lo, v1, s36
	s_wait_alu 0xfffd
	v_add_co_ci_u32_e64 v11, null, s37, v10, vcc_lo
	s_delay_alu instid0(VALU_DEP_2) | instskip(SKIP_1) | instid1(VALU_DEP_2)
	v_add_co_u32 v10, vcc_lo, v1, v8
	s_wait_alu 0xfffd
	v_add_co_ci_u32_e64 v11, null, v11, v9, vcc_lo
	s_and_saveexec_b32 s36, s1
	s_cbranch_execz .LBB114_25
; %bb.24:                               ;   in Loop: Header=BB114_4 Depth=1
	v_mul_f32_e32 v1, s15, v25
	v_mul_f32_e32 v13, s14, v25
	s_delay_alu instid0(VALU_DEP_2) | instskip(NEXT) | instid1(VALU_DEP_2)
	v_fma_f32 v12, v24, s14, -v1
	v_fmac_f32_e32 v13, s15, v24
	global_store_b64 v[10:11], v[12:13], off
.LBB114_25:                             ;   in Loop: Header=BB114_4 Depth=1
	s_wait_alu 0xfffe
	s_or_b32 exec_lo, exec_lo, s36
	s_delay_alu instid0(SALU_CYCLE_1)
	s_and_b32 exec_lo, exec_lo, s2
	s_cbranch_execz .LBB114_27
; %bb.26:                               ;   in Loop: Header=BB114_4 Depth=1
	v_mul_f32_e32 v1, s15, v22
	v_mul_f32_e32 v13, s14, v22
	s_delay_alu instid0(VALU_DEP_2) | instskip(NEXT) | instid1(VALU_DEP_2)
	v_fma_f32 v12, v23, s14, -v1
	v_fmac_f32_e32 v13, s15, v23
	global_store_b64 v[10:11], v[12:13], off offset:128
.LBB114_27:                             ;   in Loop: Header=BB114_4 Depth=1
	s_wait_alu 0xfffe
	s_or_b32 exec_lo, exec_lo, s31
	s_cbranch_execnz .LBB114_3
.LBB114_28:                             ;   in Loop: Header=BB114_4 Depth=1
	s_and_saveexec_b32 s31, s0
	s_cbranch_execz .LBB114_2
; %bb.29:                               ;   in Loop: Header=BB114_4 Depth=1
	s_mul_u64 s[36:37], s[20:21], s[6:7]
	s_wait_alu 0xfffe
	s_lshl_b64 s[36:37], s[36:37], 3
	s_wait_alu 0xfffe
	v_add_co_u32 v11, vcc_lo, v20, s36
	s_wait_alu 0xfffd
	v_add_co_ci_u32_e64 v12, null, s37, v21, vcc_lo
	v_add_co_u32 v1, vcc_lo, s26, v6
	s_wait_alu 0xfffd
	v_add_co_ci_u32_e64 v10, null, s27, v7, vcc_lo
	s_and_saveexec_b32 s26, s1
	s_cbranch_execnz .LBB114_32
; %bb.30:                               ;   in Loop: Header=BB114_4 Depth=1
	s_wait_alu 0xfffe
	s_or_b32 exec_lo, exec_lo, s26
	s_and_saveexec_b32 s26, s2
	s_cbranch_execnz .LBB114_33
.LBB114_31:                             ;   in Loop: Header=BB114_4 Depth=1
	s_wait_alu 0xfffe
	s_or_b32 exec_lo, exec_lo, s26
	s_delay_alu instid0(SALU_CYCLE_1)
	s_and_b32 exec_lo, exec_lo, s3
	s_cbranch_execz .LBB114_2
	s_branch .LBB114_34
.LBB114_32:                             ;   in Loop: Header=BB114_4 Depth=1
	v_add_co_u32 v30, vcc_lo, v11, v8
	s_wait_alu 0xfffd
	v_add_co_ci_u32_e64 v31, null, v12, v9, vcc_lo
	global_load_b64 v[30:31], v[30:31], off
	s_wait_loadcnt 0x0
	v_dual_mul_f32 v13, s15, v29 :: v_dual_mul_f32 v32, s35, v31
	v_mul_f32_e32 v31, s34, v31
	s_delay_alu instid0(VALU_DEP_2) | instskip(SKIP_1) | instid1(VALU_DEP_3)
	v_fma_f32 v13, v28, s14, -v13
	v_mul_f32_e32 v29, s14, v29
	v_fmac_f32_e32 v31, s35, v30
	s_delay_alu instid0(VALU_DEP_2) | instskip(SKIP_2) | instid1(VALU_DEP_3)
	v_fmac_f32_e32 v29, s15, v28
	v_fma_f32 v28, v30, s34, -v32
	v_add_co_u32 v30, vcc_lo, v1, v8
	v_add_f32_e32 v29, v29, v31
	s_delay_alu instid0(VALU_DEP_3)
	v_add_f32_e32 v28, v13, v28
	s_wait_alu 0xfffd
	v_add_co_ci_u32_e64 v31, null, v10, v9, vcc_lo
	global_store_b64 v[30:31], v[28:29], off
	s_wait_alu 0xfffe
	s_or_b32 exec_lo, exec_lo, s26
	s_and_saveexec_b32 s26, s2
	s_cbranch_execz .LBB114_31
.LBB114_33:                             ;   in Loop: Header=BB114_4 Depth=1
	v_add_co_u32 v28, vcc_lo, v11, v8
	s_wait_alu 0xfffd
	v_add_co_ci_u32_e64 v29, null, v12, v9, vcc_lo
	global_load_b64 v[28:29], v[28:29], off offset:128
	s_wait_loadcnt 0x0
	v_dual_mul_f32 v13, s15, v27 :: v_dual_mul_f32 v30, s35, v29
	v_mul_f32_e32 v29, s34, v29
	s_delay_alu instid0(VALU_DEP_2) | instskip(SKIP_1) | instid1(VALU_DEP_3)
	v_fma_f32 v13, v26, s14, -v13
	v_mul_f32_e32 v27, s14, v27
	v_fmac_f32_e32 v29, s35, v28
	s_delay_alu instid0(VALU_DEP_2) | instskip(SKIP_2) | instid1(VALU_DEP_2)
	v_fmac_f32_e32 v27, s15, v26
	v_fma_f32 v26, v28, s34, -v30
	v_add_co_u32 v28, vcc_lo, v1, v8
	v_dual_add_f32 v27, v27, v29 :: v_dual_add_f32 v26, v13, v26
	s_wait_alu 0xfffd
	v_add_co_ci_u32_e64 v29, null, v10, v9, vcc_lo
	global_store_b64 v[28:29], v[26:27], off offset:128
	s_wait_alu 0xfffe
	s_or_b32 exec_lo, exec_lo, s26
	s_delay_alu instid0(SALU_CYCLE_1)
	s_and_b32 exec_lo, exec_lo, s3
	s_cbranch_execz .LBB114_2
.LBB114_34:                             ;   in Loop: Header=BB114_4 Depth=1
	v_add_co_u32 v11, vcc_lo, v11, s4
	s_lshl_b64 s[26:27], s[8:9], 3
	s_wait_alu 0xfffd
	v_add_co_ci_u32_e64 v13, null, s5, v12, vcc_lo
	s_wait_alu 0xfffe
	v_add_co_u32 v1, vcc_lo, v1, s26
	s_wait_alu 0xfffd
	v_add_co_ci_u32_e64 v26, null, s27, v10, vcc_lo
	v_add_co_u32 v12, vcc_lo, v11, v8
	s_wait_alu 0xfffd
	v_add_co_ci_u32_e64 v13, null, v13, v9, vcc_lo
	;; [unrolled: 3-line block ×3, first 2 shown]
	s_and_saveexec_b32 s26, s1
	s_cbranch_execz .LBB114_36
; %bb.35:                               ;   in Loop: Header=BB114_4 Depth=1
	global_load_b64 v[26:27], v[12:13], off
	s_wait_loadcnt 0x0
	v_dual_mul_f32 v1, s15, v25 :: v_dual_mul_f32 v28, s35, v27
	v_mul_f32_e32 v27, s34, v27
	s_delay_alu instid0(VALU_DEP_2) | instskip(SKIP_1) | instid1(VALU_DEP_3)
	v_fma_f32 v1, v24, s14, -v1
	v_mul_f32_e32 v25, s14, v25
	v_fmac_f32_e32 v27, s35, v26
	s_delay_alu instid0(VALU_DEP_2) | instskip(SKIP_1) | instid1(VALU_DEP_2)
	v_fmac_f32_e32 v25, s15, v24
	v_fma_f32 v24, v26, s34, -v28
	v_add_f32_e32 v25, v25, v27
	s_delay_alu instid0(VALU_DEP_2)
	v_add_f32_e32 v24, v1, v24
	global_store_b64 v[10:11], v[24:25], off
.LBB114_36:                             ;   in Loop: Header=BB114_4 Depth=1
	s_wait_alu 0xfffe
	s_or_b32 exec_lo, exec_lo, s26
	s_delay_alu instid0(SALU_CYCLE_1)
	s_and_b32 exec_lo, exec_lo, s2
	s_cbranch_execz .LBB114_2
; %bb.37:                               ;   in Loop: Header=BB114_4 Depth=1
	global_load_b64 v[12:13], v[12:13], off offset:128
	v_mul_f32_e32 v1, s15, v22
	v_mul_f32_e32 v22, s14, v22
	s_wait_loadcnt 0x0
	v_mul_f32_e32 v24, s35, v13
	v_mul_f32_e32 v13, s34, v13
	v_fma_f32 v1, v23, s14, -v1
	v_fmac_f32_e32 v22, s15, v23
	s_delay_alu instid0(VALU_DEP_4) | instskip(NEXT) | instid1(VALU_DEP_1)
	v_fma_f32 v23, v12, s34, -v24
	v_dual_fmac_f32 v13, s35, v12 :: v_dual_add_f32 v12, v1, v23
	s_delay_alu instid0(VALU_DEP_1)
	v_add_f32_e32 v13, v22, v13
	global_store_b64 v[10:11], v[12:13], off offset:128
	s_branch .LBB114_2
.LBB114_38:
	s_endpgm
	.section	.rodata,"a",@progbits
	.p2align	6, 0x0
	.amdhsa_kernel _ZN12_GLOBAL__N_135rocblas_gemm_batched_general_kernelI19rocblas_complex_numIfELi16ELi16ELi32ELi32ELi8ELi32ELi8ELi8ELi32ELc78ELc67EKS2_S3_S2_EEvlllT_PT11_llS6_llS4_PT12_llPT13_lli
		.amdhsa_group_segment_fixed_size 4096
		.amdhsa_private_segment_fixed_size 0
		.amdhsa_kernarg_size 140
		.amdhsa_user_sgpr_count 2
		.amdhsa_user_sgpr_dispatch_ptr 0
		.amdhsa_user_sgpr_queue_ptr 0
		.amdhsa_user_sgpr_kernarg_segment_ptr 1
		.amdhsa_user_sgpr_dispatch_id 0
		.amdhsa_user_sgpr_private_segment_size 0
		.amdhsa_wavefront_size32 1
		.amdhsa_uses_dynamic_stack 0
		.amdhsa_enable_private_segment 0
		.amdhsa_system_sgpr_workgroup_id_x 1
		.amdhsa_system_sgpr_workgroup_id_y 1
		.amdhsa_system_sgpr_workgroup_id_z 1
		.amdhsa_system_sgpr_workgroup_info 0
		.amdhsa_system_vgpr_workitem_id 1
		.amdhsa_next_free_vgpr 67
		.amdhsa_next_free_sgpr 47
		.amdhsa_reserve_vcc 1
		.amdhsa_float_round_mode_32 0
		.amdhsa_float_round_mode_16_64 0
		.amdhsa_float_denorm_mode_32 3
		.amdhsa_float_denorm_mode_16_64 3
		.amdhsa_fp16_overflow 0
		.amdhsa_workgroup_processor_mode 1
		.amdhsa_memory_ordered 1
		.amdhsa_forward_progress 1
		.amdhsa_inst_pref_size 28
		.amdhsa_round_robin_scheduling 0
		.amdhsa_exception_fp_ieee_invalid_op 0
		.amdhsa_exception_fp_denorm_src 0
		.amdhsa_exception_fp_ieee_div_zero 0
		.amdhsa_exception_fp_ieee_overflow 0
		.amdhsa_exception_fp_ieee_underflow 0
		.amdhsa_exception_fp_ieee_inexact 0
		.amdhsa_exception_int_div_zero 0
	.end_amdhsa_kernel
	.section	.text._ZN12_GLOBAL__N_135rocblas_gemm_batched_general_kernelI19rocblas_complex_numIfELi16ELi16ELi32ELi32ELi8ELi32ELi8ELi8ELi32ELc78ELc67EKS2_S3_S2_EEvlllT_PT11_llS6_llS4_PT12_llPT13_lli,"axG",@progbits,_ZN12_GLOBAL__N_135rocblas_gemm_batched_general_kernelI19rocblas_complex_numIfELi16ELi16ELi32ELi32ELi8ELi32ELi8ELi8ELi32ELc78ELc67EKS2_S3_S2_EEvlllT_PT11_llS6_llS4_PT12_llPT13_lli,comdat
.Lfunc_end114:
	.size	_ZN12_GLOBAL__N_135rocblas_gemm_batched_general_kernelI19rocblas_complex_numIfELi16ELi16ELi32ELi32ELi8ELi32ELi8ELi8ELi32ELc78ELc67EKS2_S3_S2_EEvlllT_PT11_llS6_llS4_PT12_llPT13_lli, .Lfunc_end114-_ZN12_GLOBAL__N_135rocblas_gemm_batched_general_kernelI19rocblas_complex_numIfELi16ELi16ELi32ELi32ELi8ELi32ELi8ELi8ELi32ELc78ELc67EKS2_S3_S2_EEvlllT_PT11_llS6_llS4_PT12_llPT13_lli
                                        ; -- End function
	.set _ZN12_GLOBAL__N_135rocblas_gemm_batched_general_kernelI19rocblas_complex_numIfELi16ELi16ELi32ELi32ELi8ELi32ELi8ELi8ELi32ELc78ELc67EKS2_S3_S2_EEvlllT_PT11_llS6_llS4_PT12_llPT13_lli.num_vgpr, 67
	.set _ZN12_GLOBAL__N_135rocblas_gemm_batched_general_kernelI19rocblas_complex_numIfELi16ELi16ELi32ELi32ELi8ELi32ELi8ELi8ELi32ELc78ELc67EKS2_S3_S2_EEvlllT_PT11_llS6_llS4_PT12_llPT13_lli.num_agpr, 0
	.set _ZN12_GLOBAL__N_135rocblas_gemm_batched_general_kernelI19rocblas_complex_numIfELi16ELi16ELi32ELi32ELi8ELi32ELi8ELi8ELi32ELc78ELc67EKS2_S3_S2_EEvlllT_PT11_llS6_llS4_PT12_llPT13_lli.numbered_sgpr, 47
	.set _ZN12_GLOBAL__N_135rocblas_gemm_batched_general_kernelI19rocblas_complex_numIfELi16ELi16ELi32ELi32ELi8ELi32ELi8ELi8ELi32ELc78ELc67EKS2_S3_S2_EEvlllT_PT11_llS6_llS4_PT12_llPT13_lli.num_named_barrier, 0
	.set _ZN12_GLOBAL__N_135rocblas_gemm_batched_general_kernelI19rocblas_complex_numIfELi16ELi16ELi32ELi32ELi8ELi32ELi8ELi8ELi32ELc78ELc67EKS2_S3_S2_EEvlllT_PT11_llS6_llS4_PT12_llPT13_lli.private_seg_size, 0
	.set _ZN12_GLOBAL__N_135rocblas_gemm_batched_general_kernelI19rocblas_complex_numIfELi16ELi16ELi32ELi32ELi8ELi32ELi8ELi8ELi32ELc78ELc67EKS2_S3_S2_EEvlllT_PT11_llS6_llS4_PT12_llPT13_lli.uses_vcc, 1
	.set _ZN12_GLOBAL__N_135rocblas_gemm_batched_general_kernelI19rocblas_complex_numIfELi16ELi16ELi32ELi32ELi8ELi32ELi8ELi8ELi32ELc78ELc67EKS2_S3_S2_EEvlllT_PT11_llS6_llS4_PT12_llPT13_lli.uses_flat_scratch, 0
	.set _ZN12_GLOBAL__N_135rocblas_gemm_batched_general_kernelI19rocblas_complex_numIfELi16ELi16ELi32ELi32ELi8ELi32ELi8ELi8ELi32ELc78ELc67EKS2_S3_S2_EEvlllT_PT11_llS6_llS4_PT12_llPT13_lli.has_dyn_sized_stack, 0
	.set _ZN12_GLOBAL__N_135rocblas_gemm_batched_general_kernelI19rocblas_complex_numIfELi16ELi16ELi32ELi32ELi8ELi32ELi8ELi8ELi32ELc78ELc67EKS2_S3_S2_EEvlllT_PT11_llS6_llS4_PT12_llPT13_lli.has_recursion, 0
	.set _ZN12_GLOBAL__N_135rocblas_gemm_batched_general_kernelI19rocblas_complex_numIfELi16ELi16ELi32ELi32ELi8ELi32ELi8ELi8ELi32ELc78ELc67EKS2_S3_S2_EEvlllT_PT11_llS6_llS4_PT12_llPT13_lli.has_indirect_call, 0
	.section	.AMDGPU.csdata,"",@progbits
; Kernel info:
; codeLenInByte = 3544
; TotalNumSgprs: 49
; NumVgprs: 67
; ScratchSize: 0
; MemoryBound: 1
; FloatMode: 240
; IeeeMode: 1
; LDSByteSize: 4096 bytes/workgroup (compile time only)
; SGPRBlocks: 0
; VGPRBlocks: 8
; NumSGPRsForWavesPerEU: 49
; NumVGPRsForWavesPerEU: 67
; Occupancy: 16
; WaveLimiterHint : 0
; COMPUTE_PGM_RSRC2:SCRATCH_EN: 0
; COMPUTE_PGM_RSRC2:USER_SGPR: 2
; COMPUTE_PGM_RSRC2:TRAP_HANDLER: 0
; COMPUTE_PGM_RSRC2:TGID_X_EN: 1
; COMPUTE_PGM_RSRC2:TGID_Y_EN: 1
; COMPUTE_PGM_RSRC2:TGID_Z_EN: 1
; COMPUTE_PGM_RSRC2:TIDIG_COMP_CNT: 1
	.section	.text._ZN12_GLOBAL__N_135rocblas_gemm_batched_general_kernelI19rocblas_complex_numIfELi16ELi16ELi32ELi32ELi8ELi32ELi8ELi8ELi32ELc84ELc67EKS2_S3_S2_EEvlllT_PT11_llS6_llS4_PT12_llPT13_lli,"axG",@progbits,_ZN12_GLOBAL__N_135rocblas_gemm_batched_general_kernelI19rocblas_complex_numIfELi16ELi16ELi32ELi32ELi8ELi32ELi8ELi8ELi32ELc84ELc67EKS2_S3_S2_EEvlllT_PT11_llS6_llS4_PT12_llPT13_lli,comdat
	.globl	_ZN12_GLOBAL__N_135rocblas_gemm_batched_general_kernelI19rocblas_complex_numIfELi16ELi16ELi32ELi32ELi8ELi32ELi8ELi8ELi32ELc84ELc67EKS2_S3_S2_EEvlllT_PT11_llS6_llS4_PT12_llPT13_lli ; -- Begin function _ZN12_GLOBAL__N_135rocblas_gemm_batched_general_kernelI19rocblas_complex_numIfELi16ELi16ELi32ELi32ELi8ELi32ELi8ELi8ELi32ELc84ELc67EKS2_S3_S2_EEvlllT_PT11_llS6_llS4_PT12_llPT13_lli
	.p2align	8
	.type	_ZN12_GLOBAL__N_135rocblas_gemm_batched_general_kernelI19rocblas_complex_numIfELi16ELi16ELi32ELi32ELi8ELi32ELi8ELi8ELi32ELc84ELc67EKS2_S3_S2_EEvlllT_PT11_llS6_llS4_PT12_llPT13_lli,@function
_ZN12_GLOBAL__N_135rocblas_gemm_batched_general_kernelI19rocblas_complex_numIfELi16ELi16ELi32ELi32ELi8ELi32ELi8ELi8ELi32ELc84ELc67EKS2_S3_S2_EEvlllT_PT11_llS6_llS4_PT12_llPT13_lli: ; @_ZN12_GLOBAL__N_135rocblas_gemm_batched_general_kernelI19rocblas_complex_numIfELi16ELi16ELi32ELi32ELi8ELi32ELi8ELi8ELi32ELc84ELc67EKS2_S3_S2_EEvlllT_PT11_llS6_llS4_PT12_llPT13_lli
; %bb.0:
	s_load_b32 s33, s[0:1], 0x88
	s_lshr_b32 s6, ttmp7, 16
	s_wait_kmcnt 0x0
	s_cmp_ge_i32 s6, s33
	s_cbranch_scc1 .LBB115_38
; %bb.1:
	s_clause 0x4
	s_load_b256 s[8:15], s[0:1], 0x0
	s_load_b256 s[24:31], s[0:1], 0x20
	s_load_b128 s[36:39], s[0:1], 0x78
	s_load_b128 s[40:43], s[0:1], 0x40
	s_load_b64 s[34:35], s[0:1], 0x50
	v_and_b32_e32 v15, 7, v0
	v_bfe_u32 v5, v0, 10, 10
	s_load_b256 s[16:23], s[0:1], 0x58
	s_mov_b32 s2, ttmp9
	s_ashr_i32 s3, ttmp9, 31
	s_and_b32 s47, ttmp7, 0xffff
	s_lshl_b64 s[44:45], s[2:3], 5
	v_lshlrev_b32_e32 v7, 3, v15
	s_lshl_b32 s0, s47, 5
	v_lshl_add_u32 v19, v5, 6, 0x800
	s_mov_b32 s7, 0
	v_mov_b32_e32 v2, s45
	s_wait_kmcnt 0x0
	v_mad_co_u64_u32 v[10:11], null, s40, v15, 0
	v_and_b32_e32 v8, 0x3ff, v0
	s_delay_alu instid0(VALU_DEP_1) | instskip(SKIP_1) | instid1(VALU_DEP_2)
	v_lshl_add_u32 v24, v5, 4, v8
	v_lshlrev_b32_e32 v18, 3, v8
	v_and_b32_e32 v3, 31, v24
	v_lshrrev_b32_e32 v0, 3, v24
	v_lshrrev_b32_e32 v14, 5, v24
	s_delay_alu instid0(VALU_DEP_3) | instskip(SKIP_1) | instid1(VALU_DEP_4)
	v_or_b32_e32 v1, s44, v3
	v_lshlrev_b32_e32 v6, 3, v3
	v_add_co_u32 v3, s1, v0, s0
	s_wait_alu 0xf1ff
	v_add_co_ci_u32_e64 v4, null, 0, 0, s1
	v_lshl_or_b32 v7, v0, 6, v7
	v_cmp_gt_i64_e32 vcc_lo, s[8:9], v[1:2]
	v_add_co_u32 v2, s0, s0, v5
	v_lshl_or_b32 v16, v14, 8, v6
	v_cmp_gt_i64_e64 s4, s[10:11], v[3:4]
	v_add_nc_u32_e32 v17, 0x800, v7
	s_or_b32 s1, s34, s35
	v_mad_co_u64_u32 v[6:7], null, v2, s36, 0
	v_mad_co_u64_u32 v[4:5], null, v2, s18, 0
	s_wait_alu 0xfffe
	s_bitset0_b32 s1, 31
	v_mov_b32_e32 v0, 0
	s_wait_alu 0xfffe
	s_cmp_eq_u32 s1, 0
	v_add_co_u32 v8, s1, s44, v8
	v_add_co_ci_u32_e64 v3, null, 0, 0, s0
	v_mad_co_u64_u32 v[20:21], null, v2, s19, v[5:6]
	s_delay_alu instid0(VALU_DEP_3) | instskip(SKIP_4) | instid1(VALU_DEP_3)
	v_mad_co_u64_u32 v[21:22], null, v2, s37, v[7:8]
	v_mov_b32_e32 v7, v11
	s_wait_alu 0xf1ff
	v_add_co_ci_u32_e64 v9, null, s45, 0, s1
	v_add_co_u32 v12, s1, v8, 16
	v_mad_co_u64_u32 v[22:23], null, s41, v15, v[7:8]
	v_mov_b32_e32 v5, v20
	v_cmp_gt_i64_e64 s0, s[10:11], v[2:3]
	s_wait_alu 0xf1ff
	v_add_co_ci_u32_e64 v13, null, 0, v9, s1
	v_add_co_u32 v2, s1, v2, 16
	s_wait_alu 0xf1ff
	v_add_co_ci_u32_e64 v3, null, 0, v3, s1
	v_mov_b32_e32 v11, v22
	v_lshlrev_b64_e32 v[4:5], 3, v[4:5]
	s_cselect_b32 s46, -1, 0
	s_delay_alu instid0(VALU_DEP_3) | instskip(SKIP_4) | instid1(VALU_DEP_1)
	v_cmp_gt_i64_e64 s3, s[10:11], v[2:3]
	v_mov_b32_e32 v7, v21
	v_lshlrev_b64_e32 v[2:3], 3, v[10:11]
	v_mul_lo_u32 v11, s27, v1
	v_add_co_u32 v20, s5, s16, v4
	v_add_co_ci_u32_e64 v21, null, s17, v5, s5
	s_lshl_b32 s5, s47, 8
	v_mad_co_u64_u32 v[4:5], null, s26, v1, 0
	v_and_b32_e32 v10, 0x1ff8, v24
	s_wait_alu 0xfffe
	v_add_co_u32 v1, s5, v2, s5
	s_wait_alu 0xf1ff
	v_add_co_ci_u32_e64 v2, null, 0, v3, s5
	s_mul_i32 s10, s26, s45
	v_add_co_u32 v1, s5, v1, v10
	s_wait_alu 0xfffe
	v_add3_u32 v5, v5, s10, v11
	s_wait_alu 0xf1ff
	v_add_co_ci_u32_e64 v2, null, 0, v2, s5
	v_add_co_u32 v1, s5, s30, v1
	s_delay_alu instid0(VALU_DEP_3) | instskip(SKIP_1) | instid1(VALU_DEP_3)
	v_lshlrev_b64_e32 v[4:5], 3, v[4:5]
	s_wait_alu 0xf1ff
	v_add_co_ci_u32_e64 v3, null, s31, v2, s5
	v_lshlrev_b32_e32 v10, 3, v14
	v_add_co_u32 v2, s5, v1, 4
	s_wait_alu 0xf1ff
	s_delay_alu instid0(VALU_DEP_3) | instskip(NEXT) | instid1(VALU_DEP_3)
	v_add_co_ci_u32_e64 v3, null, 0, v3, s5
	v_add_co_u32 v1, s5, v4, v10
	s_wait_alu 0xf1ff
	v_add_co_ci_u32_e64 v5, null, 0, v5, s5
	v_cmp_gt_i64_e64 s1, s[8:9], v[8:9]
	s_delay_alu instid0(VALU_DEP_3)
	v_add_co_u32 v4, s5, s24, v1
	v_cmp_gt_i64_e64 s2, s[8:9], v[12:13]
	v_cmp_gt_i64_e64 s26, s[12:13], 0
	v_lshlrev_b64_e32 v[6:7], 3, v[6:7]
	v_lshlrev_b64_e32 v[8:9], 3, v[8:9]
	s_wait_alu 0xf1ff
	v_add_co_ci_u32_e64 v5, null, s25, v5, s5
	s_lshl_b64 s[8:9], s[36:37], 4
	s_lshl_b64 s[36:37], s[18:19], 4
	;; [unrolled: 1-line block ×5, first 2 shown]
	s_xor_b32 s27, vcc_lo, -1
	s_xor_b32 s28, s4, -1
	s_wait_alu 0xfffe
	s_lshl_b64 s[4:5], s[36:37], 3
	s_branch .LBB115_4
.LBB115_2:                              ;   in Loop: Header=BB115_4 Depth=1
	s_wait_alu 0xfffe
	s_or_b32 exec_lo, exec_lo, s29
.LBB115_3:                              ;   in Loop: Header=BB115_4 Depth=1
	s_add_co_i32 s6, s6, 0x10000
	s_wait_alu 0xfffe
	s_cmp_lt_i32 s6, s33
	s_cbranch_scc0 .LBB115_38
.LBB115_4:                              ; =>This Loop Header: Depth=1
                                        ;     Child Loop BB115_7 Depth 2
	v_dual_mov_b32 v28, v0 :: v_dual_mov_b32 v29, v0
	v_dual_mov_b32 v26, v0 :: v_dual_mov_b32 v27, v0
	;; [unrolled: 1-line block ×4, first 2 shown]
	s_and_not1_b32 vcc_lo, exec_lo, s26
	s_wait_alu 0xfffe
	s_cbranch_vccnz .LBB115_15
; %bb.5:                                ;   in Loop: Header=BB115_4 Depth=1
	v_mad_co_u64_u32 v[10:11], null, s10, s6, v[2:3]
	v_mad_co_u64_u32 v[12:13], null, s18, s6, v[4:5]
	v_dual_mov_b32 v23, 0 :: v_dual_mov_b32 v26, 0
	v_mov_b32_e32 v25, 0
	v_mov_b32_e32 v27, 0
	v_dual_mov_b32 v1, v11 :: v_dual_mov_b32 v22, 0
	v_dual_mov_b32 v11, v13 :: v_dual_mov_b32 v24, 0
	s_mov_b64 s[24:25], 0
	s_delay_alu instid0(VALU_DEP_2) | instskip(NEXT) | instid1(VALU_DEP_2)
	v_mad_co_u64_u32 v[28:29], null, s11, s6, v[1:2]
	v_mad_co_u64_u32 v[30:31], null, s19, s6, v[11:12]
	v_mov_b32_e32 v29, 0
	s_delay_alu instid0(VALU_DEP_3) | instskip(NEXT) | instid1(VALU_DEP_3)
	v_dual_mov_b32 v11, v28 :: v_dual_mov_b32 v28, 0
	v_mov_b32_e32 v13, v30
	s_branch .LBB115_7
.LBB115_6:                              ;   in Loop: Header=BB115_7 Depth=2
	s_or_b32 exec_lo, exec_lo, s29
	ds_store_b32 v17, v1 offset:4
	s_wait_dscnt 0x0
	s_barrier_signal -1
	s_barrier_wait -1
	global_inv scope:SCOPE_SE
	ds_load_b128 v[30:33], v19
	ds_load_2addr_b64 v[34:37], v18 offset1:16
	ds_load_b128 v[38:41], v19 offset:1024
	ds_load_b128 v[42:45], v19 offset:16
	;; [unrolled: 1-line block ×4, first 2 shown]
	ds_load_2addr_b64 v[54:57], v18 offset0:32 offset1:48
	ds_load_b128 v[58:61], v19 offset:1040
	s_add_nc_u64 s[24:25], s[24:25], 8
	v_add_co_u32 v10, vcc_lo, v10, s16
	s_wait_alu 0xfffe
	v_cmp_lt_i64_e64 s29, s[24:25], s[12:13]
	s_wait_alu 0xfffd
	v_add_co_ci_u32_e64 v11, null, s17, v11, vcc_lo
	v_add_co_u32 v12, vcc_lo, v12, 64
	s_wait_alu 0xfffd
	v_add_co_ci_u32_e64 v13, null, 0, v13, vcc_lo
	s_and_b32 vcc_lo, exec_lo, s29
	s_wait_dscnt 0x6
	v_dual_mul_f32 v1, v31, v35 :: v_dual_mul_f32 v64, v30, v37
	v_dual_mul_f32 v62, v30, v35 :: v_dual_mul_f32 v63, v31, v37
	s_wait_dscnt 0x5
	v_mul_f32_e32 v66, v39, v37
	s_delay_alu instid0(VALU_DEP_3) | instskip(SKIP_3) | instid1(VALU_DEP_4)
	v_fma_f32 v1, v30, v34, -v1
	v_dual_mul_f32 v37, v38, v37 :: v_dual_fmac_f32 v64, v31, v36
	v_fmac_f32_e32 v62, v31, v34
	v_fma_f32 v30, v30, v36, -v63
	v_add_f32_e32 v1, v28, v1
	v_mul_f32_e32 v65, v39, v35
	s_delay_alu instid0(VALU_DEP_4) | instskip(NEXT) | instid1(VALU_DEP_4)
	v_dual_mul_f32 v35, v38, v35 :: v_dual_add_f32 v28, v29, v62
	v_add_f32_e32 v29, v26, v30
	v_fma_f32 v26, v38, v36, -v66
	s_delay_alu instid0(VALU_DEP_4) | instskip(NEXT) | instid1(VALU_DEP_4)
	v_fma_f32 v31, v38, v34, -v65
	v_fmac_f32_e32 v35, v39, v34
	s_wait_dscnt 0x1
	v_dual_add_f32 v27, v27, v64 :: v_dual_mul_f32 v34, v33, v55
	v_dual_fmac_f32 v37, v39, v36 :: v_dual_mul_f32 v38, v33, v57
	v_add_f32_e32 v30, v24, v31
	v_add_f32_e32 v31, v25, v35
	v_dual_add_f32 v35, v23, v26 :: v_dual_mul_f32 v36, v32, v55
	ds_load_2addr_b64 v[23:26], v18 offset0:64 offset1:80
	v_fma_f32 v34, v32, v54, -v34
	v_add_f32_e32 v22, v22, v37
	v_dual_mul_f32 v37, v32, v57 :: v_dual_fmac_f32 v36, v33, v54
	v_fma_f32 v32, v32, v56, -v38
	s_delay_alu instid0(VALU_DEP_4) | instskip(SKIP_1) | instid1(VALU_DEP_4)
	v_add_f32_e32 v1, v1, v34
	v_mul_f32_e32 v34, v41, v55
	v_fmac_f32_e32 v37, v33, v56
	v_add_f32_e32 v36, v28, v36
	v_mul_f32_e32 v28, v40, v55
	v_add_f32_e32 v32, v29, v32
	v_fma_f32 v29, v40, v54, -v34
	v_mul_f32_e32 v33, v41, v57
	v_add_f32_e32 v34, v27, v37
	v_dual_mul_f32 v37, v40, v57 :: v_dual_fmac_f32 v28, v41, v54
	s_delay_alu instid0(VALU_DEP_4) | instskip(NEXT) | instid1(VALU_DEP_4)
	v_add_f32_e32 v38, v30, v29
	v_fma_f32 v27, v40, v56, -v33
	s_wait_dscnt 0x0
	v_mul_f32_e32 v29, v43, v24
	v_fmac_f32_e32 v37, v41, v56
	v_add_f32_e32 v31, v31, v28
	v_add_f32_e32 v35, v35, v27
	v_mul_f32_e32 v40, v43, v26
	v_fma_f32 v39, v42, v23, -v29
	ds_load_2addr_b64 v[27:30], v18 offset0:96 offset1:112
	v_add_f32_e32 v37, v22, v37
	v_mul_f32_e32 v22, v42, v26
	v_mul_f32_e32 v33, v42, v24
	v_add_f32_e32 v1, v1, v39
	v_fma_f32 v39, v42, v25, -v40
	s_delay_alu instid0(VALU_DEP_4) | instskip(NEXT) | instid1(VALU_DEP_4)
	v_fmac_f32_e32 v22, v43, v25
	v_fmac_f32_e32 v33, v43, v23
	s_delay_alu instid0(VALU_DEP_3) | instskip(NEXT) | instid1(VALU_DEP_2)
	v_dual_add_f32 v32, v32, v39 :: v_dual_mul_f32 v39, v59, v26
	v_dual_mul_f32 v26, v58, v26 :: v_dual_add_f32 v33, v36, v33
	v_mul_f32_e32 v36, v59, v24
	v_mul_f32_e32 v24, v58, v24
	v_add_f32_e32 v40, v34, v22
	v_fma_f32 v22, v58, v25, -v39
	s_delay_alu instid0(VALU_DEP_4) | instskip(SKIP_2) | instid1(VALU_DEP_3)
	v_fma_f32 v36, v58, v23, -v36
	s_wait_dscnt 0x0
	v_dual_fmac_f32 v24, v59, v23 :: v_dual_mul_f32 v39, v45, v30
	v_add_f32_e32 v35, v35, v22
	s_delay_alu instid0(VALU_DEP_3) | instskip(NEXT) | instid1(VALU_DEP_3)
	v_dual_mul_f32 v43, v61, v30 :: v_dual_add_f32 v36, v38, v36
	v_add_f32_e32 v38, v31, v24
	v_mul_f32_e32 v31, v45, v28
	v_fma_f32 v39, v44, v29, -v39
	s_delay_alu instid0(VALU_DEP_2)
	v_fma_f32 v31, v44, v27, -v31
	v_fmac_f32_e32 v26, v59, v25
	ds_load_2addr_b64 v[22:25], v18 offset0:128 offset1:144
	v_add_f32_e32 v39, v32, v39
	v_dual_add_f32 v1, v1, v31 :: v_dual_mul_f32 v34, v44, v28
	v_add_f32_e32 v37, v37, v26
	v_dual_mul_f32 v26, v44, v30 :: v_dual_mul_f32 v31, v61, v28
	v_mul_f32_e32 v28, v60, v28
	v_mul_f32_e32 v30, v60, v30
	s_delay_alu instid0(VALU_DEP_3) | instskip(NEXT) | instid1(VALU_DEP_4)
	v_fmac_f32_e32 v26, v45, v29
	v_fma_f32 v42, v60, v27, -v31
	s_delay_alu instid0(VALU_DEP_4) | instskip(SKIP_1) | instid1(VALU_DEP_4)
	v_fmac_f32_e32 v28, v61, v27
	v_fmac_f32_e32 v34, v45, v27
	v_add_f32_e32 v40, v40, v26
	v_fma_f32 v26, v60, v29, -v43
	s_wait_dscnt 0x0
	v_mul_f32_e32 v45, v46, v23
	v_dual_mul_f32 v27, v47, v23 :: v_dual_mul_f32 v54, v46, v25
	s_delay_alu instid0(VALU_DEP_2)
	v_fmac_f32_e32 v45, v47, v22
	v_add_f32_e32 v43, v38, v28
	v_add_f32_e32 v41, v33, v34
	ds_load_b128 v[31:34], v19 offset:1056
	v_fmac_f32_e32 v30, v61, v29
	v_add_f32_e32 v44, v35, v26
	v_fma_f32 v35, v46, v22, -v27
	v_add_f32_e32 v42, v36, v42
	ds_load_2addr_b64 v[26:29], v18 offset0:160 offset1:176
	v_mul_f32_e32 v36, v47, v25
	v_add_f32_e32 v30, v37, v30
	v_add_f32_e32 v1, v1, v35
	;; [unrolled: 1-line block ×3, first 2 shown]
	s_delay_alu instid0(VALU_DEP_4)
	v_fma_f32 v46, v46, v24, -v36
	ds_load_b128 v[35:38], v19 offset:1072
	v_add_f32_e32 v39, v39, v46
	s_wait_dscnt 0x2
	v_mul_f32_e32 v55, v32, v23
	v_mul_f32_e32 v23, v31, v23
	v_fmac_f32_e32 v54, v47, v24
	v_mul_f32_e32 v46, v32, v25
	v_mul_f32_e32 v47, v31, v25
	v_fma_f32 v45, v31, v22, -v55
	v_fmac_f32_e32 v23, v32, v22
	s_wait_dscnt 0x1
	v_dual_add_f32 v40, v40, v54 :: v_dual_mul_f32 v25, v49, v27
	v_fma_f32 v22, v31, v24, -v46
	v_fmac_f32_e32 v47, v32, v24
	v_mul_f32_e32 v32, v48, v27
	v_dual_add_f32 v42, v42, v45 :: v_dual_add_f32 v31, v43, v23
	v_mul_f32_e32 v45, v49, v29
	s_delay_alu instid0(VALU_DEP_3)
	v_fmac_f32_e32 v32, v49, v26
	v_dual_add_f32 v43, v44, v22 :: v_dual_add_f32 v46, v30, v47
	v_fma_f32 v44, v48, v26, -v25
	ds_load_2addr_b64 v[22:25], v18 offset0:192 offset1:208
	v_dual_mul_f32 v30, v48, v29 :: v_dual_add_f32 v41, v41, v32
	v_dual_mul_f32 v32, v34, v27 :: v_dual_add_f32 v1, v1, v44
	v_fma_f32 v44, v48, v28, -v45
	v_mul_f32_e32 v27, v33, v27
	s_delay_alu instid0(VALU_DEP_3) | instskip(NEXT) | instid1(VALU_DEP_3)
	v_fma_f32 v32, v33, v26, -v32
	v_dual_add_f32 v39, v39, v44 :: v_dual_mul_f32 v44, v34, v29
	s_delay_alu instid0(VALU_DEP_3) | instskip(NEXT) | instid1(VALU_DEP_1)
	v_dual_fmac_f32 v30, v49, v28 :: v_dual_fmac_f32 v27, v34, v26
	v_dual_mul_f32 v29, v33, v29 :: v_dual_add_f32 v26, v40, v30
	s_delay_alu instid0(VALU_DEP_3) | instskip(NEXT) | instid1(VALU_DEP_3)
	v_fma_f32 v30, v33, v28, -v44
	v_dual_add_f32 v40, v42, v32 :: v_dual_add_f32 v27, v31, v27
	s_wait_dscnt 0x0
	v_mul_f32_e32 v44, v50, v25
	v_dual_mul_f32 v42, v51, v23 :: v_dual_fmac_f32 v29, v34, v28
	v_add_f32_e32 v28, v43, v30
	ds_load_2addr_b64 v[30:33], v18 offset0:224 offset1:240
	v_dual_mul_f32 v34, v50, v23 :: v_dual_mul_f32 v43, v51, v25
	v_fma_f32 v42, v50, v22, -v42
	v_dual_fmac_f32 v44, v51, v24 :: v_dual_add_f32 v29, v46, v29
	s_delay_alu instid0(VALU_DEP_3) | instskip(NEXT) | instid1(VALU_DEP_4)
	v_fmac_f32_e32 v34, v51, v22
	v_fma_f32 v43, v50, v24, -v43
	s_delay_alu instid0(VALU_DEP_4) | instskip(SKIP_2) | instid1(VALU_DEP_3)
	v_dual_add_f32 v1, v1, v42 :: v_dual_mul_f32 v42, v36, v23
	v_mul_f32_e32 v23, v35, v23
	s_wait_loadcnt_dscnt 0x0
	v_add_f32_e32 v39, v39, v43
	v_dual_add_f32 v43, v26, v44 :: v_dual_add_f32 v34, v41, v34
	v_fma_f32 v41, v35, v22, -v42
	v_mul_f32_e32 v42, v36, v25
	v_fmac_f32_e32 v23, v36, v22
	v_mul_f32_e32 v25, v35, v25
	s_barrier_signal -1
	v_add_f32_e32 v22, v40, v41
	v_fma_f32 v26, v35, v24, -v42
	v_mul_f32_e32 v35, v53, v31
	v_mul_f32_e32 v40, v52, v31
	v_add_f32_e32 v23, v27, v23
	v_fmac_f32_e32 v25, v36, v24
	v_add_f32_e32 v36, v28, v26
	v_fma_f32 v24, v52, v30, -v35
	v_fmac_f32_e32 v40, v53, v30
	v_mul_f32_e32 v26, v53, v33
	v_mul_f32_e32 v27, v52, v33
	v_add_f32_e32 v35, v29, v25
	v_add_f32_e32 v28, v1, v24
	;; [unrolled: 1-line block ×3, first 2 shown]
	v_fma_f32 v1, v52, v32, -v26
	v_dual_mul_f32 v24, v38, v31 :: v_dual_fmac_f32 v27, v53, v32
	s_barrier_wait -1
	global_inv scope:SCOPE_SE
	v_add_f32_e32 v26, v39, v1
	v_fma_f32 v1, v37, v30, -v24
	v_mul_f32_e32 v25, v37, v31
	v_mul_f32_e32 v31, v38, v33
	;; [unrolled: 1-line block ×3, first 2 shown]
	s_delay_alu instid0(VALU_DEP_4) | instskip(NEXT) | instid1(VALU_DEP_2)
	v_dual_add_f32 v27, v43, v27 :: v_dual_add_f32 v24, v22, v1
	v_fmac_f32_e32 v33, v38, v32
	v_fmac_f32_e32 v25, v38, v30
	v_fma_f32 v30, v37, v32, -v31
	s_delay_alu instid0(VALU_DEP_3) | instskip(NEXT) | instid1(VALU_DEP_3)
	v_add_f32_e32 v22, v35, v33
	v_add_f32_e32 v25, v23, v25
	s_delay_alu instid0(VALU_DEP_3)
	v_add_f32_e32 v23, v36, v30
	s_wait_alu 0xfffe
	s_cbranch_vccz .LBB115_15
.LBB115_7:                              ;   Parent Loop BB115_4 Depth=1
                                        ; =>  This Inner Loop Header: Depth=2
	s_wait_alu 0xfffe
	v_add_co_u32 v30, s29, v14, s24
	s_wait_alu 0xf1ff
	v_add_co_ci_u32_e64 v31, null, 0, s25, s29
	s_delay_alu instid0(VALU_DEP_1)
	v_cmp_le_i64_e32 vcc_lo, s[12:13], v[30:31]
	s_or_b32 s29, s27, vcc_lo
	s_wait_alu 0xfffe
	s_and_saveexec_b32 s30, s29
	s_wait_alu 0xfffe
	s_xor_b32 s29, exec_lo, s30
; %bb.8:                                ;   in Loop: Header=BB115_7 Depth=2
	v_mov_b32_e32 v1, v0
	ds_store_b64 v16, v[0:1]
; %bb.9:                                ;   in Loop: Header=BB115_7 Depth=2
	s_wait_alu 0xfffe
	s_and_not1_saveexec_b32 s29, s29
	s_cbranch_execz .LBB115_11
; %bb.10:                               ;   in Loop: Header=BB115_7 Depth=2
	global_load_b64 v[30:31], v[12:13], off
	s_wait_loadcnt 0x0
	ds_store_b64 v16, v[30:31]
.LBB115_11:                             ;   in Loop: Header=BB115_7 Depth=2
	s_wait_alu 0xfffe
	s_or_b32 exec_lo, exec_lo, s29
	v_add_co_u32 v30, s29, v15, s24
	s_wait_alu 0xf1ff
	v_add_co_ci_u32_e64 v31, null, 0, s25, s29
	s_delay_alu instid0(VALU_DEP_1)
	v_cmp_le_i64_e32 vcc_lo, s[12:13], v[30:31]
	s_or_b32 s29, vcc_lo, s28
	s_wait_alu 0xfffe
	s_and_saveexec_b32 s30, s29
	s_wait_alu 0xfffe
	s_xor_b32 s29, exec_lo, s30
; %bb.12:                               ;   in Loop: Header=BB115_7 Depth=2
	ds_store_b32 v17, v0
; %bb.13:                               ;   in Loop: Header=BB115_7 Depth=2
	s_wait_alu 0xfffe
	s_or_saveexec_b32 s29, s29
	v_mov_b32_e32 v1, 0
	s_wait_alu 0xfffe
	s_xor_b32 exec_lo, exec_lo, s29
	s_cbranch_execz .LBB115_6
; %bb.14:                               ;   in Loop: Header=BB115_7 Depth=2
	global_load_b64 v[30:31], v[10:11], off offset:-4
	s_wait_loadcnt 0x0
	v_xor_b32_e32 v1, 0x80000000, v31
	ds_store_b32 v17, v30
	s_branch .LBB115_6
.LBB115_15:                             ;   in Loop: Header=BB115_4 Depth=1
	s_mul_u64 s[24:25], s[38:39], s[6:7]
	s_and_not1_b32 vcc_lo, exec_lo, s46
	s_wait_alu 0xfffe
	s_lshl_b64 s[24:25], s[24:25], 3
	s_mov_b32 s29, -1
	s_wait_alu 0xfffe
	s_add_nc_u64 s[24:25], s[22:23], s[24:25]
	s_cbranch_vccz .LBB115_17
; %bb.16:                               ;   in Loop: Header=BB115_4 Depth=1
	s_and_not1_b32 vcc_lo, exec_lo, s29
	s_wait_alu 0xfffe
	s_cbranch_vccnz .LBB115_3
	s_branch .LBB115_28
.LBB115_17:                             ;   in Loop: Header=BB115_4 Depth=1
	s_and_saveexec_b32 s29, s0
	s_cbranch_execz .LBB115_27
; %bb.18:                               ;   in Loop: Header=BB115_4 Depth=1
	s_wait_alu 0xfffe
	v_add_co_u32 v1, vcc_lo, s24, v6
	s_wait_alu 0xfffd
	v_add_co_ci_u32_e64 v10, null, s25, v7, vcc_lo
	s_and_saveexec_b32 s30, s1
	s_cbranch_execnz .LBB115_21
; %bb.19:                               ;   in Loop: Header=BB115_4 Depth=1
	s_wait_alu 0xfffe
	s_or_b32 exec_lo, exec_lo, s30
	s_and_saveexec_b32 s30, s2
	s_cbranch_execnz .LBB115_22
.LBB115_20:                             ;   in Loop: Header=BB115_4 Depth=1
	s_wait_alu 0xfffe
	s_or_b32 exec_lo, exec_lo, s30
	s_delay_alu instid0(SALU_CYCLE_1)
	s_and_b32 exec_lo, exec_lo, s3
	s_cbranch_execnz .LBB115_23
	s_branch .LBB115_27
.LBB115_21:                             ;   in Loop: Header=BB115_4 Depth=1
	v_mul_f32_e32 v12, s14, v29
	v_mul_f32_e32 v11, s15, v29
	v_add_co_u32 v30, vcc_lo, v1, v8
	s_wait_alu 0xfffd
	v_add_co_ci_u32_e64 v31, null, v10, v9, vcc_lo
	v_fmac_f32_e32 v12, s15, v28
	v_fma_f32 v11, v28, s14, -v11
	global_store_b64 v[30:31], v[11:12], off
	s_wait_alu 0xfffe
	s_or_b32 exec_lo, exec_lo, s30
	s_and_saveexec_b32 s30, s2
	s_cbranch_execz .LBB115_20
.LBB115_22:                             ;   in Loop: Header=BB115_4 Depth=1
	v_mul_f32_e32 v12, s14, v27
	v_mul_f32_e32 v11, s15, v27
	v_add_co_u32 v30, vcc_lo, v1, v8
	s_wait_alu 0xfffd
	v_add_co_ci_u32_e64 v31, null, v10, v9, vcc_lo
	v_fmac_f32_e32 v12, s15, v26
	v_fma_f32 v11, v26, s14, -v11
	global_store_b64 v[30:31], v[11:12], off offset:128
	s_wait_alu 0xfffe
	s_or_b32 exec_lo, exec_lo, s30
	s_delay_alu instid0(SALU_CYCLE_1)
	s_and_b32 exec_lo, exec_lo, s3
	s_cbranch_execz .LBB115_27
.LBB115_23:                             ;   in Loop: Header=BB115_4 Depth=1
	s_lshl_b64 s[30:31], s[8:9], 3
	s_wait_alu 0xfffe
	v_add_co_u32 v1, vcc_lo, v1, s30
	s_wait_alu 0xfffd
	v_add_co_ci_u32_e64 v11, null, s31, v10, vcc_lo
	s_delay_alu instid0(VALU_DEP_2) | instskip(SKIP_1) | instid1(VALU_DEP_2)
	v_add_co_u32 v10, vcc_lo, v1, v8
	s_wait_alu 0xfffd
	v_add_co_ci_u32_e64 v11, null, v11, v9, vcc_lo
	s_and_saveexec_b32 s30, s1
	s_cbranch_execz .LBB115_25
; %bb.24:                               ;   in Loop: Header=BB115_4 Depth=1
	v_mul_f32_e32 v1, s15, v25
	v_mul_f32_e32 v13, s14, v25
	s_delay_alu instid0(VALU_DEP_2) | instskip(NEXT) | instid1(VALU_DEP_2)
	v_fma_f32 v12, v24, s14, -v1
	v_fmac_f32_e32 v13, s15, v24
	global_store_b64 v[10:11], v[12:13], off
.LBB115_25:                             ;   in Loop: Header=BB115_4 Depth=1
	s_wait_alu 0xfffe
	s_or_b32 exec_lo, exec_lo, s30
	s_delay_alu instid0(SALU_CYCLE_1)
	s_and_b32 exec_lo, exec_lo, s2
	s_cbranch_execz .LBB115_27
; %bb.26:                               ;   in Loop: Header=BB115_4 Depth=1
	v_mul_f32_e32 v1, s15, v22
	v_mul_f32_e32 v13, s14, v22
	s_delay_alu instid0(VALU_DEP_2) | instskip(NEXT) | instid1(VALU_DEP_2)
	v_fma_f32 v12, v23, s14, -v1
	v_fmac_f32_e32 v13, s15, v23
	global_store_b64 v[10:11], v[12:13], off offset:128
.LBB115_27:                             ;   in Loop: Header=BB115_4 Depth=1
	s_wait_alu 0xfffe
	s_or_b32 exec_lo, exec_lo, s29
	s_cbranch_execnz .LBB115_3
.LBB115_28:                             ;   in Loop: Header=BB115_4 Depth=1
	s_and_saveexec_b32 s29, s0
	s_cbranch_execz .LBB115_2
; %bb.29:                               ;   in Loop: Header=BB115_4 Depth=1
	s_mul_u64 s[30:31], s[20:21], s[6:7]
	s_wait_alu 0xfffe
	s_lshl_b64 s[30:31], s[30:31], 3
	s_wait_alu 0xfffe
	v_add_co_u32 v11, vcc_lo, v20, s30
	s_wait_alu 0xfffd
	v_add_co_ci_u32_e64 v12, null, s31, v21, vcc_lo
	v_add_co_u32 v1, vcc_lo, s24, v6
	s_wait_alu 0xfffd
	v_add_co_ci_u32_e64 v10, null, s25, v7, vcc_lo
	s_and_saveexec_b32 s24, s1
	s_cbranch_execnz .LBB115_32
; %bb.30:                               ;   in Loop: Header=BB115_4 Depth=1
	s_wait_alu 0xfffe
	s_or_b32 exec_lo, exec_lo, s24
	s_and_saveexec_b32 s24, s2
	s_cbranch_execnz .LBB115_33
.LBB115_31:                             ;   in Loop: Header=BB115_4 Depth=1
	s_wait_alu 0xfffe
	s_or_b32 exec_lo, exec_lo, s24
	s_delay_alu instid0(SALU_CYCLE_1)
	s_and_b32 exec_lo, exec_lo, s3
	s_cbranch_execz .LBB115_2
	s_branch .LBB115_34
.LBB115_32:                             ;   in Loop: Header=BB115_4 Depth=1
	v_add_co_u32 v30, vcc_lo, v11, v8
	s_wait_alu 0xfffd
	v_add_co_ci_u32_e64 v31, null, v12, v9, vcc_lo
	global_load_b64 v[30:31], v[30:31], off
	s_wait_loadcnt 0x0
	v_dual_mul_f32 v13, s15, v29 :: v_dual_mul_f32 v32, s35, v31
	v_mul_f32_e32 v31, s34, v31
	s_delay_alu instid0(VALU_DEP_2) | instskip(SKIP_1) | instid1(VALU_DEP_3)
	v_fma_f32 v13, v28, s14, -v13
	v_mul_f32_e32 v29, s14, v29
	v_fmac_f32_e32 v31, s35, v30
	s_delay_alu instid0(VALU_DEP_2) | instskip(SKIP_2) | instid1(VALU_DEP_3)
	v_fmac_f32_e32 v29, s15, v28
	v_fma_f32 v28, v30, s34, -v32
	v_add_co_u32 v30, vcc_lo, v1, v8
	v_add_f32_e32 v29, v29, v31
	s_delay_alu instid0(VALU_DEP_3)
	v_add_f32_e32 v28, v13, v28
	s_wait_alu 0xfffd
	v_add_co_ci_u32_e64 v31, null, v10, v9, vcc_lo
	global_store_b64 v[30:31], v[28:29], off
	s_wait_alu 0xfffe
	s_or_b32 exec_lo, exec_lo, s24
	s_and_saveexec_b32 s24, s2
	s_cbranch_execz .LBB115_31
.LBB115_33:                             ;   in Loop: Header=BB115_4 Depth=1
	v_add_co_u32 v28, vcc_lo, v11, v8
	s_wait_alu 0xfffd
	v_add_co_ci_u32_e64 v29, null, v12, v9, vcc_lo
	global_load_b64 v[28:29], v[28:29], off offset:128
	s_wait_loadcnt 0x0
	v_dual_mul_f32 v13, s15, v27 :: v_dual_mul_f32 v30, s35, v29
	v_mul_f32_e32 v29, s34, v29
	s_delay_alu instid0(VALU_DEP_2) | instskip(SKIP_1) | instid1(VALU_DEP_3)
	v_fma_f32 v13, v26, s14, -v13
	v_mul_f32_e32 v27, s14, v27
	v_fmac_f32_e32 v29, s35, v28
	s_delay_alu instid0(VALU_DEP_2) | instskip(SKIP_2) | instid1(VALU_DEP_2)
	v_fmac_f32_e32 v27, s15, v26
	v_fma_f32 v26, v28, s34, -v30
	v_add_co_u32 v28, vcc_lo, v1, v8
	v_dual_add_f32 v27, v27, v29 :: v_dual_add_f32 v26, v13, v26
	s_wait_alu 0xfffd
	v_add_co_ci_u32_e64 v29, null, v10, v9, vcc_lo
	global_store_b64 v[28:29], v[26:27], off offset:128
	s_wait_alu 0xfffe
	s_or_b32 exec_lo, exec_lo, s24
	s_delay_alu instid0(SALU_CYCLE_1)
	s_and_b32 exec_lo, exec_lo, s3
	s_cbranch_execz .LBB115_2
.LBB115_34:                             ;   in Loop: Header=BB115_4 Depth=1
	v_add_co_u32 v11, vcc_lo, v11, s4
	s_lshl_b64 s[24:25], s[8:9], 3
	s_wait_alu 0xfffd
	v_add_co_ci_u32_e64 v13, null, s5, v12, vcc_lo
	s_wait_alu 0xfffe
	v_add_co_u32 v1, vcc_lo, v1, s24
	s_wait_alu 0xfffd
	v_add_co_ci_u32_e64 v26, null, s25, v10, vcc_lo
	v_add_co_u32 v12, vcc_lo, v11, v8
	s_wait_alu 0xfffd
	v_add_co_ci_u32_e64 v13, null, v13, v9, vcc_lo
	;; [unrolled: 3-line block ×3, first 2 shown]
	s_and_saveexec_b32 s24, s1
	s_cbranch_execz .LBB115_36
; %bb.35:                               ;   in Loop: Header=BB115_4 Depth=1
	global_load_b64 v[26:27], v[12:13], off
	s_wait_loadcnt 0x0
	v_dual_mul_f32 v1, s15, v25 :: v_dual_mul_f32 v28, s35, v27
	v_mul_f32_e32 v27, s34, v27
	s_delay_alu instid0(VALU_DEP_2) | instskip(SKIP_1) | instid1(VALU_DEP_3)
	v_fma_f32 v1, v24, s14, -v1
	v_mul_f32_e32 v25, s14, v25
	v_fmac_f32_e32 v27, s35, v26
	s_delay_alu instid0(VALU_DEP_2) | instskip(SKIP_1) | instid1(VALU_DEP_2)
	v_fmac_f32_e32 v25, s15, v24
	v_fma_f32 v24, v26, s34, -v28
	v_add_f32_e32 v25, v25, v27
	s_delay_alu instid0(VALU_DEP_2)
	v_add_f32_e32 v24, v1, v24
	global_store_b64 v[10:11], v[24:25], off
.LBB115_36:                             ;   in Loop: Header=BB115_4 Depth=1
	s_wait_alu 0xfffe
	s_or_b32 exec_lo, exec_lo, s24
	s_delay_alu instid0(SALU_CYCLE_1)
	s_and_b32 exec_lo, exec_lo, s2
	s_cbranch_execz .LBB115_2
; %bb.37:                               ;   in Loop: Header=BB115_4 Depth=1
	global_load_b64 v[12:13], v[12:13], off offset:128
	v_mul_f32_e32 v1, s15, v22
	v_mul_f32_e32 v22, s14, v22
	s_wait_loadcnt 0x0
	v_mul_f32_e32 v24, s35, v13
	v_mul_f32_e32 v13, s34, v13
	v_fma_f32 v1, v23, s14, -v1
	v_fmac_f32_e32 v22, s15, v23
	s_delay_alu instid0(VALU_DEP_4) | instskip(NEXT) | instid1(VALU_DEP_1)
	v_fma_f32 v23, v12, s34, -v24
	v_dual_fmac_f32 v13, s35, v12 :: v_dual_add_f32 v12, v1, v23
	s_delay_alu instid0(VALU_DEP_1)
	v_add_f32_e32 v13, v22, v13
	global_store_b64 v[10:11], v[12:13], off offset:128
	s_branch .LBB115_2
.LBB115_38:
	s_endpgm
	.section	.rodata,"a",@progbits
	.p2align	6, 0x0
	.amdhsa_kernel _ZN12_GLOBAL__N_135rocblas_gemm_batched_general_kernelI19rocblas_complex_numIfELi16ELi16ELi32ELi32ELi8ELi32ELi8ELi8ELi32ELc84ELc67EKS2_S3_S2_EEvlllT_PT11_llS6_llS4_PT12_llPT13_lli
		.amdhsa_group_segment_fixed_size 4096
		.amdhsa_private_segment_fixed_size 0
		.amdhsa_kernarg_size 140
		.amdhsa_user_sgpr_count 2
		.amdhsa_user_sgpr_dispatch_ptr 0
		.amdhsa_user_sgpr_queue_ptr 0
		.amdhsa_user_sgpr_kernarg_segment_ptr 1
		.amdhsa_user_sgpr_dispatch_id 0
		.amdhsa_user_sgpr_private_segment_size 0
		.amdhsa_wavefront_size32 1
		.amdhsa_uses_dynamic_stack 0
		.amdhsa_enable_private_segment 0
		.amdhsa_system_sgpr_workgroup_id_x 1
		.amdhsa_system_sgpr_workgroup_id_y 1
		.amdhsa_system_sgpr_workgroup_id_z 1
		.amdhsa_system_sgpr_workgroup_info 0
		.amdhsa_system_vgpr_workitem_id 1
		.amdhsa_next_free_vgpr 67
		.amdhsa_next_free_sgpr 48
		.amdhsa_reserve_vcc 1
		.amdhsa_float_round_mode_32 0
		.amdhsa_float_round_mode_16_64 0
		.amdhsa_float_denorm_mode_32 3
		.amdhsa_float_denorm_mode_16_64 3
		.amdhsa_fp16_overflow 0
		.amdhsa_workgroup_processor_mode 1
		.amdhsa_memory_ordered 1
		.amdhsa_forward_progress 1
		.amdhsa_inst_pref_size 28
		.amdhsa_round_robin_scheduling 0
		.amdhsa_exception_fp_ieee_invalid_op 0
		.amdhsa_exception_fp_denorm_src 0
		.amdhsa_exception_fp_ieee_div_zero 0
		.amdhsa_exception_fp_ieee_overflow 0
		.amdhsa_exception_fp_ieee_underflow 0
		.amdhsa_exception_fp_ieee_inexact 0
		.amdhsa_exception_int_div_zero 0
	.end_amdhsa_kernel
	.section	.text._ZN12_GLOBAL__N_135rocblas_gemm_batched_general_kernelI19rocblas_complex_numIfELi16ELi16ELi32ELi32ELi8ELi32ELi8ELi8ELi32ELc84ELc67EKS2_S3_S2_EEvlllT_PT11_llS6_llS4_PT12_llPT13_lli,"axG",@progbits,_ZN12_GLOBAL__N_135rocblas_gemm_batched_general_kernelI19rocblas_complex_numIfELi16ELi16ELi32ELi32ELi8ELi32ELi8ELi8ELi32ELc84ELc67EKS2_S3_S2_EEvlllT_PT11_llS6_llS4_PT12_llPT13_lli,comdat
.Lfunc_end115:
	.size	_ZN12_GLOBAL__N_135rocblas_gemm_batched_general_kernelI19rocblas_complex_numIfELi16ELi16ELi32ELi32ELi8ELi32ELi8ELi8ELi32ELc84ELc67EKS2_S3_S2_EEvlllT_PT11_llS6_llS4_PT12_llPT13_lli, .Lfunc_end115-_ZN12_GLOBAL__N_135rocblas_gemm_batched_general_kernelI19rocblas_complex_numIfELi16ELi16ELi32ELi32ELi8ELi32ELi8ELi8ELi32ELc84ELc67EKS2_S3_S2_EEvlllT_PT11_llS6_llS4_PT12_llPT13_lli
                                        ; -- End function
	.set _ZN12_GLOBAL__N_135rocblas_gemm_batched_general_kernelI19rocblas_complex_numIfELi16ELi16ELi32ELi32ELi8ELi32ELi8ELi8ELi32ELc84ELc67EKS2_S3_S2_EEvlllT_PT11_llS6_llS4_PT12_llPT13_lli.num_vgpr, 67
	.set _ZN12_GLOBAL__N_135rocblas_gemm_batched_general_kernelI19rocblas_complex_numIfELi16ELi16ELi32ELi32ELi8ELi32ELi8ELi8ELi32ELc84ELc67EKS2_S3_S2_EEvlllT_PT11_llS6_llS4_PT12_llPT13_lli.num_agpr, 0
	.set _ZN12_GLOBAL__N_135rocblas_gemm_batched_general_kernelI19rocblas_complex_numIfELi16ELi16ELi32ELi32ELi8ELi32ELi8ELi8ELi32ELc84ELc67EKS2_S3_S2_EEvlllT_PT11_llS6_llS4_PT12_llPT13_lli.numbered_sgpr, 48
	.set _ZN12_GLOBAL__N_135rocblas_gemm_batched_general_kernelI19rocblas_complex_numIfELi16ELi16ELi32ELi32ELi8ELi32ELi8ELi8ELi32ELc84ELc67EKS2_S3_S2_EEvlllT_PT11_llS6_llS4_PT12_llPT13_lli.num_named_barrier, 0
	.set _ZN12_GLOBAL__N_135rocblas_gemm_batched_general_kernelI19rocblas_complex_numIfELi16ELi16ELi32ELi32ELi8ELi32ELi8ELi8ELi32ELc84ELc67EKS2_S3_S2_EEvlllT_PT11_llS6_llS4_PT12_llPT13_lli.private_seg_size, 0
	.set _ZN12_GLOBAL__N_135rocblas_gemm_batched_general_kernelI19rocblas_complex_numIfELi16ELi16ELi32ELi32ELi8ELi32ELi8ELi8ELi32ELc84ELc67EKS2_S3_S2_EEvlllT_PT11_llS6_llS4_PT12_llPT13_lli.uses_vcc, 1
	.set _ZN12_GLOBAL__N_135rocblas_gemm_batched_general_kernelI19rocblas_complex_numIfELi16ELi16ELi32ELi32ELi8ELi32ELi8ELi8ELi32ELc84ELc67EKS2_S3_S2_EEvlllT_PT11_llS6_llS4_PT12_llPT13_lli.uses_flat_scratch, 0
	.set _ZN12_GLOBAL__N_135rocblas_gemm_batched_general_kernelI19rocblas_complex_numIfELi16ELi16ELi32ELi32ELi8ELi32ELi8ELi8ELi32ELc84ELc67EKS2_S3_S2_EEvlllT_PT11_llS6_llS4_PT12_llPT13_lli.has_dyn_sized_stack, 0
	.set _ZN12_GLOBAL__N_135rocblas_gemm_batched_general_kernelI19rocblas_complex_numIfELi16ELi16ELi32ELi32ELi8ELi32ELi8ELi8ELi32ELc84ELc67EKS2_S3_S2_EEvlllT_PT11_llS6_llS4_PT12_llPT13_lli.has_recursion, 0
	.set _ZN12_GLOBAL__N_135rocblas_gemm_batched_general_kernelI19rocblas_complex_numIfELi16ELi16ELi32ELi32ELi8ELi32ELi8ELi8ELi32ELc84ELc67EKS2_S3_S2_EEvlllT_PT11_llS6_llS4_PT12_llPT13_lli.has_indirect_call, 0
	.section	.AMDGPU.csdata,"",@progbits
; Kernel info:
; codeLenInByte = 3520
; TotalNumSgprs: 50
; NumVgprs: 67
; ScratchSize: 0
; MemoryBound: 1
; FloatMode: 240
; IeeeMode: 1
; LDSByteSize: 4096 bytes/workgroup (compile time only)
; SGPRBlocks: 0
; VGPRBlocks: 8
; NumSGPRsForWavesPerEU: 50
; NumVGPRsForWavesPerEU: 67
; Occupancy: 16
; WaveLimiterHint : 0
; COMPUTE_PGM_RSRC2:SCRATCH_EN: 0
; COMPUTE_PGM_RSRC2:USER_SGPR: 2
; COMPUTE_PGM_RSRC2:TRAP_HANDLER: 0
; COMPUTE_PGM_RSRC2:TGID_X_EN: 1
; COMPUTE_PGM_RSRC2:TGID_Y_EN: 1
; COMPUTE_PGM_RSRC2:TGID_Z_EN: 1
; COMPUTE_PGM_RSRC2:TIDIG_COMP_CNT: 1
	.section	.text._ZN12_GLOBAL__N_125rocblas_gemm_scale_kernelILi32ELi32E19rocblas_complex_numIdEPS2_EEviiT1_T2_llli,"axG",@progbits,_ZN12_GLOBAL__N_125rocblas_gemm_scale_kernelILi32ELi32E19rocblas_complex_numIdEPS2_EEviiT1_T2_llli,comdat
	.globl	_ZN12_GLOBAL__N_125rocblas_gemm_scale_kernelILi32ELi32E19rocblas_complex_numIdEPS2_EEviiT1_T2_llli ; -- Begin function _ZN12_GLOBAL__N_125rocblas_gemm_scale_kernelILi32ELi32E19rocblas_complex_numIdEPS2_EEviiT1_T2_llli
	.p2align	8
	.type	_ZN12_GLOBAL__N_125rocblas_gemm_scale_kernelILi32ELi32E19rocblas_complex_numIdEPS2_EEviiT1_T2_llli,@function
_ZN12_GLOBAL__N_125rocblas_gemm_scale_kernelILi32ELi32E19rocblas_complex_numIdEPS2_EEviiT1_T2_llli: ; @_ZN12_GLOBAL__N_125rocblas_gemm_scale_kernelILi32ELi32E19rocblas_complex_numIdEPS2_EEviiT1_T2_llli
; %bb.0:
	s_load_b32 s16, s[0:1], 0x38
	s_lshr_b32 s2, ttmp7, 16
	s_wait_kmcnt 0x0
	s_cmp_ge_u32 s2, s16
	s_cbranch_scc1 .LBB116_7
; %bb.1:
	s_clause 0x1
	s_load_b256 s[4:11], s[0:1], 0x8
	s_load_b128 s[12:15], s[0:1], 0x28
	v_bfe_u32 v1, v0, 10, 10
	s_and_b32 s18, ttmp7, 0xffff
	s_load_b64 s[0:1], s[0:1], 0x0
	v_and_b32_e32 v0, 0x3ff, v0
	v_mov_b32_e32 v4, 0
	v_lshl_add_u32 v6, s18, 5, v1
	s_wait_kmcnt 0x0
	v_cmp_neq_f64_e64 s3, s[4:5], 0
	v_cmp_neq_f64_e64 s17, s[6:7], 0
	s_delay_alu instid0(VALU_DEP_3) | instskip(NEXT) | instid1(VALU_DEP_1)
	v_mad_co_u64_u32 v[1:2], null, s12, v6, 0
	v_mad_co_u64_u32 v[2:3], null, s13, v6, v[2:3]
	v_lshl_add_u32 v3, ttmp9, 5, v0
	s_lshl_b64 s[12:13], s[10:11], 4
	s_wait_alu 0xfffe
	s_add_nc_u64 s[8:9], s[8:9], s[12:13]
	s_delay_alu instid0(VALU_DEP_1)
	v_cmp_gt_u32_e32 vcc_lo, s0, v3
	v_cmp_gt_u32_e64 s0, s1, v6
	v_lshlrev_b64_e32 v[4:5], 4, v[3:4]
	v_lshlrev_b64_e32 v[6:7], 4, v[1:2]
	s_and_b32 s11, vcc_lo, s0
	s_or_b32 s10, s3, s17
	s_mov_b32 s3, 0
	s_branch .LBB116_4
.LBB116_2:                              ;   in Loop: Header=BB116_4 Depth=1
	s_wait_alu 0xfffe
	v_add_co_u32 v8, vcc_lo, s0, v6
	s_wait_alu 0xfffd
	v_add_co_ci_u32_e64 v9, null, s1, v7, vcc_lo
	s_delay_alu instid0(VALU_DEP_2) | instskip(SKIP_1) | instid1(VALU_DEP_2)
	v_add_co_u32 v8, vcc_lo, v8, v4
	s_wait_alu 0xfffd
	v_add_co_ci_u32_e64 v9, null, v9, v5, vcc_lo
	global_store_b128 v[8:9], v[0:3], off
.LBB116_3:                              ;   in Loop: Header=BB116_4 Depth=1
	s_wait_alu 0xfffe
	s_or_b32 exec_lo, exec_lo, s12
	s_add_co_i32 s2, s2, 0x10000
	s_delay_alu instid0(SALU_CYCLE_1)
	s_cmp_lt_u32 s2, s16
	s_cbranch_scc0 .LBB116_7
.LBB116_4:                              ; =>This Inner Loop Header: Depth=1
	s_and_saveexec_b32 s12, s11
	s_cbranch_execz .LBB116_3
; %bb.5:                                ;   in Loop: Header=BB116_4 Depth=1
	v_mov_b32_e32 v2, 0
	s_mul_u64 s[0:1], s[14:15], s[2:3]
	v_dual_mov_b32 v3, 0 :: v_dual_mov_b32 v0, 0
	v_mov_b32_e32 v1, 0
	s_wait_alu 0xfffe
	s_lshl_b64 s[0:1], s[0:1], 4
	s_and_not1_b32 vcc_lo, exec_lo, s10
	s_wait_alu 0xfffe
	s_add_nc_u64 s[0:1], s[8:9], s[0:1]
	s_cbranch_vccnz .LBB116_2
; %bb.6:                                ;   in Loop: Header=BB116_4 Depth=1
	s_wait_alu 0xfffe
	v_add_co_u32 v0, vcc_lo, s0, v6
	s_wait_alu 0xfffd
	v_add_co_ci_u32_e64 v1, null, s1, v7, vcc_lo
	s_delay_alu instid0(VALU_DEP_2) | instskip(SKIP_1) | instid1(VALU_DEP_2)
	v_add_co_u32 v0, vcc_lo, v0, v4
	s_wait_alu 0xfffd
	v_add_co_ci_u32_e64 v1, null, v1, v5, vcc_lo
	global_load_b128 v[8:11], v[0:1], off
	s_wait_loadcnt 0x0
	v_mul_f64_e32 v[0:1], s[6:7], v[10:11]
	v_mul_f64_e32 v[2:3], s[4:5], v[10:11]
	s_delay_alu instid0(VALU_DEP_2) | instskip(NEXT) | instid1(VALU_DEP_2)
	v_fma_f64 v[0:1], s[4:5], v[8:9], -v[0:1]
	v_fma_f64 v[2:3], s[6:7], v[8:9], v[2:3]
	s_branch .LBB116_2
.LBB116_7:
	s_endpgm
	.section	.rodata,"a",@progbits
	.p2align	6, 0x0
	.amdhsa_kernel _ZN12_GLOBAL__N_125rocblas_gemm_scale_kernelILi32ELi32E19rocblas_complex_numIdEPS2_EEviiT1_T2_llli
		.amdhsa_group_segment_fixed_size 0
		.amdhsa_private_segment_fixed_size 0
		.amdhsa_kernarg_size 60
		.amdhsa_user_sgpr_count 2
		.amdhsa_user_sgpr_dispatch_ptr 0
		.amdhsa_user_sgpr_queue_ptr 0
		.amdhsa_user_sgpr_kernarg_segment_ptr 1
		.amdhsa_user_sgpr_dispatch_id 0
		.amdhsa_user_sgpr_private_segment_size 0
		.amdhsa_wavefront_size32 1
		.amdhsa_uses_dynamic_stack 0
		.amdhsa_enable_private_segment 0
		.amdhsa_system_sgpr_workgroup_id_x 1
		.amdhsa_system_sgpr_workgroup_id_y 1
		.amdhsa_system_sgpr_workgroup_id_z 1
		.amdhsa_system_sgpr_workgroup_info 0
		.amdhsa_system_vgpr_workitem_id 1
		.amdhsa_next_free_vgpr 12
		.amdhsa_next_free_sgpr 19
		.amdhsa_reserve_vcc 1
		.amdhsa_float_round_mode_32 0
		.amdhsa_float_round_mode_16_64 0
		.amdhsa_float_denorm_mode_32 3
		.amdhsa_float_denorm_mode_16_64 3
		.amdhsa_fp16_overflow 0
		.amdhsa_workgroup_processor_mode 1
		.amdhsa_memory_ordered 1
		.amdhsa_forward_progress 1
		.amdhsa_inst_pref_size 4
		.amdhsa_round_robin_scheduling 0
		.amdhsa_exception_fp_ieee_invalid_op 0
		.amdhsa_exception_fp_denorm_src 0
		.amdhsa_exception_fp_ieee_div_zero 0
		.amdhsa_exception_fp_ieee_overflow 0
		.amdhsa_exception_fp_ieee_underflow 0
		.amdhsa_exception_fp_ieee_inexact 0
		.amdhsa_exception_int_div_zero 0
	.end_amdhsa_kernel
	.section	.text._ZN12_GLOBAL__N_125rocblas_gemm_scale_kernelILi32ELi32E19rocblas_complex_numIdEPS2_EEviiT1_T2_llli,"axG",@progbits,_ZN12_GLOBAL__N_125rocblas_gemm_scale_kernelILi32ELi32E19rocblas_complex_numIdEPS2_EEviiT1_T2_llli,comdat
.Lfunc_end116:
	.size	_ZN12_GLOBAL__N_125rocblas_gemm_scale_kernelILi32ELi32E19rocblas_complex_numIdEPS2_EEviiT1_T2_llli, .Lfunc_end116-_ZN12_GLOBAL__N_125rocblas_gemm_scale_kernelILi32ELi32E19rocblas_complex_numIdEPS2_EEviiT1_T2_llli
                                        ; -- End function
	.set _ZN12_GLOBAL__N_125rocblas_gemm_scale_kernelILi32ELi32E19rocblas_complex_numIdEPS2_EEviiT1_T2_llli.num_vgpr, 12
	.set _ZN12_GLOBAL__N_125rocblas_gemm_scale_kernelILi32ELi32E19rocblas_complex_numIdEPS2_EEviiT1_T2_llli.num_agpr, 0
	.set _ZN12_GLOBAL__N_125rocblas_gemm_scale_kernelILi32ELi32E19rocblas_complex_numIdEPS2_EEviiT1_T2_llli.numbered_sgpr, 19
	.set _ZN12_GLOBAL__N_125rocblas_gemm_scale_kernelILi32ELi32E19rocblas_complex_numIdEPS2_EEviiT1_T2_llli.num_named_barrier, 0
	.set _ZN12_GLOBAL__N_125rocblas_gemm_scale_kernelILi32ELi32E19rocblas_complex_numIdEPS2_EEviiT1_T2_llli.private_seg_size, 0
	.set _ZN12_GLOBAL__N_125rocblas_gemm_scale_kernelILi32ELi32E19rocblas_complex_numIdEPS2_EEviiT1_T2_llli.uses_vcc, 1
	.set _ZN12_GLOBAL__N_125rocblas_gemm_scale_kernelILi32ELi32E19rocblas_complex_numIdEPS2_EEviiT1_T2_llli.uses_flat_scratch, 0
	.set _ZN12_GLOBAL__N_125rocblas_gemm_scale_kernelILi32ELi32E19rocblas_complex_numIdEPS2_EEviiT1_T2_llli.has_dyn_sized_stack, 0
	.set _ZN12_GLOBAL__N_125rocblas_gemm_scale_kernelILi32ELi32E19rocblas_complex_numIdEPS2_EEviiT1_T2_llli.has_recursion, 0
	.set _ZN12_GLOBAL__N_125rocblas_gemm_scale_kernelILi32ELi32E19rocblas_complex_numIdEPS2_EEviiT1_T2_llli.has_indirect_call, 0
	.section	.AMDGPU.csdata,"",@progbits
; Kernel info:
; codeLenInByte = 428
; TotalNumSgprs: 21
; NumVgprs: 12
; ScratchSize: 0
; MemoryBound: 0
; FloatMode: 240
; IeeeMode: 1
; LDSByteSize: 0 bytes/workgroup (compile time only)
; SGPRBlocks: 0
; VGPRBlocks: 1
; NumSGPRsForWavesPerEU: 21
; NumVGPRsForWavesPerEU: 12
; Occupancy: 16
; WaveLimiterHint : 0
; COMPUTE_PGM_RSRC2:SCRATCH_EN: 0
; COMPUTE_PGM_RSRC2:USER_SGPR: 2
; COMPUTE_PGM_RSRC2:TRAP_HANDLER: 0
; COMPUTE_PGM_RSRC2:TGID_X_EN: 1
; COMPUTE_PGM_RSRC2:TGID_Y_EN: 1
; COMPUTE_PGM_RSRC2:TGID_Z_EN: 1
; COMPUTE_PGM_RSRC2:TIDIG_COMP_CNT: 1
	.section	.text._ZN12_GLOBAL__N_120gemm_ex_scale_kernelILi32ELi32E19rocblas_complex_numIdEPKS2_PS2_EEviiT1_T2_lllT3_llli,"axG",@progbits,_ZN12_GLOBAL__N_120gemm_ex_scale_kernelILi32ELi32E19rocblas_complex_numIdEPKS2_PS2_EEviiT1_T2_lllT3_llli,comdat
	.globl	_ZN12_GLOBAL__N_120gemm_ex_scale_kernelILi32ELi32E19rocblas_complex_numIdEPKS2_PS2_EEviiT1_T2_lllT3_llli ; -- Begin function _ZN12_GLOBAL__N_120gemm_ex_scale_kernelILi32ELi32E19rocblas_complex_numIdEPKS2_PS2_EEviiT1_T2_lllT3_llli
	.p2align	8
	.type	_ZN12_GLOBAL__N_120gemm_ex_scale_kernelILi32ELi32E19rocblas_complex_numIdEPKS2_PS2_EEviiT1_T2_lllT3_llli,@function
_ZN12_GLOBAL__N_120gemm_ex_scale_kernelILi32ELi32E19rocblas_complex_numIdEPKS2_PS2_EEviiT1_T2_lllT3_llli: ; @_ZN12_GLOBAL__N_120gemm_ex_scale_kernelILi32ELi32E19rocblas_complex_numIdEPKS2_PS2_EEviiT1_T2_lllT3_llli
; %bb.0:
	s_load_b32 s24, s[0:1], 0x58
	s_lshr_b32 s2, ttmp7, 16
	s_wait_kmcnt 0x0
	s_cmp_ge_u32 s2, s24
	s_cbranch_scc1 .LBB117_7
; %bb.1:
	s_clause 0x1
	s_load_b512 s[4:19], s[0:1], 0x8
	s_load_b128 s[20:23], s[0:1], 0x48
	v_bfe_u32 v1, v0, 10, 10
	s_and_b32 s3, ttmp7, 0xffff
	s_load_b64 s[0:1], s[0:1], 0x0
	v_mov_b32_e32 v6, 0
	s_delay_alu instid0(VALU_DEP_2) | instskip(SKIP_1) | instid1(VALU_DEP_1)
	v_lshl_add_u32 v10, s3, 5, v1
	s_wait_kmcnt 0x0
	v_mad_co_u64_u32 v[1:2], null, s12, v10, 0
	v_mad_co_u64_u32 v[3:4], null, s20, v10, 0
	v_cmp_neq_f64_e64 s3, s[6:7], 0
	v_cmp_neq_f64_e64 s20, s[4:5], 0
	v_and_b32_e32 v7, 0x3ff, v0
	s_lshl_b64 s[10:11], s[10:11], 4
	s_delay_alu instid0(SALU_CYCLE_1) | instskip(SKIP_4) | instid1(VALU_DEP_3)
	s_add_nc_u64 s[8:9], s[8:9], s[10:11]
	v_mov_b32_e32 v0, v4
	v_mad_co_u64_u32 v[4:5], null, s13, v10, v[2:3]
	v_lshl_add_u32 v5, ttmp9, 5, v7
	s_lshl_b64 s[12:13], s[18:19], 4
	v_mad_co_u64_u32 v[7:8], null, s21, v10, v[0:1]
	s_wait_alu 0xfffe
	s_add_nc_u64 s[12:13], s[16:17], s[12:13]
	v_lshlrev_b64_e32 v[8:9], 4, v[5:6]
	s_delay_alu instid0(VALU_DEP_4) | instskip(SKIP_3) | instid1(VALU_DEP_4)
	v_mov_b32_e32 v2, v4
	v_cmp_gt_u32_e32 vcc_lo, s0, v5
	v_cmp_gt_u32_e64 s0, s1, v10
	v_mov_b32_e32 v4, v7
	v_lshlrev_b64_e32 v[0:1], 4, v[1:2]
	s_and_b32 s0, vcc_lo, s0
	s_delay_alu instid0(VALU_DEP_2) | instskip(NEXT) | instid1(VALU_DEP_2)
	v_lshlrev_b64_e32 v[2:3], 4, v[3:4]
	v_add_co_u32 v0, s1, s8, v0
	s_wait_alu 0xf1ff
	s_delay_alu instid0(VALU_DEP_3) | instskip(SKIP_1) | instid1(VALU_DEP_3)
	v_add_co_ci_u32_e64 v1, null, s9, v1, s1
	s_wait_alu 0xfffe
	v_add_co_u32 v2, s1, s12, v2
	s_wait_alu 0xf1ff
	v_add_co_ci_u32_e64 v3, null, s13, v3, s1
	v_add_co_u32 v4, s1, v0, v8
	s_wait_alu 0xf1ff
	v_add_co_ci_u32_e64 v5, null, v1, v9, s1
	;; [unrolled: 3-line block ×3, first 2 shown]
	s_or_b32 s1, s20, s3
	s_mov_b32 s3, 0
	s_branch .LBB117_4
.LBB117_2:                              ;   in Loop: Header=BB117_4 Depth=1
	s_mul_u64 s[10:11], s[22:23], s[2:3]
	s_wait_alu 0xfffe
	s_lshl_b64 s[10:11], s[10:11], 4
	s_wait_alu 0xfffe
	v_add_co_u32 v8, vcc_lo, v6, s10
	s_wait_alu 0xfffd
	v_add_co_ci_u32_e64 v9, null, s11, v7, vcc_lo
	global_store_b128 v[8:9], v[0:3], off
.LBB117_3:                              ;   in Loop: Header=BB117_4 Depth=1
	s_wait_alu 0xfffe
	s_or_b32 exec_lo, exec_lo, s8
	s_add_co_i32 s2, s2, 0x10000
	s_wait_alu 0xfffe
	s_cmp_lt_u32 s2, s24
	s_cbranch_scc0 .LBB117_7
.LBB117_4:                              ; =>This Inner Loop Header: Depth=1
	s_and_saveexec_b32 s8, s0
	s_cbranch_execz .LBB117_3
; %bb.5:                                ;   in Loop: Header=BB117_4 Depth=1
	v_mov_b32_e32 v2, 0
	v_dual_mov_b32 v3, 0 :: v_dual_mov_b32 v0, 0
	v_mov_b32_e32 v1, 0
	s_wait_alu 0xfffe
	s_and_not1_b32 vcc_lo, exec_lo, s1
	s_wait_alu 0xfffe
	s_cbranch_vccnz .LBB117_2
; %bb.6:                                ;   in Loop: Header=BB117_4 Depth=1
	s_mul_u64 s[10:11], s[14:15], s[2:3]
	s_wait_alu 0xfffe
	s_lshl_b64 s[10:11], s[10:11], 4
	s_wait_alu 0xfffe
	v_add_co_u32 v0, vcc_lo, v4, s10
	s_wait_alu 0xfffd
	v_add_co_ci_u32_e64 v1, null, s11, v5, vcc_lo
	global_load_b128 v[8:11], v[0:1], off
	s_wait_loadcnt 0x0
	v_mul_f64_e32 v[0:1], s[6:7], v[10:11]
	v_mul_f64_e32 v[2:3], s[4:5], v[10:11]
	s_delay_alu instid0(VALU_DEP_2) | instskip(NEXT) | instid1(VALU_DEP_2)
	v_fma_f64 v[0:1], s[4:5], v[8:9], -v[0:1]
	v_fma_f64 v[2:3], s[6:7], v[8:9], v[2:3]
	s_branch .LBB117_2
.LBB117_7:
	s_endpgm
	.section	.rodata,"a",@progbits
	.p2align	6, 0x0
	.amdhsa_kernel _ZN12_GLOBAL__N_120gemm_ex_scale_kernelILi32ELi32E19rocblas_complex_numIdEPKS2_PS2_EEviiT1_T2_lllT3_llli
		.amdhsa_group_segment_fixed_size 0
		.amdhsa_private_segment_fixed_size 0
		.amdhsa_kernarg_size 92
		.amdhsa_user_sgpr_count 2
		.amdhsa_user_sgpr_dispatch_ptr 0
		.amdhsa_user_sgpr_queue_ptr 0
		.amdhsa_user_sgpr_kernarg_segment_ptr 1
		.amdhsa_user_sgpr_dispatch_id 0
		.amdhsa_user_sgpr_private_segment_size 0
		.amdhsa_wavefront_size32 1
		.amdhsa_uses_dynamic_stack 0
		.amdhsa_enable_private_segment 0
		.amdhsa_system_sgpr_workgroup_id_x 1
		.amdhsa_system_sgpr_workgroup_id_y 1
		.amdhsa_system_sgpr_workgroup_id_z 1
		.amdhsa_system_sgpr_workgroup_info 0
		.amdhsa_system_vgpr_workitem_id 1
		.amdhsa_next_free_vgpr 12
		.amdhsa_next_free_sgpr 25
		.amdhsa_reserve_vcc 1
		.amdhsa_float_round_mode_32 0
		.amdhsa_float_round_mode_16_64 0
		.amdhsa_float_denorm_mode_32 3
		.amdhsa_float_denorm_mode_16_64 3
		.amdhsa_fp16_overflow 0
		.amdhsa_workgroup_processor_mode 1
		.amdhsa_memory_ordered 1
		.amdhsa_forward_progress 1
		.amdhsa_inst_pref_size 5
		.amdhsa_round_robin_scheduling 0
		.amdhsa_exception_fp_ieee_invalid_op 0
		.amdhsa_exception_fp_denorm_src 0
		.amdhsa_exception_fp_ieee_div_zero 0
		.amdhsa_exception_fp_ieee_overflow 0
		.amdhsa_exception_fp_ieee_underflow 0
		.amdhsa_exception_fp_ieee_inexact 0
		.amdhsa_exception_int_div_zero 0
	.end_amdhsa_kernel
	.section	.text._ZN12_GLOBAL__N_120gemm_ex_scale_kernelILi32ELi32E19rocblas_complex_numIdEPKS2_PS2_EEviiT1_T2_lllT3_llli,"axG",@progbits,_ZN12_GLOBAL__N_120gemm_ex_scale_kernelILi32ELi32E19rocblas_complex_numIdEPKS2_PS2_EEviiT1_T2_lllT3_llli,comdat
.Lfunc_end117:
	.size	_ZN12_GLOBAL__N_120gemm_ex_scale_kernelILi32ELi32E19rocblas_complex_numIdEPKS2_PS2_EEviiT1_T2_lllT3_llli, .Lfunc_end117-_ZN12_GLOBAL__N_120gemm_ex_scale_kernelILi32ELi32E19rocblas_complex_numIdEPKS2_PS2_EEviiT1_T2_lllT3_llli
                                        ; -- End function
	.set _ZN12_GLOBAL__N_120gemm_ex_scale_kernelILi32ELi32E19rocblas_complex_numIdEPKS2_PS2_EEviiT1_T2_lllT3_llli.num_vgpr, 12
	.set _ZN12_GLOBAL__N_120gemm_ex_scale_kernelILi32ELi32E19rocblas_complex_numIdEPKS2_PS2_EEviiT1_T2_lllT3_llli.num_agpr, 0
	.set _ZN12_GLOBAL__N_120gemm_ex_scale_kernelILi32ELi32E19rocblas_complex_numIdEPKS2_PS2_EEviiT1_T2_lllT3_llli.numbered_sgpr, 25
	.set _ZN12_GLOBAL__N_120gemm_ex_scale_kernelILi32ELi32E19rocblas_complex_numIdEPKS2_PS2_EEviiT1_T2_lllT3_llli.num_named_barrier, 0
	.set _ZN12_GLOBAL__N_120gemm_ex_scale_kernelILi32ELi32E19rocblas_complex_numIdEPKS2_PS2_EEviiT1_T2_lllT3_llli.private_seg_size, 0
	.set _ZN12_GLOBAL__N_120gemm_ex_scale_kernelILi32ELi32E19rocblas_complex_numIdEPKS2_PS2_EEviiT1_T2_lllT3_llli.uses_vcc, 1
	.set _ZN12_GLOBAL__N_120gemm_ex_scale_kernelILi32ELi32E19rocblas_complex_numIdEPKS2_PS2_EEviiT1_T2_lllT3_llli.uses_flat_scratch, 0
	.set _ZN12_GLOBAL__N_120gemm_ex_scale_kernelILi32ELi32E19rocblas_complex_numIdEPKS2_PS2_EEviiT1_T2_lllT3_llli.has_dyn_sized_stack, 0
	.set _ZN12_GLOBAL__N_120gemm_ex_scale_kernelILi32ELi32E19rocblas_complex_numIdEPKS2_PS2_EEviiT1_T2_lllT3_llli.has_recursion, 0
	.set _ZN12_GLOBAL__N_120gemm_ex_scale_kernelILi32ELi32E19rocblas_complex_numIdEPKS2_PS2_EEviiT1_T2_lllT3_llli.has_indirect_call, 0
	.section	.AMDGPU.csdata,"",@progbits
; Kernel info:
; codeLenInByte = 528
; TotalNumSgprs: 27
; NumVgprs: 12
; ScratchSize: 0
; MemoryBound: 0
; FloatMode: 240
; IeeeMode: 1
; LDSByteSize: 0 bytes/workgroup (compile time only)
; SGPRBlocks: 0
; VGPRBlocks: 1
; NumSGPRsForWavesPerEU: 27
; NumVGPRsForWavesPerEU: 12
; Occupancy: 16
; WaveLimiterHint : 0
; COMPUTE_PGM_RSRC2:SCRATCH_EN: 0
; COMPUTE_PGM_RSRC2:USER_SGPR: 2
; COMPUTE_PGM_RSRC2:TRAP_HANDLER: 0
; COMPUTE_PGM_RSRC2:TGID_X_EN: 1
; COMPUTE_PGM_RSRC2:TGID_Y_EN: 1
; COMPUTE_PGM_RSRC2:TGID_Z_EN: 1
; COMPUTE_PGM_RSRC2:TIDIG_COMP_CNT: 1
	.section	.text._ZN12_GLOBAL__N_127rocblas_gemm_batched_kernelI19rocblas_complex_numIdELi16ELi16ELi64ELi64ELi4ELi64ELi4ELi4ELi64ELc78ELc78EKS2_S3_S2_EEvlllT_PT11_llS6_llS4_PT12_llPT13_lli,"axG",@progbits,_ZN12_GLOBAL__N_127rocblas_gemm_batched_kernelI19rocblas_complex_numIdELi16ELi16ELi64ELi64ELi4ELi64ELi4ELi4ELi64ELc78ELc78EKS2_S3_S2_EEvlllT_PT11_llS6_llS4_PT12_llPT13_lli,comdat
	.globl	_ZN12_GLOBAL__N_127rocblas_gemm_batched_kernelI19rocblas_complex_numIdELi16ELi16ELi64ELi64ELi4ELi64ELi4ELi4ELi64ELc78ELc78EKS2_S3_S2_EEvlllT_PT11_llS6_llS4_PT12_llPT13_lli ; -- Begin function _ZN12_GLOBAL__N_127rocblas_gemm_batched_kernelI19rocblas_complex_numIdELi16ELi16ELi64ELi64ELi4ELi64ELi4ELi4ELi64ELc78ELc78EKS2_S3_S2_EEvlllT_PT11_llS6_llS4_PT12_llPT13_lli
	.p2align	8
	.type	_ZN12_GLOBAL__N_127rocblas_gemm_batched_kernelI19rocblas_complex_numIdELi16ELi16ELi64ELi64ELi4ELi64ELi4ELi4ELi64ELc78ELc78EKS2_S3_S2_EEvlllT_PT11_llS6_llS4_PT12_llPT13_lli,@function
_ZN12_GLOBAL__N_127rocblas_gemm_batched_kernelI19rocblas_complex_numIdELi16ELi16ELi64ELi64ELi4ELi64ELi4ELi4ELi64ELc78ELc78EKS2_S3_S2_EEvlllT_PT11_llS6_llS4_PT12_llPT13_lli: ; @_ZN12_GLOBAL__N_127rocblas_gemm_batched_kernelI19rocblas_complex_numIdELi16ELi16ELi64ELi64ELi4ELi64ELi4ELi4ELi64ELc78ELc78EKS2_S3_S2_EEvlllT_PT11_llS6_llS4_PT12_llPT13_lli
; %bb.0:
	s_load_b32 s26, s[0:1], 0x98
	s_lshr_b32 s2, ttmp7, 16
	s_wait_kmcnt 0x0
	s_cmp_ge_i32 s2, s26
	s_cbranch_scc1 .LBB118_11
; %bb.1:
	s_clause 0x2
	s_load_b512 s[4:19], s[0:1], 0x50
	s_load_b512 s[36:51], s[0:1], 0x10
	s_load_b64 s[20:21], s[0:1], 0x90
	v_and_b32_e32 v1, 0x3ff, v0
	v_bfe_u32 v2, v0, 10, 10
	s_lshl_b32 s3, ttmp7, 6
	s_mov_b32 s22, ttmp9
	s_and_b32 s3, s3, 0x3fffc0
	s_ashr_i32 s23, ttmp9, 31
	v_lshl_add_u32 v3, v2, 4, v1
	v_lshl_add_u32 v205, v2, 6, 0x1000
	v_add_nc_u32_e32 v2, s3, v2
	s_lshl_b64 s[0:1], s[22:23], 6
	v_lshlrev_b32_e32 v204, 4, v1
	v_and_b32_e32 v15, 63, v3
	v_lshrrev_b32_e32 v4, 2, v3
	v_add_co_u32 v5, s22, s0, v1
	v_lshrrev_b32_e32 v1, 6, v3
	s_delay_alu instid0(VALU_DEP_4)
	v_lshlrev_b32_e32 v3, 4, v15
	s_wait_kmcnt 0x0
	v_mad_co_u64_u32 v[16:17], null, v2, s18, 0
	v_lshlrev_b32_e32 v0, 4, v0
	v_add_nc_u32_e32 v14, s3, v4
	v_add_co_ci_u32_e64 v6, null, s1, 0, s22
	v_lshl_or_b32 v134, v1, 10, v3
	v_cmp_eq_f64_e64 s24, s[6:7], 0
	s_delay_alu instid0(VALU_DEP_4)
	v_mad_co_u64_u32 v[8:9], null, s50, v14, 0
	v_dual_mov_b32 v3, v17 :: v_dual_and_b32 v0, 48, v0
	scratch_store_b64 off, v[5:6], off offset:328 ; 8-byte Folded Spill
	v_mad_co_u64_u32 v[6:7], null, s44, v1, s[0:1]
	v_cmp_eq_f64_e64 s25, s[8:9], 0
	v_lshl_or_b32 v10, v4, 6, v0
	v_mad_co_u64_u32 v[4:5], null, v2, s12, 0
	v_cmp_gt_i64_e64 s0, s[36:37], 0
	s_lshl_b64 s[22:23], s[18:19], 4
	v_add_nc_u32_e32 v135, 0x1000, v10
	s_lshl_b64 s[4:5], s[4:5], 4
	s_mov_b32 s3, 0
	s_wait_alu 0xfffe
	s_lshl_b64 s[22:23], s[22:23], 4
	v_mad_co_u64_u32 v[10:11], null, v2, s13, v[5:6]
	v_mov_b32_e32 v5, v9
	v_mad_co_u64_u32 v[11:12], null, s45, v1, v[7:8]
	v_mad_co_u64_u32 v[12:13], null, v2, s19, v[3:4]
	s_delay_alu instid0(VALU_DEP_3) | instskip(SKIP_2) | instid1(VALU_DEP_1)
	v_mad_co_u64_u32 v[13:14], null, s51, v14, v[5:6]
	v_mov_b32_e32 v5, v10
	v_add_co_u32 v6, vcc_lo, v6, v15
	v_add_co_ci_u32_e64 v7, null, 0, v11, vcc_lo
	s_delay_alu instid0(VALU_DEP_3) | instskip(SKIP_2) | instid1(VALU_DEP_4)
	v_lshlrev_b64_e32 v[4:5], 4, v[4:5]
	v_mov_b32_e32 v9, v13
	v_mov_b32_e32 v17, v12
	v_lshlrev_b64_e32 v[6:7], 4, v[6:7]
	s_lshl_b64 s[18:19], s[12:13], 4
	s_lshl_b64 s[12:13], s[44:45], 6
	v_add_co_u32 v1, vcc_lo, s10, v4
	v_lshlrev_b64_e32 v[8:9], 4, v[8:9]
	s_wait_alu 0xfffe
	s_lshl_b64 s[18:19], s[18:19], 4
	scratch_store_b32 off, v1, off offset:360 ; 4-byte Folded Spill
	s_wait_alu 0xfffd
	v_add_co_ci_u32_e64 v1, null, s11, v5, vcc_lo
	s_and_b32 s27, s24, s25
	s_lshl_b64 s[10:11], s[46:47], 4
	scratch_store_b32 off, v1, off offset:364 ; 4-byte Folded Spill
	v_add_co_u32 v1, vcc_lo, s42, v6
	s_wait_alu 0xfffd
	v_add_co_ci_u32_e64 v2, null, s43, v7, vcc_lo
	v_add_co_u32 v0, vcc_lo, v8, v0
	s_clause 0x1
	scratch_store_b64 off, v[16:17], off offset:336
	scratch_store_b64 off, v[1:2], off offset:344
	s_wait_alu 0xfffd
	v_add_co_ci_u32_e64 v1, null, 0, v9, vcc_lo
	v_cndmask_b32_e64 v2, 0, 1, s0
	v_add_co_u32 v0, vcc_lo, s48, v0
	s_wait_alu 0xfffd
	s_delay_alu instid0(VALU_DEP_3) | instskip(NEXT) | instid1(VALU_DEP_3)
	v_add_co_ci_u32_e64 v1, null, s49, v1, vcc_lo
	v_cmp_ne_u32_e64 s0, 1, v2
	s_clause 0x2
	scratch_store_b64 off, v[0:1], off offset:352
	scratch_store_b32 off, v134, off offset:320
	scratch_store_b32 off, v135, off offset:324
	s_branch .LBB118_3
.LBB118_2:                              ;   in Loop: Header=BB118_3 Depth=1
	s_add_co_i32 s2, s2, 0x10000
	global_store_b64 v[74:75], v[72:73], off offset:8
	s_wait_alu 0xfffe
	s_cmp_lt_i32 s2, s26
	s_cbranch_scc0 .LBB118_11
.LBB118_3:                              ; =>This Loop Header: Depth=1
                                        ;     Child Loop BB118_5 Depth 2
	s_and_b32 vcc_lo, exec_lo, s0
	s_wait_alu 0xfffe
	s_cbranch_vccnz .LBB118_6
; %bb.4:                                ;   in Loop: Header=BB118_3 Depth=1
	scratch_load_b64 v[0:1], off, off offset:344 ; 8-byte Folded Reload
	v_mov_b32_e32 v254, 0
	v_mov_b32_e32 v206, 0
	v_mov_b32_e32 v30, 0
	v_dual_mov_b32 v31, 0 :: v_dual_mov_b32 v26, 0
	v_mov_b32_e32 v140, 0
	v_dual_mov_b32 v141, 0 :: v_dual_mov_b32 v138, 0
	v_mov_b32_e32 v72, 0
	;; [unrolled: 2-line block ×3, first 2 shown]
	v_mov_b32_e32 v73, 0
	v_mov_b32_e32 v177, 0
	;; [unrolled: 1-line block ×3, first 2 shown]
	s_mov_b64 s[24:25], 0
	v_mov_b32_e32 v24, 0
	v_dual_mov_b32 v25, 0 :: v_dual_mov_b32 v22, 0
	v_dual_mov_b32 v23, 0 :: v_dual_mov_b32 v18, 0
	;; [unrolled: 1-line block ×18, first 2 shown]
	v_mov_b32_e32 v179, 0
	s_wait_loadcnt 0x0
	v_mad_co_u64_u32 v[32:33], null, s10, s2, v[0:1]
	scratch_load_b64 v[0:1], off, off offset:352 ; 8-byte Folded Reload
	v_dual_mov_b32 v255, 0 :: v_dual_mov_b32 v20, v33
	s_delay_alu instid0(VALU_DEP_1) | instskip(SKIP_2) | instid1(VALU_DEP_3)
	v_mad_co_u64_u32 v[28:29], null, s11, s2, v[20:21]
	v_mov_b32_e32 v20, 0
	v_mov_b32_e32 v21, 0
	;; [unrolled: 1-line block ×3, first 2 shown]
	s_wait_loadcnt 0x0
	v_mad_co_u64_u32 v[34:35], null, s4, s2, v[0:1]
	v_mov_b32_e32 v0, 0
	v_mov_b32_e32 v1, 0
	scratch_store_b64 off, v[0:1], off offset:8 ; 8-byte Folded Spill
	v_mov_b32_e32 v0, 0
	v_mov_b32_e32 v1, 0
	;; [unrolled: 1-line block ×3, first 2 shown]
	scratch_store_b64 off, v[0:1], off      ; 8-byte Folded Spill
	v_mov_b32_e32 v0, 0
	v_mad_co_u64_u32 v[75:76], null, s5, s2, v[29:30]
	v_mov_b32_e32 v1, 0
	s_delay_alu instid0(VALU_DEP_2)
	v_dual_mov_b32 v35, v75 :: v_dual_mov_b32 v74, 0
	v_mov_b32_e32 v75, 0
.LBB118_5:                              ;   Parent Loop BB118_3 Depth=1
                                        ; =>  This Inner Loop Header: Depth=2
	s_clause 0x2
	scratch_store_b64 off, v[138:139], off offset:32
	scratch_store_b64 off, v[140:141], off offset:24
	scratch_store_b64 off, v[32:33], off offset:16
	global_load_b128 v[76:79], v[32:33], off
	global_load_b128 v[80:83], v[34:35], off
	v_dual_mov_b32 v38, v170 :: v_dual_mov_b32 v39, v171
	v_dual_mov_b32 v36, v176 :: v_dual_mov_b32 v37, v177
	v_dual_mov_b32 v32, v180 :: v_dual_mov_b32 v33, v181
	s_wait_alu 0xfffe
	s_add_nc_u64 s[24:25], s[24:25], 4
	s_wait_loadcnt 0x1
	ds_store_2addr_b64 v134, v[76:77], v[78:79] offset1:1
	s_wait_loadcnt 0x0
	ds_store_2addr_b64 v135, v[80:81], v[82:83] offset1:1
	s_wait_storecnt_dscnt 0x0
	s_barrier_signal -1
	s_barrier_wait -1
	global_inv scope:SCOPE_SE
	ds_load_b128 v[90:93], v205
	ds_load_b128 v[126:129], v204
	ds_load_b128 v[130:133], v204 offset:256
	ds_load_b128 v[154:157], v205 offset:16
	s_wait_dscnt 0x2
	v_mul_f64_e32 v[76:77], v[92:93], v[128:129]
	v_mul_f64_e32 v[78:79], v[90:91], v[128:129]
	s_wait_dscnt 0x1
	v_mul_f64_e32 v[80:81], v[92:93], v[132:133]
	v_mul_f64_e32 v[82:83], v[90:91], v[132:133]
	s_delay_alu instid0(VALU_DEP_4)
	v_fma_f64 v[28:29], v[90:91], v[126:127], -v[76:77]
	scratch_store_b64 off, v[28:29], off offset:40 ; 8-byte Folded Spill
	v_fma_f64 v[28:29], v[92:93], v[126:127], v[78:79]
	scratch_store_b64 off, v[28:29], off offset:48 ; 8-byte Folded Spill
	v_fma_f64 v[28:29], v[90:91], v[130:131], -v[80:81]
	scratch_store_b64 off, v[28:29], off offset:56 ; 8-byte Folded Spill
	v_fma_f64 v[28:29], v[92:93], v[130:131], v[82:83]
	scratch_store_b64 off, v[28:29], off offset:64 ; 8-byte Folded Spill
	ds_load_b128 v[134:137], v204 offset:512
	ds_load_b128 v[138:141], v204 offset:768
	;; [unrolled: 1-line block ×4, first 2 shown]
	s_wait_dscnt 0x3
	v_mul_f64_e32 v[84:85], v[92:93], v[136:137]
	v_mul_f64_e32 v[86:87], v[90:91], v[136:137]
	s_wait_dscnt 0x2
	v_mul_f64_e32 v[88:89], v[92:93], v[140:141]
	s_wait_dscnt 0x1
	v_mul_f64_e32 v[94:95], v[106:107], v[128:129]
	v_mul_f64_e32 v[96:97], v[108:109], v[132:133]
	;; [unrolled: 1-line block ×6, first 2 shown]
	v_fma_f64 v[28:29], v[90:91], v[134:135], -v[84:85]
	scratch_store_b64 off, v[28:29], off offset:72 ; 8-byte Folded Spill
	v_fma_f64 v[28:29], v[92:93], v[134:135], v[86:87]
	scratch_store_b64 off, v[28:29], off offset:80 ; 8-byte Folded Spill
	v_fma_f64 v[28:29], v[90:91], v[138:139], -v[88:89]
	v_mul_f64_e32 v[90:91], v[90:91], v[140:141]
	scratch_store_b64 off, v[28:29], off offset:88 ; 8-byte Folded Spill
	v_fma_f64 v[28:29], v[92:93], v[138:139], v[90:91]
	v_mul_f64_e32 v[92:93], v[108:109], v[128:129]
	scratch_store_b64 off, v[28:29], off offset:96 ; 8-byte Folded Spill
	v_fma_f64 v[28:29], v[106:107], v[126:127], -v[92:93]
	scratch_store_b64 off, v[28:29], off offset:104 ; 8-byte Folded Spill
	v_fma_f64 v[28:29], v[108:109], v[126:127], v[94:95]
	scratch_store_b64 off, v[28:29], off offset:112 ; 8-byte Folded Spill
	v_fma_f64 v[28:29], v[106:107], v[130:131], -v[96:97]
	scratch_store_b64 off, v[28:29], off offset:120 ; 8-byte Folded Spill
	v_fma_f64 v[28:29], v[108:109], v[130:131], v[98:99]
	;; [unrolled: 4-line block ×3, first 2 shown]
	scratch_store_b64 off, v[28:29], off offset:144 ; 8-byte Folded Spill
	v_fma_f64 v[28:29], v[106:107], v[138:139], -v[104:105]
	v_mul_f64_e32 v[106:107], v[106:107], v[140:141]
	scratch_store_b64 off, v[28:29], off offset:152 ; 8-byte Folded Spill
	v_fma_f64 v[28:29], v[108:109], v[138:139], v[106:107]
	scratch_store_b64 off, v[28:29], off offset:160 ; 8-byte Folded Spill
	ds_load_b128 v[122:125], v205 offset:2048
	ds_load_b128 v[186:189], v205 offset:2064
	s_wait_dscnt 0x1
	v_mul_f64_e32 v[108:109], v[124:125], v[128:129]
	v_mul_f64_e32 v[110:111], v[122:123], v[128:129]
	;; [unrolled: 1-line block ×7, first 2 shown]
	v_fma_f64 v[28:29], v[122:123], v[126:127], -v[108:109]
	scratch_store_b64 off, v[28:29], off offset:168 ; 8-byte Folded Spill
	v_fma_f64 v[28:29], v[124:125], v[126:127], v[110:111]
	v_dual_mov_b32 v111, v35 :: v_dual_mov_b32 v110, v34
	scratch_store_b64 off, v[28:29], off offset:176 ; 8-byte Folded Spill
	v_fma_f64 v[28:29], v[122:123], v[130:131], -v[112:113]
	scratch_store_b64 off, v[28:29], off offset:184 ; 8-byte Folded Spill
	v_fma_f64 v[28:29], v[124:125], v[130:131], v[114:115]
	scratch_store_b64 off, v[28:29], off offset:192 ; 8-byte Folded Spill
	v_fma_f64 v[28:29], v[122:123], v[134:135], -v[116:117]
	scratch_store_b64 off, v[28:29], off offset:200 ; 8-byte Folded Spill
	v_fma_f64 v[28:29], v[124:125], v[134:135], v[118:119]
	scratch_store_b64 off, v[28:29], off offset:208 ; 8-byte Folded Spill
	v_fma_f64 v[28:29], v[122:123], v[138:139], -v[120:121]
	v_mul_f64_e32 v[122:123], v[122:123], v[140:141]
	scratch_store_b64 off, v[28:29], off offset:216 ; 8-byte Folded Spill
	v_fma_f64 v[28:29], v[124:125], v[138:139], v[122:123]
	scratch_store_b64 off, v[28:29], off offset:224 ; 8-byte Folded Spill
	ds_load_b128 v[142:145], v205 offset:3072
	ds_load_b128 v[210:213], v205 offset:3088
	s_wait_dscnt 0x1
	v_mul_f64_e32 v[124:125], v[144:145], v[128:129]
	v_mul_f64_e32 v[128:129], v[142:143], v[128:129]
	s_delay_alu instid0(VALU_DEP_2)
	v_fma_f64 v[28:29], v[142:143], v[126:127], -v[124:125]
	scratch_store_b64 off, v[28:29], off offset:232 ; 8-byte Folded Spill
	v_fma_f64 v[28:29], v[144:145], v[126:127], v[128:129]
	v_mul_f64_e32 v[128:129], v[144:145], v[132:133]
	v_mul_f64_e32 v[132:133], v[142:143], v[132:133]
	scratch_store_b64 off, v[28:29], off offset:240 ; 8-byte Folded Spill
	v_fma_f64 v[28:29], v[142:143], v[130:131], -v[128:129]
	scratch_store_b64 off, v[28:29], off offset:248 ; 8-byte Folded Spill
	v_fma_f64 v[28:29], v[144:145], v[130:131], v[132:133]
	v_mul_f64_e32 v[132:133], v[144:145], v[136:137]
	v_mul_f64_e32 v[136:137], v[142:143], v[136:137]
	scratch_store_b64 off, v[28:29], off offset:256 ; 8-byte Folded Spill
	v_fma_f64 v[28:29], v[142:143], v[134:135], -v[132:133]
	scratch_store_b64 off, v[28:29], off offset:264 ; 8-byte Folded Spill
	v_fma_f64 v[28:29], v[144:145], v[134:135], v[136:137]
	v_mul_f64_e32 v[136:137], v[144:145], v[140:141]
	v_mul_f64_e32 v[140:141], v[142:143], v[140:141]
	scratch_store_b64 off, v[28:29], off offset:272 ; 8-byte Folded Spill
	v_fma_f64 v[28:29], v[142:143], v[138:139], -v[136:137]
	scratch_store_b64 off, v[28:29], off offset:280 ; 8-byte Folded Spill
	v_fma_f64 v[28:29], v[144:145], v[138:139], v[140:141]
	scratch_store_b64 off, v[28:29], off offset:288 ; 8-byte Folded Spill
	ds_load_b128 v[190:193], v204 offset:1024
	ds_load_b128 v[194:197], v204 offset:1280
	s_wait_dscnt 0x1
	v_mul_f64_e32 v[140:141], v[156:157], v[192:193]
	s_wait_dscnt 0x0
	v_mul_f64_e32 v[144:145], v[156:157], v[196:197]
	v_mul_f64_e32 v[142:143], v[154:155], v[192:193]
	;; [unrolled: 1-line block ×8, first 2 shown]
	v_fma_f64 v[28:29], v[154:155], v[190:191], -v[140:141]
	v_fma_f64 v[144:145], v[154:155], v[194:195], -v[144:145]
	v_fma_f64 v[142:143], v[156:157], v[190:191], v[142:143]
	v_fma_f64 v[146:147], v[156:157], v[194:195], v[146:147]
	v_fma_f64 v[160:161], v[170:171], v[194:195], -v[160:161]
	v_fma_f64 v[176:177], v[186:187], v[194:195], -v[176:177]
	v_fma_f64 v[174:175], v[188:189], v[190:191], v[174:175]
	scratch_store_b64 off, v[28:29], off offset:296 ; 8-byte Folded Spill
	ds_load_b128 v[198:201], v204 offset:1536
	ds_load_b128 v[214:217], v204 offset:1792
	s_wait_dscnt 0x1
	v_mul_f64_e32 v[148:149], v[156:157], v[200:201]
	s_wait_dscnt 0x0
	v_mul_f64_e32 v[152:153], v[156:157], v[216:217]
	v_mul_f64_e32 v[150:151], v[154:155], v[200:201]
	;; [unrolled: 1-line block ×9, first 2 shown]
	v_fma_f64 v[148:149], v[154:155], v[198:199], -v[148:149]
	v_fma_f64 v[152:153], v[154:155], v[214:215], -v[152:153]
	v_mul_f64_e32 v[154:155], v[154:155], v[216:217]
	v_fma_f64 v[150:151], v[156:157], v[198:199], v[150:151]
	v_fma_f64 v[168:169], v[170:171], v[214:215], -v[168:169]
	v_fma_f64 v[166:167], v[172:173], v[198:199], v[166:167]
	v_fma_f64 v[180:181], v[186:187], v[198:199], -v[180:181]
	v_fma_f64 v[184:185], v[186:187], v[214:215], -v[184:185]
	v_fma_f64 v[182:183], v[188:189], v[198:199], v[182:183]
	v_fma_f64 v[202:203], v[212:213], v[214:215], v[202:203]
	;; [unrolled: 1-line block ×3, first 2 shown]
	v_mul_f64_e32 v[156:157], v[172:173], v[192:193]
	s_delay_alu instid0(VALU_DEP_1)
	v_fma_f64 v[28:29], v[170:171], v[190:191], -v[156:157]
	v_fma_f64 v[156:157], v[170:171], v[198:199], -v[164:165]
	v_mul_f64_e32 v[170:171], v[170:171], v[216:217]
	scratch_store_b64 off, v[28:29], off offset:304 ; 8-byte Folded Spill
	v_fma_f64 v[28:29], v[172:173], v[190:191], v[158:159]
	v_fma_f64 v[158:159], v[172:173], v[194:195], v[162:163]
	;; [unrolled: 1-line block ×3, first 2 shown]
	v_mul_f64_e32 v[172:173], v[188:189], v[192:193]
	scratch_store_b64 off, v[28:29], off offset:312 ; 8-byte Folded Spill
	v_dual_mov_b32 v28, v178 :: v_dual_mov_b32 v29, v179
	v_fma_f64 v[172:173], v[186:187], v[190:191], -v[172:173]
	v_mul_f64_e32 v[178:179], v[186:187], v[196:197]
	v_mul_f64_e32 v[186:187], v[186:187], v[216:217]
	s_delay_alu instid0(VALU_DEP_2) | instskip(NEXT) | instid1(VALU_DEP_2)
	v_fma_f64 v[178:179], v[188:189], v[194:195], v[178:179]
	v_fma_f64 v[186:187], v[188:189], v[214:215], v[186:187]
	v_mul_f64_e32 v[188:189], v[212:213], v[192:193]
	v_mul_f64_e32 v[192:193], v[210:211], v[192:193]
	s_delay_alu instid0(VALU_DEP_2) | instskip(NEXT) | instid1(VALU_DEP_2)
	v_fma_f64 v[188:189], v[210:211], v[190:191], -v[188:189]
	v_fma_f64 v[190:191], v[212:213], v[190:191], v[192:193]
	v_mul_f64_e32 v[192:193], v[212:213], v[196:197]
	v_mul_f64_e32 v[196:197], v[210:211], v[196:197]
	s_delay_alu instid0(VALU_DEP_2) | instskip(NEXT) | instid1(VALU_DEP_2)
	v_fma_f64 v[192:193], v[210:211], v[194:195], -v[192:193]
	;; [unrolled: 5-line block ×3, first 2 shown]
	v_fma_f64 v[198:199], v[212:213], v[198:199], v[200:201]
	v_mul_f64_e32 v[200:201], v[212:213], v[216:217]
	s_delay_alu instid0(VALU_DEP_1)
	v_fma_f64 v[200:201], v[210:211], v[214:215], -v[200:201]
	ds_load_b128 v[210:213], v205 offset:32
	ds_load_b128 v[214:217], v204 offset:2048
	;; [unrolled: 1-line block ×4, first 2 shown]
	s_wait_dscnt 0x2
	v_mul_f64_e32 v[226:227], v[212:213], v[216:217]
	s_delay_alu instid0(VALU_DEP_1) | instskip(SKIP_1) | instid1(VALU_DEP_1)
	v_fma_f64 v[138:139], v[210:211], v[214:215], -v[226:227]
	v_mul_f64_e32 v[226:227], v[210:211], v[216:217]
	v_fma_f64 v[136:137], v[212:213], v[214:215], v[226:227]
	s_wait_dscnt 0x1
	v_mul_f64_e32 v[226:227], v[212:213], v[220:221]
	s_delay_alu instid0(VALU_DEP_1) | instskip(SKIP_1) | instid1(VALU_DEP_1)
	v_fma_f64 v[134:135], v[210:211], v[218:219], -v[226:227]
	v_mul_f64_e32 v[226:227], v[210:211], v[220:221]
	v_fma_f64 v[132:133], v[212:213], v[218:219], v[226:227]
	ds_load_b128 v[226:229], v204 offset:2560
	ds_load_b128 v[230:233], v204 offset:2816
	s_wait_dscnt 0x1
	v_mul_f64_e32 v[234:235], v[212:213], v[228:229]
	s_delay_alu instid0(VALU_DEP_1) | instskip(SKIP_1) | instid1(VALU_DEP_1)
	v_fma_f64 v[130:131], v[210:211], v[226:227], -v[234:235]
	v_mul_f64_e32 v[234:235], v[210:211], v[228:229]
	v_fma_f64 v[128:129], v[212:213], v[226:227], v[234:235]
	s_wait_dscnt 0x0
	v_mul_f64_e32 v[234:235], v[212:213], v[232:233]
	s_delay_alu instid0(VALU_DEP_1) | instskip(SKIP_1) | instid1(VALU_DEP_1)
	v_fma_f64 v[126:127], v[210:211], v[230:231], -v[234:235]
	v_mul_f64_e32 v[210:211], v[210:211], v[232:233]
	v_fma_f64 v[124:125], v[212:213], v[230:231], v[210:211]
	ds_load_b128 v[210:213], v205 offset:1056
	ds_load_b128 v[234:237], v205 offset:1072
	s_wait_dscnt 0x1
	v_mul_f64_e32 v[238:239], v[212:213], v[216:217]
	s_delay_alu instid0(VALU_DEP_1) | instskip(SKIP_1) | instid1(VALU_DEP_1)
	v_fma_f64 v[164:165], v[210:211], v[214:215], -v[238:239]
	v_mul_f64_e32 v[238:239], v[210:211], v[216:217]
	v_fma_f64 v[162:163], v[212:213], v[214:215], v[238:239]
	v_mul_f64_e32 v[238:239], v[212:213], v[220:221]
	s_delay_alu instid0(VALU_DEP_1) | instskip(SKIP_1) | instid1(VALU_DEP_1)
	v_fma_f64 v[122:123], v[210:211], v[218:219], -v[238:239]
	v_mul_f64_e32 v[238:239], v[210:211], v[220:221]
	v_fma_f64 v[120:121], v[212:213], v[218:219], v[238:239]
	;; [unrolled: 5-line block ×4, first 2 shown]
	ds_load_b128 v[210:213], v205 offset:2080
	ds_load_b128 v[238:241], v205 offset:2096
	s_wait_dscnt 0x1
	v_mul_f64_e32 v[242:243], v[212:213], v[216:217]
	s_delay_alu instid0(VALU_DEP_1) | instskip(SKIP_1) | instid1(VALU_DEP_1)
	v_fma_f64 v[108:109], v[210:211], v[214:215], -v[242:243]
	v_mul_f64_e32 v[242:243], v[210:211], v[216:217]
	v_fma_f64 v[106:107], v[212:213], v[214:215], v[242:243]
	v_mul_f64_e32 v[242:243], v[212:213], v[220:221]
	s_delay_alu instid0(VALU_DEP_1) | instskip(SKIP_1) | instid1(VALU_DEP_1)
	v_fma_f64 v[104:105], v[210:211], v[218:219], -v[242:243]
	v_mul_f64_e32 v[242:243], v[210:211], v[220:221]
	v_fma_f64 v[102:103], v[212:213], v[218:219], v[242:243]
	;; [unrolled: 5-line block ×4, first 2 shown]
	ds_load_b128 v[210:213], v205 offset:3104
	ds_load_b128 v[242:245], v205 offset:3120
	s_wait_dscnt 0x1
	v_mul_f64_e32 v[34:35], v[212:213], v[216:217]
	v_mul_f64_e32 v[216:217], v[210:211], v[216:217]
	s_delay_alu instid0(VALU_DEP_2) | instskip(NEXT) | instid1(VALU_DEP_2)
	v_fma_f64 v[92:93], v[210:211], v[214:215], -v[34:35]
	v_fma_f64 v[90:91], v[212:213], v[214:215], v[216:217]
	v_mul_f64_e32 v[214:215], v[212:213], v[220:221]
	s_delay_alu instid0(VALU_DEP_1) | instskip(SKIP_1) | instid1(VALU_DEP_1)
	v_fma_f64 v[88:89], v[210:211], v[218:219], -v[214:215]
	v_mul_f64_e32 v[214:215], v[210:211], v[220:221]
	v_fma_f64 v[40:41], v[212:213], v[218:219], v[214:215]
	v_mul_f64_e32 v[214:215], v[212:213], v[228:229]
	s_delay_alu instid0(VALU_DEP_1) | instskip(SKIP_1) | instid1(VALU_DEP_1)
	v_fma_f64 v[42:43], v[210:211], v[226:227], -v[214:215]
	v_mul_f64_e32 v[214:215], v[210:211], v[228:229]
	;; [unrolled: 5-line block ×3, first 2 shown]
	v_fma_f64 v[230:231], v[212:213], v[230:231], v[210:211]
	ds_load_b128 v[210:213], v204 offset:3072
	ds_load_b128 v[214:217], v204 offset:3328
	s_wait_dscnt 0x1
	v_mul_f64_e32 v[218:219], v[224:225], v[212:213]
	s_wait_dscnt 0x0
	v_mul_f64_e32 v[62:63], v[236:237], v[216:217]
	v_mul_f64_e32 v[60:61], v[234:235], v[212:213]
	;; [unrolled: 1-line block ×6, first 2 shown]
	v_fma_f64 v[232:233], v[222:223], v[210:211], -v[218:219]
	v_mul_f64_e32 v[218:219], v[222:223], v[212:213]
	v_fma_f64 v[62:63], v[234:235], v[214:215], -v[62:63]
	v_fma_f64 v[60:61], v[236:237], v[210:211], v[60:61]
	v_fma_f64 v[64:65], v[236:237], v[214:215], v[64:65]
	v_fma_f64 v[78:79], v[238:239], v[214:215], -v[78:79]
	v_fma_f64 v[76:77], v[240:241], v[210:211], v[76:77]
	v_fma_f64 v[80:81], v[240:241], v[214:215], v[80:81]
	v_fma_f64 v[48:49], v[224:225], v[210:211], v[218:219]
	v_mul_f64_e32 v[218:219], v[224:225], v[216:217]
	s_delay_alu instid0(VALU_DEP_1) | instskip(SKIP_1) | instid1(VALU_DEP_1)
	v_fma_f64 v[50:51], v[222:223], v[214:215], -v[218:219]
	v_mul_f64_e32 v[218:219], v[222:223], v[216:217]
	v_fma_f64 v[52:53], v[224:225], v[214:215], v[218:219]
	ds_load_b128 v[218:221], v204 offset:3584
	ds_load_b128 v[226:229], v204 offset:3840
	scratch_load_b64 v[34:35], off, off offset:40 th:TH_LOAD_LU ; 8-byte Folded Reload
	s_wait_dscnt 0x1
	v_mul_f64_e32 v[54:55], v[224:225], v[220:221]
	s_wait_dscnt 0x0
	v_mul_f64_e32 v[58:59], v[224:225], v[228:229]
	v_mul_f64_e32 v[56:57], v[222:223], v[220:221]
	;; [unrolled: 1-line block ×8, first 2 shown]
	v_fma_f64 v[54:55], v[222:223], v[218:219], -v[54:55]
	v_fma_f64 v[58:59], v[222:223], v[226:227], -v[58:59]
	v_mul_f64_e32 v[222:223], v[222:223], v[228:229]
	v_fma_f64 v[56:57], v[224:225], v[218:219], v[56:57]
	v_fma_f64 v[66:67], v[234:235], v[218:219], -v[66:67]
	v_fma_f64 v[70:71], v[234:235], v[226:227], -v[70:71]
	v_fma_f64 v[68:69], v[236:237], v[218:219], v[68:69]
	v_fma_f64 v[82:83], v[238:239], v[218:219], -v[82:83]
	v_fma_f64 v[86:87], v[238:239], v[226:227], -v[86:87]
	v_fma_f64 v[84:85], v[240:241], v[218:219], v[84:85]
	v_fma_f64 v[222:223], v[224:225], v[226:227], v[222:223]
	v_mul_f64_e32 v[224:225], v[236:237], v[212:213]
	s_delay_alu instid0(VALU_DEP_1) | instskip(SKIP_1) | instid1(VALU_DEP_1)
	v_fma_f64 v[224:225], v[234:235], v[210:211], -v[224:225]
	v_mul_f64_e32 v[234:235], v[234:235], v[228:229]
	v_fma_f64 v[234:235], v[236:237], v[226:227], v[234:235]
	v_mul_f64_e32 v[236:237], v[240:241], v[212:213]
	s_delay_alu instid0(VALU_DEP_1) | instskip(SKIP_1) | instid1(VALU_DEP_1)
	v_fma_f64 v[236:237], v[238:239], v[210:211], -v[236:237]
	v_mul_f64_e32 v[238:239], v[238:239], v[228:229]
	v_fma_f64 v[238:239], v[240:241], v[226:227], v[238:239]
	v_mul_f64_e32 v[240:241], v[244:245], v[212:213]
	v_mul_f64_e32 v[212:213], v[242:243], v[212:213]
	s_delay_alu instid0(VALU_DEP_2) | instskip(NEXT) | instid1(VALU_DEP_2)
	v_fma_f64 v[240:241], v[242:243], v[210:211], -v[240:241]
	v_fma_f64 v[210:211], v[244:245], v[210:211], v[212:213]
	v_mul_f64_e32 v[212:213], v[244:245], v[216:217]
	v_mul_f64_e32 v[216:217], v[242:243], v[216:217]
	s_delay_alu instid0(VALU_DEP_2) | instskip(NEXT) | instid1(VALU_DEP_2)
	v_fma_f64 v[212:213], v[242:243], v[214:215], -v[212:213]
	;; [unrolled: 5-line block ×4, first 2 shown]
	v_fma_f64 v[226:227], v[244:245], v[226:227], v[228:229]
	s_wait_loadcnt 0x0
	v_add_f64_e32 v[228:229], v[28:29], v[34:35]
	scratch_load_b64 v[28:29], off, off offset:48 th:TH_LOAD_LU ; 8-byte Folded Reload
	s_wait_loadcnt 0x0
	v_add_f64_e32 v[242:243], v[28:29], v[32:33]
	scratch_load_b64 v[28:29], off, off offset:56 th:TH_LOAD_LU ; 8-byte Folded Reload
	v_add_f64_e32 v[142:143], v[142:143], v[242:243]
	s_delay_alu instid0(VALU_DEP_1)
	v_add_f64_e32 v[136:137], v[136:137], v[142:143]
	s_wait_loadcnt 0x0
	v_add_f64_e32 v[244:245], v[38:39], v[28:29]
	scratch_load_b64 v[28:29], off, off offset:64 th:TH_LOAD_LU ; 8-byte Folded Reload
	v_dual_mov_b32 v38, v204 :: v_dual_mov_b32 v39, v205
	v_add_f64_e32 v[144:145], v[244:245], v[144:145]
	s_delay_alu instid0(VALU_DEP_1)
	v_add_f64_e32 v[134:135], v[144:145], v[134:135]
	s_wait_loadcnt 0x0
	v_add_f64_e32 v[204:205], v[28:29], v[208:209]
	scratch_load_b64 v[28:29], off, off offset:72 th:TH_LOAD_LU ; 8-byte Folded Reload
	v_add_f64_e32 v[146:147], v[146:147], v[204:205]
	v_dual_mov_b32 v205, v39 :: v_dual_mov_b32 v204, v38
	s_delay_alu instid0(VALU_DEP_2) | instskip(SKIP_4) | instid1(VALU_DEP_1)
	v_add_f64_e32 v[132:133], v[132:133], v[146:147]
	s_wait_loadcnt 0x0
	v_add_f64_e32 v[246:247], v[246:247], v[28:29]
	scratch_load_b64 v[28:29], off, off offset:80 th:TH_LOAD_LU ; 8-byte Folded Reload
	v_add_f64_e32 v[148:149], v[246:247], v[148:149]
	v_add_f64_e32 v[130:131], v[148:149], v[130:131]
	s_delay_alu instid0(VALU_DEP_1) | instskip(SKIP_4) | instid1(VALU_DEP_1)
	v_add_f64_e32 v[246:247], v[130:131], v[54:55]
	s_wait_loadcnt 0x0
	v_add_f64_e32 v[248:249], v[28:29], v[248:249]
	scratch_load_b64 v[28:29], off, off offset:88 th:TH_LOAD_LU ; 8-byte Folded Reload
	v_add_f64_e32 v[150:151], v[150:151], v[248:249]
	v_add_f64_e32 v[128:129], v[128:129], v[150:151]
	s_delay_alu instid0(VALU_DEP_1) | instskip(SKIP_4) | instid1(VALU_DEP_1)
	v_add_f64_e32 v[248:249], v[56:57], v[128:129]
	s_wait_loadcnt 0x0
	v_add_f64_e32 v[250:251], v[250:251], v[28:29]
	scratch_load_b64 v[28:29], off, off offset:96 th:TH_LOAD_LU ; 8-byte Folded Reload
	v_add_f64_e32 v[152:153], v[250:251], v[152:153]
	v_add_f64_e32 v[126:127], v[152:153], v[126:127]
	s_delay_alu instid0(VALU_DEP_1) | instskip(SKIP_4) | instid1(VALU_DEP_1)
	v_add_f64_e32 v[250:251], v[126:127], v[58:59]
	s_wait_loadcnt 0x0
	v_add_f64_e32 v[252:253], v[28:29], v[252:253]
	scratch_load_b64 v[28:29], off, off offset:104 th:TH_LOAD_LU ; 8-byte Folded Reload
	v_add_f64_e32 v[154:155], v[154:155], v[252:253]
	v_add_f64_e32 v[124:125], v[124:125], v[154:155]
	s_delay_alu instid0(VALU_DEP_1)
	v_add_f64_e32 v[252:253], v[222:223], v[124:125]
	s_wait_loadcnt 0x0
	v_add_f64_e32 v[0:1], v[0:1], v[28:29]
	scratch_load_b64 v[28:29], off, off offset:112 th:TH_LOAD_LU ; 8-byte Folded Reload
	s_wait_loadcnt 0x0
	v_add_f64_e32 v[2:3], v[28:29], v[2:3]
	scratch_load_b64 v[28:29], off, off offset:120 th:TH_LOAD_LU ; 8-byte Folded Reload
	;; [unrolled: 3-line block ×3, first 2 shown]
	v_add_f64_e32 v[4:5], v[4:5], v[160:161]
	s_delay_alu instid0(VALU_DEP_1) | instskip(NEXT) | instid1(VALU_DEP_1)
	v_add_f64_e32 v[4:5], v[4:5], v[122:123]
	v_add_f64_e32 v[4:5], v[4:5], v[62:63]
	s_wait_loadcnt 0x0
	v_add_f64_e32 v[6:7], v[28:29], v[6:7]
	scratch_load_b64 v[28:29], off, off offset:136 th:TH_LOAD_LU ; 8-byte Folded Reload
	v_add_f64_e32 v[6:7], v[158:159], v[6:7]
	s_delay_alu instid0(VALU_DEP_1) | instskip(NEXT) | instid1(VALU_DEP_1)
	v_add_f64_e32 v[6:7], v[120:121], v[6:7]
	v_add_f64_e32 v[6:7], v[64:65], v[6:7]
	s_wait_loadcnt 0x0
	v_add_f64_e32 v[8:9], v[8:9], v[28:29]
	scratch_load_b64 v[28:29], off, off offset:144 th:TH_LOAD_LU ; 8-byte Folded Reload
	;; [unrolled: 7-line block ×5, first 2 shown]
	v_add_f64_e32 v[14:15], v[170:171], v[14:15]
	v_add_f64_e32 v[170:171], v[134:135], v[50:51]
	s_delay_alu instid0(VALU_DEP_2) | instskip(NEXT) | instid1(VALU_DEP_1)
	v_add_f64_e32 v[14:15], v[112:113], v[14:15]
	v_add_f64_e32 v[14:15], v[234:235], v[14:15]
	s_wait_loadcnt 0x0
	v_add_f64_e32 v[16:17], v[16:17], v[28:29]
	scratch_load_b64 v[28:29], off, off offset:176 th:TH_LOAD_LU ; 8-byte Folded Reload
	v_add_f64_e32 v[16:17], v[16:17], v[172:173]
	s_delay_alu instid0(VALU_DEP_1) | instskip(NEXT) | instid1(VALU_DEP_1)
	v_add_f64_e32 v[16:17], v[16:17], v[108:109]
	v_add_f64_e32 v[16:17], v[16:17], v[236:237]
	s_wait_loadcnt 0x0
	v_add_f64_e32 v[18:19], v[28:29], v[18:19]
	scratch_load_b64 v[28:29], off, off offset:184 th:TH_LOAD_LU ; 8-byte Folded Reload
	v_add_f64_e32 v[18:19], v[174:175], v[18:19]
	s_delay_alu instid0(VALU_DEP_1) | instskip(NEXT) | instid1(VALU_DEP_1)
	;; [unrolled: 7-line block ×4, first 2 shown]
	v_add_f64_e32 v[22:23], v[102:103], v[22:23]
	v_add_f64_e32 v[22:23], v[80:81], v[22:23]
	s_wait_loadcnt 0x0
	v_add_f64_e32 v[24:25], v[24:25], v[28:29]
	scratch_load_b64 v[28:29], off, off offset:208 th:TH_LOAD_LU ; 8-byte Folded Reload
	v_add_f64_e32 v[24:25], v[24:25], v[180:181]
	v_add_f64_e32 v[180:181], v[48:49], v[136:137]
	s_delay_alu instid0(VALU_DEP_2) | instskip(NEXT) | instid1(VALU_DEP_1)
	v_add_f64_e32 v[24:25], v[24:25], v[100:101]
	v_add_f64_e32 v[24:25], v[24:25], v[82:83]
	s_wait_loadcnt 0x0
	v_add_f64_e32 v[26:27], v[28:29], v[26:27]
	s_clause 0x1
	scratch_load_b64 v[28:29], off, off th:TH_LOAD_LU
	scratch_load_b64 v[32:33], off, off offset:216 th:TH_LOAD_LU
	v_add_f64_e32 v[26:27], v[182:183], v[26:27]
	s_delay_alu instid0(VALU_DEP_1) | instskip(NEXT) | instid1(VALU_DEP_1)
	v_add_f64_e32 v[26:27], v[98:99], v[26:27]
	v_add_f64_e32 v[26:27], v[84:85], v[26:27]
	s_wait_loadcnt 0x0
	v_add_f64_e32 v[28:29], v[28:29], v[32:33]
	scratch_load_b64 v[32:33], off, off offset:224 th:TH_LOAD_LU ; 8-byte Folded Reload
	v_add_f64_e32 v[28:29], v[28:29], v[184:185]
	s_delay_alu instid0(VALU_DEP_1) | instskip(NEXT) | instid1(VALU_DEP_1)
	v_add_f64_e32 v[28:29], v[28:29], v[96:97]
	v_add_f64_e32 v[28:29], v[28:29], v[86:87]
	s_wait_loadcnt 0x0
	v_add_f64_e32 v[30:31], v[32:33], v[30:31]
	s_clause 0x1
	scratch_load_b64 v[32:33], off, off offset:8 th:TH_LOAD_LU
	scratch_load_b64 v[34:35], off, off offset:232 th:TH_LOAD_LU
	v_add_f64_e32 v[30:31], v[186:187], v[30:31]
	s_delay_alu instid0(VALU_DEP_1) | instskip(NEXT) | instid1(VALU_DEP_1)
	v_add_f64_e32 v[30:31], v[94:95], v[30:31]
	v_add_f64_e32 v[30:31], v[238:239], v[30:31]
	s_wait_loadcnt 0x0
	v_add_f64_e32 v[32:33], v[32:33], v[34:35]
	scratch_load_b64 v[34:35], off, off offset:240 th:TH_LOAD_LU ; 8-byte Folded Reload
	v_add_f64_e32 v[32:33], v[32:33], v[188:189]
	s_delay_alu instid0(VALU_DEP_1) | instskip(SKIP_4) | instid1(VALU_DEP_1)
	v_add_f64_e32 v[32:33], v[32:33], v[92:93]
	s_wait_loadcnt 0x0
	v_add_f64_e32 v[34:35], v[34:35], v[206:207]
	scratch_load_b64 v[206:207], off, off offset:248 th:TH_LOAD_LU ; 8-byte Folded Reload
	v_add_f64_e32 v[34:35], v[190:191], v[34:35]
	v_add_f64_e32 v[34:35], v[90:91], v[34:35]
	s_wait_loadcnt 0x0
	v_add_f64_e32 v[36:37], v[36:37], v[206:207]
	scratch_load_b64 v[206:207], off, off offset:256 th:TH_LOAD_LU ; 8-byte Folded Reload
	v_add_f64_e32 v[36:37], v[36:37], v[192:193]
	s_delay_alu instid0(VALU_DEP_1) | instskip(NEXT) | instid1(VALU_DEP_1)
	v_add_f64_e32 v[36:37], v[36:37], v[88:89]
	v_add_f64_e32 v[176:177], v[36:37], v[212:213]
	s_wait_loadcnt 0x0
	v_add_f64_e32 v[72:73], v[206:207], v[72:73]
	scratch_load_b64 v[206:207], off, off offset:264 th:TH_LOAD_LU ; 8-byte Folded Reload
	v_add_f64_e32 v[72:73], v[194:195], v[72:73]
	s_wait_loadcnt 0x0
	v_add_f64_e32 v[254:255], v[254:255], v[206:207]
	s_clause 0x1
	scratch_load_b64 v[206:207], off, off offset:32 th:TH_LOAD_LU
	scratch_load_b64 v[208:209], off, off offset:272 th:TH_LOAD_LU
	v_add_f64_e32 v[156:157], v[254:255], v[196:197]
	s_wait_loadcnt 0x0
	v_add_f64_e32 v[208:209], v[208:209], v[206:207]
	s_clause 0x2
	scratch_load_b64 v[206:207], off, off offset:24 th:TH_LOAD_LU
	scratch_load_b64 v[140:141], off, off offset:280 th:TH_LOAD_LU
	;; [unrolled: 1-line block ×3, first 2 shown]
	v_add_f64_e32 v[158:159], v[198:199], v[208:209]
	v_add_f64_e32 v[208:209], v[52:53], v[132:133]
	s_wait_loadcnt 0x1
	v_add_f64_e32 v[206:207], v[206:207], v[140:141]
	scratch_load_b64 v[140:141], off, off offset:288 th:TH_LOAD_LU ; 8-byte Folded Reload
	s_wait_loadcnt 0x1
	v_add_f64_e32 v[0:1], v[0:1], v[38:39]
	scratch_load_b64 v[38:39], off, off offset:312 th:TH_LOAD_LU ; 8-byte Folded Reload
	v_add_f64_e32 v[160:161], v[206:207], v[200:201]
	v_add_f64_e32 v[206:207], v[210:211], v[34:35]
	v_dual_mov_b32 v34, v110 :: v_dual_mov_b32 v35, v111
	v_add_f64_e32 v[0:1], v[0:1], v[164:165]
	s_delay_alu instid0(VALU_DEP_2) | instskip(SKIP_1) | instid1(VALU_DEP_3)
	v_add_co_u32 v34, vcc_lo, v34, 64
	s_wait_alu 0xfffd
	v_add_co_ci_u32_e64 v35, null, 0, v35, vcc_lo
	s_delay_alu instid0(VALU_DEP_3)
	v_add_f64_e32 v[0:1], v[0:1], v[224:225]
	s_wait_loadcnt 0x1
	v_add_f64_e32 v[74:75], v[140:141], v[74:75]
	s_clause 0x2
	scratch_load_b64 v[140:141], off, off offset:296 th:TH_LOAD_LU
	scratch_load_b32 v135, off, off offset:324
	scratch_load_b32 v134, off, off offset:320
	scratch_store_b64 off, v[28:29], off    ; 8-byte Folded Spill
	v_add_f64_e32 v[28:29], v[32:33], v[240:241]
	scratch_load_b64 v[32:33], off, off offset:16 th:TH_LOAD_LU ; 8-byte Folded Reload
	s_wait_loadcnt 0x4
	v_add_f64_e32 v[2:3], v[38:39], v[2:3]
	v_add_f64_e32 v[38:39], v[40:41], v[72:73]
	;; [unrolled: 1-line block ×6, first 2 shown]
	scratch_store_b64 off, v[28:29], off offset:8 ; 8-byte Folded Spill
	s_wait_loadcnt 0x0
	s_wait_storecnt 0x0
	s_barrier_signal -1
	s_barrier_wait -1
	global_inv scope:SCOPE_SE
	v_add_f64_e32 v[2:3], v[162:163], v[2:3]
	v_add_f64_e32 v[72:73], v[214:215], v[38:39]
	;; [unrolled: 1-line block ×4, first 2 shown]
	s_delay_alu instid0(VALU_DEP_4) | instskip(NEXT) | instid1(VALU_DEP_2)
	v_add_f64_e32 v[2:3], v[60:61], v[2:3]
	v_add_f64_e32 v[74:75], v[226:227], v[46:47]
	v_add_f64_e32 v[140:141], v[228:229], v[140:141]
	v_add_co_u32 v32, s1, v32, s12
	s_wait_alu 0xf1ff
	v_add_co_ci_u32_e64 v33, null, s13, v33, s1
	s_wait_alu 0xfffe
	v_cmp_lt_i64_e64 s1, s[24:25], s[36:37]
	s_and_b32 vcc_lo, exec_lo, s1
	v_add_f64_e32 v[138:139], v[140:141], v[138:139]
	v_add_f64_e32 v[140:141], v[44:45], v[220:221]
	s_delay_alu instid0(VALU_DEP_2)
	v_add_f64_e32 v[178:179], v[138:139], v[232:233]
	v_add_f64_e32 v[138:139], v[218:219], v[42:43]
	s_wait_alu 0xfffe
	s_cbranch_vccnz .LBB118_5
	s_branch .LBB118_7
.LBB118_6:                              ;   in Loop: Header=BB118_3 Depth=1
	v_mov_b32_e32 v28, 0
	v_dual_mov_b32 v29, 0 :: v_dual_mov_b32 v30, 0
	v_mov_b32_e32 v178, 0
	v_mov_b32_e32 v170, 0
	;; [unrolled: 1-line block ×3, first 2 shown]
	scratch_store_b64 off, v[28:29], off    ; 8-byte Folded Spill
	v_mov_b32_e32 v28, 0
	v_dual_mov_b32 v29, 0 :: v_dual_mov_b32 v206, 0
	v_mov_b32_e32 v250, 0
	v_mov_b32_e32 v0, 0
	;; [unrolled: 1-line block ×10, first 2 shown]
	v_dual_mov_b32 v140, 0 :: v_dual_mov_b32 v179, 0
	v_dual_mov_b32 v180, 0 :: v_dual_mov_b32 v171, 0
	;; [unrolled: 1-line block ×15, first 2 shown]
	v_mov_b32_e32 v209, 0
	v_mov_b32_e32 v249, 0
	;; [unrolled: 1-line block ×11, first 2 shown]
	scratch_store_b64 off, v[28:29], off offset:8 ; 8-byte Folded Spill
	v_mov_b32_e32 v207, 0
	v_mov_b32_e32 v73, 0
	;; [unrolled: 1-line block ×4, first 2 shown]
.LBB118_7:                              ;   in Loop: Header=BB118_3 Depth=1
	s_mul_u64 s[24:25], s[20:21], s[2:3]
	v_dual_mov_b32 v151, v23 :: v_dual_mov_b32 v150, v22
	v_dual_mov_b32 v149, v27 :: v_dual_mov_b32 v148, v26
	;; [unrolled: 1-line block ×14, first 2 shown]
	s_wait_alu 0xfffe
	s_lshl_b64 s[24:25], s[24:25], 4
	s_and_not1_b32 vcc_lo, exec_lo, s27
	s_wait_alu 0xfffe
	s_add_nc_u64 s[24:25], s[16:17], s[24:25]
	s_mov_b32 s1, -1
                                        ; implicit-def: $vgpr72_vgpr73
                                        ; implicit-def: $vgpr74_vgpr75
	s_cbranch_vccz .LBB118_9
; %bb.8:                                ;   in Loop: Header=BB118_3 Depth=1
	s_wait_alu 0xfffe
	s_and_not1_b32 vcc_lo, exec_lo, s1
	s_wait_alu 0xfffe
	s_cbranch_vccnz .LBB118_2
	s_branch .LBB118_10
.LBB118_9:                              ;   in Loop: Header=BB118_3 Depth=1
	v_mul_f64_e32 v[10:11], s[38:39], v[248:249]
	v_dual_mov_b32 v18, v168 :: v_dual_mov_b32 v19, v169
	v_mul_f64_e32 v[12:13], s[40:41], v[252:253]
	v_dual_mov_b32 v69, v17 :: v_dual_mov_b32 v68, v16
	s_clause 0x1
	scratch_load_b64 v[32:33], off, off offset:336
	scratch_load_b64 v[34:35], off, off offset:328
	v_mul_f64_e32 v[16:17], s[40:41], v[18:19]
	v_mul_f64_e32 v[18:19], s[38:39], v[18:19]
	v_mul_f64_e32 v[8:9], s[40:41], v[248:249]
	v_mul_f64_e32 v[2:3], s[38:39], v[180:181]
	v_mul_f64_e32 v[4:5], s[40:41], v[208:209]
	v_mul_f64_e32 v[6:7], s[38:39], v[208:209]
	v_mul_f64_e32 v[0:1], s[40:41], v[180:181]
	v_dual_mov_b32 v22, v164 :: v_dual_mov_b32 v23, v165
	v_dual_mov_b32 v67, v21 :: v_dual_mov_b32 v66, v20
	;; [unrolled: 1-line block ×3, first 2 shown]
	s_delay_alu instid0(VALU_DEP_3) | instskip(SKIP_2) | instid1(VALU_DEP_4)
	v_mul_f64_e32 v[20:21], s[40:41], v[22:23]
	v_mul_f64_e32 v[22:23], s[38:39], v[22:23]
	v_dual_mov_b32 v65, v25 :: v_dual_mov_b32 v64, v24
	v_mul_f64_e32 v[24:25], s[40:41], v[26:27]
	v_dual_mov_b32 v38, v152 :: v_dual_mov_b32 v39, v153
	v_dual_mov_b32 v46, v148 :: v_dual_mov_b32 v47, v149
	v_mul_f64_e32 v[14:15], s[38:39], v[252:253]
	v_mul_f64_e32 v[26:27], s[38:39], v[26:27]
	v_dual_mov_b32 v30, v156 :: v_dual_mov_b32 v31, v157
	v_dual_mov_b32 v42, v150 :: v_dual_mov_b32 v43, v151
	;; [unrolled: 1-line block ×3, first 2 shown]
	v_fma_f64 v[84:85], s[40:41], v[246:247], v[10:11]
	v_dual_mov_b32 v10, v166 :: v_dual_mov_b32 v11, v167
	v_fma_f64 v[86:87], s[38:39], v[250:251], -v[12:13]
	scratch_load_b64 v[12:13], off, off     ; 8-byte Folded Reload
	v_dual_mov_b32 v58, v142 :: v_dual_mov_b32 v59, v143
	v_mul_f64_e32 v[36:37], s[40:41], v[38:39]
	v_mul_f64_e32 v[38:39], s[38:39], v[38:39]
	v_fma_f64 v[92:93], s[40:41], v[10:11], v[18:19]
	scratch_load_b64 v[18:19], off, off offset:8 ; 8-byte Folded Reload
	v_fma_f64 v[82:83], s[38:39], v[246:247], -v[8:9]
	v_dual_mov_b32 v8, v136 :: v_dual_mov_b32 v9, v137
	v_mul_f64_e32 v[44:45], s[40:41], v[46:47]
	v_mul_f64_e32 v[46:47], s[38:39], v[46:47]
	;; [unrolled: 1-line block ×4, first 2 shown]
	v_fma_f64 v[76:77], s[40:41], v[178:179], v[2:3]
	v_fma_f64 v[78:79], s[38:39], v[170:171], -v[4:5]
	v_fma_f64 v[80:81], s[40:41], v[170:171], v[6:7]
	v_mul_f64_e32 v[2:3], s[40:41], v[138:139]
	v_mul_f64_e32 v[4:5], s[38:39], v[138:139]
	;; [unrolled: 1-line block ×11, first 2 shown]
	v_fma_f64 v[74:75], s[38:39], v[178:179], -v[0:1]
	v_mul_f64_e32 v[0:1], s[38:39], v[58:59]
	v_fma_f64 v[90:91], s[38:39], v[10:11], -v[16:17]
	v_dual_mov_b32 v10, v162 :: v_dual_mov_b32 v11, v163
	v_dual_mov_b32 v16, v68 :: v_dual_mov_b32 v17, v69
	v_fma_f64 v[88:89], s[40:41], v[250:251], v[14:15]
	s_delay_alu instid0(VALU_DEP_3)
	v_fma_f64 v[94:95], s[38:39], v[10:11], -v[20:21]
	v_fma_f64 v[96:97], s[40:41], v[10:11], v[22:23]
	v_dual_mov_b32 v10, v158 :: v_dual_mov_b32 v11, v159
	v_dual_mov_b32 v20, v66 :: v_dual_mov_b32 v21, v67
	v_fma_f64 v[106:107], s[38:39], v[16:17], -v[36:37]
	v_fma_f64 v[108:109], s[40:41], v[16:17], v[38:39]
	s_delay_alu instid0(VALU_DEP_4) | instskip(SKIP_3) | instid1(VALU_DEP_3)
	v_fma_f64 v[98:99], s[38:39], v[10:11], -v[24:25]
	v_dual_mov_b32 v24, v64 :: v_dual_mov_b32 v25, v65
	v_fma_f64 v[100:101], s[40:41], v[10:11], v[26:27]
	v_dual_mov_b32 v10, v154 :: v_dual_mov_b32 v11, v155
	v_fma_f64 v[114:115], s[38:39], v[24:25], -v[44:45]
	v_fma_f64 v[116:117], s[40:41], v[24:25], v[46:47]
	v_fma_f64 v[130:131], s[38:39], v[254:255], -v[2:3]
	v_fma_f64 v[132:133], s[40:41], v[254:255], v[4:5]
	v_fma_f64 v[72:73], s[40:41], v[140:141], v[8:9]
	v_fma_f64 v[102:103], s[38:39], v[10:11], -v[28:29]
	v_fma_f64 v[104:105], s[40:41], v[10:11], v[30:31]
	v_fma_f64 v[110:111], s[38:39], v[20:21], -v[40:41]
	;; [unrolled: 2-line block ×4, first 2 shown]
	s_wait_loadcnt 0x3
	v_lshlrev_b64_e32 v[32:33], 4, v[32:33]
	s_wait_loadcnt 0x2
	v_lshlrev_b64_e32 v[34:35], 4, v[34:35]
	s_wait_alu 0xfffe
	s_delay_alu instid0(VALU_DEP_2) | instskip(SKIP_2) | instid1(VALU_DEP_2)
	v_add_co_u32 v32, vcc_lo, s24, v32
	s_wait_alu 0xfffd
	v_add_co_ci_u32_e64 v33, null, s25, v33, vcc_lo
	v_add_co_u32 v10, vcc_lo, v32, v34
	s_wait_alu 0xfffd
	s_delay_alu instid0(VALU_DEP_2)
	v_add_co_ci_u32_e64 v11, null, v33, v35, vcc_lo
	v_add_co_u32 v14, vcc_lo, v32, s22
	s_wait_alu 0xfffd
	v_add_co_ci_u32_e64 v15, null, s23, v33, vcc_lo
	s_wait_loadcnt 0x1
	v_fma_f64 v[118:119], s[38:39], v[12:13], -v[48:49]
	v_fma_f64 v[120:121], s[40:41], v[12:13], v[50:51]
	v_add_co_u32 v12, vcc_lo, v14, v34
	s_wait_alu 0xfffd
	v_add_co_ci_u32_e64 v13, null, v15, v35, vcc_lo
	s_wait_loadcnt 0x0
	v_fma_f64 v[122:123], s[38:39], v[18:19], -v[52:53]
	v_fma_f64 v[124:125], s[40:41], v[18:19], v[54:55]
	v_add_co_u32 v4, vcc_lo, v14, s22
	s_wait_alu 0xfffd
	v_add_co_ci_u32_e64 v5, null, s23, v15, vcc_lo
	s_clause 0x5
	global_store_b128 v[10:11], v[74:77], off
	global_store_b128 v[10:11], v[78:81], off offset:256
	global_store_b128 v[10:11], v[82:85], off offset:512
	global_store_b128 v[10:11], v[86:89], off offset:768
	global_store_b128 v[12:13], v[90:93], off
	global_store_b128 v[12:13], v[94:97], off offset:256
	v_add_co_u32 v2, vcc_lo, v4, v34
	s_wait_alu 0xfffd
	v_add_co_ci_u32_e64 v3, null, v5, v35, vcc_lo
	v_add_co_u32 v4, vcc_lo, v4, s22
	s_wait_alu 0xfffd
	v_add_co_ci_u32_e64 v5, null, s23, v5, vcc_lo
	s_clause 0x1
	global_store_b128 v[12:13], v[98:101], off offset:512
	global_store_b128 v[12:13], v[102:105], off offset:768
	v_add_co_u32 v4, vcc_lo, v4, v34
	s_wait_alu 0xfffd
	v_add_co_ci_u32_e64 v5, null, v5, v35, vcc_lo
	s_clause 0x1
	global_store_b128 v[2:3], v[106:109], off
	global_store_b128 v[2:3], v[110:113], off offset:256
	v_add_co_u32 v74, vcc_lo, 0x300, v4
	s_wait_alu 0xfffd
	v_add_co_ci_u32_e64 v75, null, 0, v5, vcc_lo
	s_clause 0x5
	global_store_b128 v[2:3], v[114:117], off offset:512
	global_store_b128 v[2:3], v[118:121], off offset:768
	global_store_b128 v[4:5], v[122:125], off
	global_store_b128 v[4:5], v[126:129], off offset:256
	global_store_b128 v[4:5], v[130:133], off offset:512
	global_store_b64 v[4:5], v[0:1], off offset:768
	s_cbranch_execnz .LBB118_2
.LBB118_10:                             ;   in Loop: Header=BB118_3 Depth=1
	s_clause 0x1
	scratch_load_b64 v[0:1], off, off offset:328
	scratch_load_b32 v2, off, off offset:360
	s_mul_u64 s[28:29], s[14:15], s[2:3]
	v_mul_f64_e32 v[4:5], s[40:41], v[180:181]
	s_wait_alu 0xfffe
	s_lshl_b64 s[28:29], s[28:29], 4
	v_mul_f64_e32 v[6:7], s[38:39], v[180:181]
	v_dual_mov_b32 v19, v17 :: v_dual_mov_b32 v18, v16
	s_delay_alu instid0(VALU_DEP_3) | instskip(NEXT) | instid1(VALU_DEP_3)
	v_fma_f64 v[4:5], s[38:39], v[178:179], -v[4:5]
	v_fma_f64 v[6:7], s[40:41], v[178:179], v[6:7]
	s_wait_loadcnt 0x1
	v_lshlrev_b64_e32 v[0:1], 4, v[0:1]
	s_wait_loadcnt 0x0
	s_wait_alu 0xfffe
	v_add_co_u32 v14, vcc_lo, v2, s28
	scratch_load_b32 v2, off, off offset:364 ; 4-byte Folded Reload
	s_wait_loadcnt 0x0
	s_wait_alu 0xfffd
	v_add_co_ci_u32_e64 v15, null, s29, v2, vcc_lo
	v_add_co_u32 v2, vcc_lo, v14, v0
	s_wait_alu 0xfffd
	s_delay_alu instid0(VALU_DEP_2) | instskip(SKIP_4) | instid1(VALU_DEP_2)
	v_add_co_ci_u32_e64 v3, null, v15, v1, vcc_lo
	global_load_b128 v[72:75], v[2:3], off
	s_wait_loadcnt 0x0
	v_mul_f64_e32 v[8:9], s[8:9], v[74:75]
	v_mul_f64_e32 v[10:11], s[6:7], v[74:75]
	v_fma_f64 v[8:9], s[6:7], v[72:73], -v[8:9]
	s_delay_alu instid0(VALU_DEP_2) | instskip(NEXT) | instid1(VALU_DEP_2)
	v_fma_f64 v[10:11], s[8:9], v[72:73], v[10:11]
	v_add_f64_e32 v[68:69], v[4:5], v[8:9]
	scratch_load_b64 v[4:5], off, off offset:336 ; 8-byte Folded Reload
	v_add_f64_e32 v[70:71], v[6:7], v[10:11]
	v_mul_f64_e32 v[6:7], s[40:41], v[208:209]
	v_mul_f64_e32 v[8:9], s[38:39], v[208:209]
	s_delay_alu instid0(VALU_DEP_2) | instskip(NEXT) | instid1(VALU_DEP_2)
	v_fma_f64 v[6:7], s[38:39], v[170:171], -v[6:7]
	v_fma_f64 v[8:9], s[40:41], v[170:171], v[8:9]
	s_wait_loadcnt 0x0
	v_lshlrev_b64_e32 v[4:5], 4, v[4:5]
	s_delay_alu instid0(VALU_DEP_1) | instskip(SKIP_1) | instid1(VALU_DEP_2)
	v_add_co_u32 v16, vcc_lo, s24, v4
	s_wait_alu 0xfffd
	v_add_co_ci_u32_e64 v17, null, s25, v5, vcc_lo
	s_delay_alu instid0(VALU_DEP_2) | instskip(SKIP_1) | instid1(VALU_DEP_2)
	v_add_co_u32 v4, vcc_lo, v16, v0
	s_wait_alu 0xfffd
	v_add_co_ci_u32_e64 v5, null, v17, v1, vcc_lo
	v_add_co_u32 v14, vcc_lo, v14, s18
	s_wait_alu 0xfffd
	v_add_co_ci_u32_e64 v15, null, s19, v15, vcc_lo
	global_store_b128 v[4:5], v[68:71], off
	global_load_b128 v[68:71], v[2:3], off offset:256
	s_wait_loadcnt 0x0
	v_mul_f64_e32 v[10:11], s[8:9], v[70:71]
	v_mul_f64_e32 v[12:13], s[6:7], v[70:71]
	s_delay_alu instid0(VALU_DEP_2) | instskip(NEXT) | instid1(VALU_DEP_2)
	v_fma_f64 v[10:11], s[6:7], v[68:69], -v[10:11]
	v_fma_f64 v[12:13], s[8:9], v[68:69], v[12:13]
	s_delay_alu instid0(VALU_DEP_2) | instskip(NEXT) | instid1(VALU_DEP_2)
	v_add_f64_e32 v[64:65], v[6:7], v[10:11]
	v_add_f64_e32 v[66:67], v[8:9], v[12:13]
	v_mul_f64_e32 v[6:7], s[40:41], v[248:249]
	v_mul_f64_e32 v[8:9], s[38:39], v[248:249]
	global_store_b128 v[4:5], v[64:67], off offset:256
	global_load_b128 v[64:67], v[2:3], off offset:512
	v_fma_f64 v[6:7], s[38:39], v[246:247], -v[6:7]
	v_fma_f64 v[8:9], s[40:41], v[246:247], v[8:9]
	s_wait_loadcnt 0x0
	v_mul_f64_e32 v[10:11], s[8:9], v[66:67]
	v_mul_f64_e32 v[12:13], s[6:7], v[66:67]
	s_delay_alu instid0(VALU_DEP_2) | instskip(NEXT) | instid1(VALU_DEP_2)
	v_fma_f64 v[10:11], s[6:7], v[64:65], -v[10:11]
	v_fma_f64 v[12:13], s[8:9], v[64:65], v[12:13]
	s_delay_alu instid0(VALU_DEP_2) | instskip(NEXT) | instid1(VALU_DEP_2)
	v_add_f64_e32 v[60:61], v[6:7], v[10:11]
	v_add_f64_e32 v[62:63], v[8:9], v[12:13]
	v_mul_f64_e32 v[6:7], s[38:39], v[252:253]
	global_store_b128 v[4:5], v[60:63], off offset:512
	global_load_b128 v[60:63], v[2:3], off offset:768
	v_mul_f64_e32 v[2:3], s[40:41], v[252:253]
	v_fma_f64 v[6:7], s[40:41], v[250:251], v[6:7]
	s_delay_alu instid0(VALU_DEP_2) | instskip(SKIP_3) | instid1(VALU_DEP_2)
	v_fma_f64 v[2:3], s[38:39], v[250:251], -v[2:3]
	s_wait_loadcnt 0x0
	v_mul_f64_e32 v[8:9], s[8:9], v[62:63]
	v_mul_f64_e32 v[10:11], s[6:7], v[62:63]
	v_fma_f64 v[8:9], s[6:7], v[60:61], -v[8:9]
	s_delay_alu instid0(VALU_DEP_2) | instskip(NEXT) | instid1(VALU_DEP_2)
	v_fma_f64 v[10:11], s[8:9], v[60:61], v[10:11]
	v_add_f64_e32 v[56:57], v[2:3], v[8:9]
	s_delay_alu instid0(VALU_DEP_2)
	v_add_f64_e32 v[58:59], v[6:7], v[10:11]
	v_add_co_u32 v2, vcc_lo, v14, v0
	s_wait_alu 0xfffd
	v_add_co_ci_u32_e64 v3, null, v15, v1, vcc_lo
	v_mul_f64_e32 v[6:7], s[38:39], v[168:169]
	v_add_co_u32 v16, vcc_lo, v16, s22
	s_wait_alu 0xfffd
	v_add_co_ci_u32_e64 v17, null, s23, v17, vcc_lo
	global_store_b128 v[4:5], v[56:59], off offset:768
	global_load_b128 v[56:59], v[2:3], off
	v_mul_f64_e32 v[4:5], s[40:41], v[168:169]
	v_fma_f64 v[6:7], s[40:41], v[166:167], v[6:7]
	s_delay_alu instid0(VALU_DEP_2) | instskip(SKIP_3) | instid1(VALU_DEP_2)
	v_fma_f64 v[4:5], s[38:39], v[166:167], -v[4:5]
	s_wait_loadcnt 0x0
	v_mul_f64_e32 v[8:9], s[8:9], v[58:59]
	v_mul_f64_e32 v[10:11], s[6:7], v[58:59]
	v_fma_f64 v[8:9], s[6:7], v[56:57], -v[8:9]
	s_delay_alu instid0(VALU_DEP_2) | instskip(NEXT) | instid1(VALU_DEP_2)
	v_fma_f64 v[10:11], s[8:9], v[56:57], v[10:11]
	v_add_f64_e32 v[52:53], v[4:5], v[8:9]
	s_delay_alu instid0(VALU_DEP_2)
	v_add_f64_e32 v[54:55], v[6:7], v[10:11]
	v_add_co_u32 v4, vcc_lo, v16, v0
	s_wait_alu 0xfffd
	v_add_co_ci_u32_e64 v5, null, v17, v1, vcc_lo
	v_mul_f64_e32 v[6:7], s[40:41], v[164:165]
	v_mul_f64_e32 v[8:9], s[38:39], v[164:165]
	v_add_co_u32 v14, vcc_lo, v14, s18
	s_wait_alu 0xfffd
	v_add_co_ci_u32_e64 v15, null, s19, v15, vcc_lo
	global_store_b128 v[4:5], v[52:55], off
	global_load_b128 v[52:55], v[2:3], off offset:256
	v_fma_f64 v[6:7], s[38:39], v[162:163], -v[6:7]
	v_fma_f64 v[8:9], s[40:41], v[162:163], v[8:9]
	s_wait_loadcnt 0x0
	v_mul_f64_e32 v[10:11], s[8:9], v[54:55]
	v_mul_f64_e32 v[12:13], s[6:7], v[54:55]
	s_delay_alu instid0(VALU_DEP_2) | instskip(NEXT) | instid1(VALU_DEP_2)
	v_fma_f64 v[10:11], s[6:7], v[52:53], -v[10:11]
	v_fma_f64 v[12:13], s[8:9], v[52:53], v[12:13]
	s_delay_alu instid0(VALU_DEP_2) | instskip(NEXT) | instid1(VALU_DEP_2)
	v_add_f64_e32 v[48:49], v[6:7], v[10:11]
	v_add_f64_e32 v[50:51], v[8:9], v[12:13]
	v_mul_f64_e32 v[6:7], s[40:41], v[160:161]
	v_mul_f64_e32 v[8:9], s[38:39], v[160:161]
	global_store_b128 v[4:5], v[48:51], off offset:256
	global_load_b128 v[48:51], v[2:3], off offset:512
	v_fma_f64 v[6:7], s[38:39], v[158:159], -v[6:7]
	v_fma_f64 v[8:9], s[40:41], v[158:159], v[8:9]
	s_wait_loadcnt 0x0
	v_mul_f64_e32 v[10:11], s[8:9], v[50:51]
	v_mul_f64_e32 v[12:13], s[6:7], v[50:51]
	s_delay_alu instid0(VALU_DEP_2) | instskip(NEXT) | instid1(VALU_DEP_2)
	v_fma_f64 v[10:11], s[6:7], v[48:49], -v[10:11]
	v_fma_f64 v[12:13], s[8:9], v[48:49], v[12:13]
	s_delay_alu instid0(VALU_DEP_2) | instskip(NEXT) | instid1(VALU_DEP_2)
	v_add_f64_e32 v[44:45], v[6:7], v[10:11]
	v_add_f64_e32 v[46:47], v[8:9], v[12:13]
	v_mul_f64_e32 v[6:7], s[38:39], v[156:157]
	global_store_b128 v[4:5], v[44:47], off offset:512
	global_load_b128 v[44:47], v[2:3], off offset:768
	v_mul_f64_e32 v[2:3], s[40:41], v[156:157]
	v_fma_f64 v[6:7], s[40:41], v[154:155], v[6:7]
	s_delay_alu instid0(VALU_DEP_2) | instskip(SKIP_3) | instid1(VALU_DEP_2)
	v_fma_f64 v[2:3], s[38:39], v[154:155], -v[2:3]
	s_wait_loadcnt 0x0
	v_mul_f64_e32 v[8:9], s[8:9], v[46:47]
	v_mul_f64_e32 v[10:11], s[6:7], v[46:47]
	v_fma_f64 v[8:9], s[6:7], v[44:45], -v[8:9]
	s_delay_alu instid0(VALU_DEP_2) | instskip(NEXT) | instid1(VALU_DEP_2)
	v_fma_f64 v[10:11], s[8:9], v[44:45], v[10:11]
	v_add_f64_e32 v[40:41], v[2:3], v[8:9]
	s_delay_alu instid0(VALU_DEP_2)
	v_add_f64_e32 v[42:43], v[6:7], v[10:11]
	v_add_co_u32 v2, vcc_lo, v14, v0
	s_wait_alu 0xfffd
	v_add_co_ci_u32_e64 v3, null, v15, v1, vcc_lo
	v_mul_f64_e32 v[6:7], s[38:39], v[152:153]
	v_add_co_u32 v16, vcc_lo, v16, s22
	s_wait_alu 0xfffd
	v_add_co_ci_u32_e64 v17, null, s23, v17, vcc_lo
	global_store_b128 v[4:5], v[40:43], off offset:768
	global_load_b128 v[40:43], v[2:3], off
	v_mul_f64_e32 v[4:5], s[40:41], v[152:153]
	v_fma_f64 v[6:7], s[40:41], v[18:19], v[6:7]
	s_delay_alu instid0(VALU_DEP_2) | instskip(SKIP_4) | instid1(VALU_DEP_2)
	v_fma_f64 v[4:5], s[38:39], v[18:19], -v[4:5]
	scratch_load_b64 v[18:19], off, off offset:8 th:TH_LOAD_LU ; 8-byte Folded Reload
	s_wait_loadcnt 0x1
	v_mul_f64_e32 v[8:9], s[8:9], v[42:43]
	v_mul_f64_e32 v[10:11], s[6:7], v[42:43]
	v_fma_f64 v[8:9], s[6:7], v[40:41], -v[8:9]
	s_delay_alu instid0(VALU_DEP_2) | instskip(NEXT) | instid1(VALU_DEP_2)
	v_fma_f64 v[10:11], s[8:9], v[40:41], v[10:11]
	v_add_f64_e32 v[36:37], v[4:5], v[8:9]
	s_delay_alu instid0(VALU_DEP_2)
	v_add_f64_e32 v[38:39], v[6:7], v[10:11]
	v_add_co_u32 v4, vcc_lo, v16, v0
	s_wait_alu 0xfffd
	v_add_co_ci_u32_e64 v5, null, v17, v1, vcc_lo
	v_mul_f64_e32 v[6:7], s[40:41], v[150:151]
	v_mul_f64_e32 v[8:9], s[38:39], v[150:151]
	global_store_b128 v[4:5], v[36:39], off
	global_load_b128 v[36:39], v[2:3], off offset:256
	v_fma_f64 v[6:7], s[38:39], v[20:21], -v[6:7]
	v_fma_f64 v[8:9], s[40:41], v[20:21], v[8:9]
	scratch_load_b64 v[20:21], off, off th:TH_LOAD_LU ; 8-byte Folded Reload
	s_wait_loadcnt 0x1
	v_mul_f64_e32 v[10:11], s[8:9], v[38:39]
	v_mul_f64_e32 v[12:13], s[6:7], v[38:39]
	s_delay_alu instid0(VALU_DEP_2) | instskip(NEXT) | instid1(VALU_DEP_2)
	v_fma_f64 v[10:11], s[6:7], v[36:37], -v[10:11]
	v_fma_f64 v[12:13], s[8:9], v[36:37], v[12:13]
	s_delay_alu instid0(VALU_DEP_2) | instskip(NEXT) | instid1(VALU_DEP_2)
	v_add_f64_e32 v[32:33], v[6:7], v[10:11]
	v_add_f64_e32 v[34:35], v[8:9], v[12:13]
	v_mul_f64_e32 v[6:7], s[40:41], v[148:149]
	v_mul_f64_e32 v[8:9], s[38:39], v[148:149]
	global_store_b128 v[4:5], v[32:35], off offset:256
	global_load_b128 v[32:35], v[2:3], off offset:512
	v_fma_f64 v[6:7], s[38:39], v[24:25], -v[6:7]
	v_fma_f64 v[8:9], s[40:41], v[24:25], v[8:9]
	s_wait_loadcnt 0x0
	v_mul_f64_e32 v[10:11], s[8:9], v[34:35]
	v_mul_f64_e32 v[12:13], s[6:7], v[34:35]
	s_delay_alu instid0(VALU_DEP_2) | instskip(NEXT) | instid1(VALU_DEP_2)
	v_fma_f64 v[10:11], s[6:7], v[32:33], -v[10:11]
	v_fma_f64 v[12:13], s[8:9], v[32:33], v[12:13]
	s_delay_alu instid0(VALU_DEP_2) | instskip(NEXT) | instid1(VALU_DEP_2)
	v_add_f64_e32 v[28:29], v[6:7], v[10:11]
	v_add_f64_e32 v[30:31], v[8:9], v[12:13]
	v_mul_f64_e32 v[6:7], s[38:39], v[146:147]
	global_store_b128 v[4:5], v[28:31], off offset:512
	global_load_b128 v[28:31], v[2:3], off offset:768
	v_mul_f64_e32 v[2:3], s[40:41], v[146:147]
	v_fma_f64 v[6:7], s[40:41], v[20:21], v[6:7]
	s_delay_alu instid0(VALU_DEP_2) | instskip(SKIP_3) | instid1(VALU_DEP_2)
	v_fma_f64 v[2:3], s[38:39], v[20:21], -v[2:3]
	s_wait_loadcnt 0x0
	v_mul_f64_e32 v[8:9], s[8:9], v[30:31]
	v_mul_f64_e32 v[10:11], s[6:7], v[30:31]
	v_fma_f64 v[8:9], s[6:7], v[28:29], -v[8:9]
	s_delay_alu instid0(VALU_DEP_2) | instskip(NEXT) | instid1(VALU_DEP_2)
	v_fma_f64 v[10:11], s[8:9], v[28:29], v[10:11]
	v_add_f64_e32 v[24:25], v[2:3], v[8:9]
	s_delay_alu instid0(VALU_DEP_2) | instskip(SKIP_4) | instid1(VALU_DEP_3)
	v_add_f64_e32 v[26:27], v[6:7], v[10:11]
	v_add_co_u32 v2, vcc_lo, v14, s18
	s_wait_alu 0xfffd
	v_add_co_ci_u32_e64 v3, null, s19, v15, vcc_lo
	v_mul_f64_e32 v[6:7], s[38:39], v[206:207]
	v_add_co_u32 v2, vcc_lo, v2, v0
	s_wait_alu 0xfffd
	s_delay_alu instid0(VALU_DEP_3) | instskip(SKIP_4) | instid1(VALU_DEP_2)
	v_add_co_ci_u32_e64 v3, null, v3, v1, vcc_lo
	global_store_b128 v[4:5], v[24:27], off offset:768
	global_load_b128 v[24:27], v[2:3], off
	v_mul_f64_e32 v[4:5], s[40:41], v[206:207]
	v_fma_f64 v[6:7], s[40:41], v[18:19], v[6:7]
	v_fma_f64 v[4:5], s[38:39], v[18:19], -v[4:5]
	s_wait_loadcnt 0x0
	v_mul_f64_e32 v[8:9], s[8:9], v[26:27]
	v_mul_f64_e32 v[10:11], s[6:7], v[26:27]
	s_delay_alu instid0(VALU_DEP_2) | instskip(NEXT) | instid1(VALU_DEP_2)
	v_fma_f64 v[8:9], s[6:7], v[24:25], -v[8:9]
	v_fma_f64 v[10:11], s[8:9], v[24:25], v[10:11]
	s_delay_alu instid0(VALU_DEP_2) | instskip(NEXT) | instid1(VALU_DEP_2)
	v_add_f64_e32 v[20:21], v[4:5], v[8:9]
	v_add_f64_e32 v[22:23], v[6:7], v[10:11]
	v_add_co_u32 v4, vcc_lo, v16, s22
	s_wait_alu 0xfffd
	v_add_co_ci_u32_e64 v5, null, s23, v17, vcc_lo
	v_mul_f64_e32 v[6:7], s[38:39], v[142:143]
	s_delay_alu instid0(VALU_DEP_3) | instskip(SKIP_1) | instid1(VALU_DEP_3)
	v_add_co_u32 v0, vcc_lo, v4, v0
	s_wait_alu 0xfffd
	v_add_co_ci_u32_e64 v1, null, v5, v1, vcc_lo
	v_mul_f64_e32 v[4:5], s[40:41], v[142:143]
	s_delay_alu instid0(VALU_DEP_3) | instskip(SKIP_1) | instid1(VALU_DEP_3)
	v_add_co_u32 v74, vcc_lo, 0x300, v0
	s_wait_alu 0xfffd
	v_add_co_ci_u32_e64 v75, null, 0, v1, vcc_lo
	global_store_b128 v[0:1], v[20:23], off
	global_load_b128 v[20:23], v[2:3], off offset:256
	v_fma_f64 v[6:7], s[40:41], v[176:177], v[6:7]
	v_fma_f64 v[4:5], s[38:39], v[176:177], -v[4:5]
	s_wait_loadcnt 0x0
	v_mul_f64_e32 v[8:9], s[8:9], v[22:23]
	v_mul_f64_e32 v[10:11], s[6:7], v[22:23]
	s_delay_alu instid0(VALU_DEP_2) | instskip(NEXT) | instid1(VALU_DEP_2)
	v_fma_f64 v[8:9], s[6:7], v[20:21], -v[8:9]
	v_fma_f64 v[10:11], s[8:9], v[20:21], v[10:11]
	s_delay_alu instid0(VALU_DEP_2) | instskip(NEXT) | instid1(VALU_DEP_2)
	v_add_f64_e32 v[16:17], v[4:5], v[8:9]
	v_add_f64_e32 v[18:19], v[6:7], v[10:11]
	v_mul_f64_e32 v[4:5], s[40:41], v[138:139]
	v_mul_f64_e32 v[6:7], s[38:39], v[138:139]
	global_store_b128 v[0:1], v[16:19], off offset:256
	global_load_b128 v[16:19], v[2:3], off offset:512
	v_fma_f64 v[4:5], s[38:39], v[254:255], -v[4:5]
	v_fma_f64 v[6:7], s[40:41], v[254:255], v[6:7]
	s_wait_loadcnt 0x0
	v_mul_f64_e32 v[8:9], s[8:9], v[18:19]
	v_mul_f64_e32 v[10:11], s[6:7], v[18:19]
	s_delay_alu instid0(VALU_DEP_2) | instskip(NEXT) | instid1(VALU_DEP_2)
	v_fma_f64 v[8:9], s[6:7], v[16:17], -v[8:9]
	v_fma_f64 v[10:11], s[8:9], v[16:17], v[10:11]
	s_delay_alu instid0(VALU_DEP_2) | instskip(NEXT) | instid1(VALU_DEP_2)
	v_add_f64_e32 v[12:13], v[4:5], v[8:9]
	v_add_f64_e32 v[14:15], v[6:7], v[10:11]
	v_mul_f64_e32 v[4:5], s[38:39], v[136:137]
	global_store_b128 v[0:1], v[12:15], off offset:512
	global_load_b128 v[12:15], v[2:3], off offset:768
	v_mul_f64_e32 v[2:3], s[40:41], v[136:137]
	v_fma_f64 v[4:5], s[40:41], v[140:141], v[4:5]
	s_delay_alu instid0(VALU_DEP_2) | instskip(SKIP_3) | instid1(VALU_DEP_2)
	v_fma_f64 v[2:3], s[38:39], v[140:141], -v[2:3]
	s_wait_loadcnt 0x0
	v_mul_f64_e32 v[6:7], s[8:9], v[14:15]
	v_mul_f64_e32 v[8:9], s[6:7], v[14:15]
	v_fma_f64 v[6:7], s[6:7], v[12:13], -v[6:7]
	s_delay_alu instid0(VALU_DEP_2) | instskip(NEXT) | instid1(VALU_DEP_2)
	v_fma_f64 v[8:9], s[8:9], v[12:13], v[8:9]
	v_add_f64_e32 v[2:3], v[2:3], v[6:7]
	s_delay_alu instid0(VALU_DEP_2)
	v_add_f64_e32 v[72:73], v[4:5], v[8:9]
	global_store_b64 v[0:1], v[2:3], off offset:768
	s_branch .LBB118_2
.LBB118_11:
	s_nop 0
	s_sendmsg sendmsg(MSG_DEALLOC_VGPRS)
	s_endpgm
	.section	.rodata,"a",@progbits
	.p2align	6, 0x0
	.amdhsa_kernel _ZN12_GLOBAL__N_127rocblas_gemm_batched_kernelI19rocblas_complex_numIdELi16ELi16ELi64ELi64ELi4ELi64ELi4ELi4ELi64ELc78ELc78EKS2_S3_S2_EEvlllT_PT11_llS6_llS4_PT12_llPT13_lli
		.amdhsa_group_segment_fixed_size 8192
		.amdhsa_private_segment_fixed_size 372
		.amdhsa_kernarg_size 156
		.amdhsa_user_sgpr_count 2
		.amdhsa_user_sgpr_dispatch_ptr 0
		.amdhsa_user_sgpr_queue_ptr 0
		.amdhsa_user_sgpr_kernarg_segment_ptr 1
		.amdhsa_user_sgpr_dispatch_id 0
		.amdhsa_user_sgpr_private_segment_size 0
		.amdhsa_wavefront_size32 1
		.amdhsa_uses_dynamic_stack 0
		.amdhsa_enable_private_segment 1
		.amdhsa_system_sgpr_workgroup_id_x 1
		.amdhsa_system_sgpr_workgroup_id_y 1
		.amdhsa_system_sgpr_workgroup_id_z 1
		.amdhsa_system_sgpr_workgroup_info 0
		.amdhsa_system_vgpr_workitem_id 1
		.amdhsa_next_free_vgpr 256
		.amdhsa_next_free_sgpr 52
		.amdhsa_reserve_vcc 1
		.amdhsa_float_round_mode_32 0
		.amdhsa_float_round_mode_16_64 0
		.amdhsa_float_denorm_mode_32 3
		.amdhsa_float_denorm_mode_16_64 3
		.amdhsa_fp16_overflow 0
		.amdhsa_workgroup_processor_mode 1
		.amdhsa_memory_ordered 1
		.amdhsa_forward_progress 1
		.amdhsa_inst_pref_size 67
		.amdhsa_round_robin_scheduling 0
		.amdhsa_exception_fp_ieee_invalid_op 0
		.amdhsa_exception_fp_denorm_src 0
		.amdhsa_exception_fp_ieee_div_zero 0
		.amdhsa_exception_fp_ieee_overflow 0
		.amdhsa_exception_fp_ieee_underflow 0
		.amdhsa_exception_fp_ieee_inexact 0
		.amdhsa_exception_int_div_zero 0
	.end_amdhsa_kernel
	.section	.text._ZN12_GLOBAL__N_127rocblas_gemm_batched_kernelI19rocblas_complex_numIdELi16ELi16ELi64ELi64ELi4ELi64ELi4ELi4ELi64ELc78ELc78EKS2_S3_S2_EEvlllT_PT11_llS6_llS4_PT12_llPT13_lli,"axG",@progbits,_ZN12_GLOBAL__N_127rocblas_gemm_batched_kernelI19rocblas_complex_numIdELi16ELi16ELi64ELi64ELi4ELi64ELi4ELi4ELi64ELc78ELc78EKS2_S3_S2_EEvlllT_PT11_llS6_llS4_PT12_llPT13_lli,comdat
.Lfunc_end118:
	.size	_ZN12_GLOBAL__N_127rocblas_gemm_batched_kernelI19rocblas_complex_numIdELi16ELi16ELi64ELi64ELi4ELi64ELi4ELi4ELi64ELc78ELc78EKS2_S3_S2_EEvlllT_PT11_llS6_llS4_PT12_llPT13_lli, .Lfunc_end118-_ZN12_GLOBAL__N_127rocblas_gemm_batched_kernelI19rocblas_complex_numIdELi16ELi16ELi64ELi64ELi4ELi64ELi4ELi4ELi64ELc78ELc78EKS2_S3_S2_EEvlllT_PT11_llS6_llS4_PT12_llPT13_lli
                                        ; -- End function
	.set _ZN12_GLOBAL__N_127rocblas_gemm_batched_kernelI19rocblas_complex_numIdELi16ELi16ELi64ELi64ELi4ELi64ELi4ELi4ELi64ELc78ELc78EKS2_S3_S2_EEvlllT_PT11_llS6_llS4_PT12_llPT13_lli.num_vgpr, 256
	.set _ZN12_GLOBAL__N_127rocblas_gemm_batched_kernelI19rocblas_complex_numIdELi16ELi16ELi64ELi64ELi4ELi64ELi4ELi4ELi64ELc78ELc78EKS2_S3_S2_EEvlllT_PT11_llS6_llS4_PT12_llPT13_lli.num_agpr, 0
	.set _ZN12_GLOBAL__N_127rocblas_gemm_batched_kernelI19rocblas_complex_numIdELi16ELi16ELi64ELi64ELi4ELi64ELi4ELi4ELi64ELc78ELc78EKS2_S3_S2_EEvlllT_PT11_llS6_llS4_PT12_llPT13_lli.numbered_sgpr, 52
	.set _ZN12_GLOBAL__N_127rocblas_gemm_batched_kernelI19rocblas_complex_numIdELi16ELi16ELi64ELi64ELi4ELi64ELi4ELi4ELi64ELc78ELc78EKS2_S3_S2_EEvlllT_PT11_llS6_llS4_PT12_llPT13_lli.num_named_barrier, 0
	.set _ZN12_GLOBAL__N_127rocblas_gemm_batched_kernelI19rocblas_complex_numIdELi16ELi16ELi64ELi64ELi4ELi64ELi4ELi4ELi64ELc78ELc78EKS2_S3_S2_EEvlllT_PT11_llS6_llS4_PT12_llPT13_lli.private_seg_size, 372
	.set _ZN12_GLOBAL__N_127rocblas_gemm_batched_kernelI19rocblas_complex_numIdELi16ELi16ELi64ELi64ELi4ELi64ELi4ELi4ELi64ELc78ELc78EKS2_S3_S2_EEvlllT_PT11_llS6_llS4_PT12_llPT13_lli.uses_vcc, 1
	.set _ZN12_GLOBAL__N_127rocblas_gemm_batched_kernelI19rocblas_complex_numIdELi16ELi16ELi64ELi64ELi4ELi64ELi4ELi4ELi64ELc78ELc78EKS2_S3_S2_EEvlllT_PT11_llS6_llS4_PT12_llPT13_lli.uses_flat_scratch, 1
	.set _ZN12_GLOBAL__N_127rocblas_gemm_batched_kernelI19rocblas_complex_numIdELi16ELi16ELi64ELi64ELi4ELi64ELi4ELi4ELi64ELc78ELc78EKS2_S3_S2_EEvlllT_PT11_llS6_llS4_PT12_llPT13_lli.has_dyn_sized_stack, 0
	.set _ZN12_GLOBAL__N_127rocblas_gemm_batched_kernelI19rocblas_complex_numIdELi16ELi16ELi64ELi64ELi4ELi64ELi4ELi4ELi64ELc78ELc78EKS2_S3_S2_EEvlllT_PT11_llS6_llS4_PT12_llPT13_lli.has_recursion, 0
	.set _ZN12_GLOBAL__N_127rocblas_gemm_batched_kernelI19rocblas_complex_numIdELi16ELi16ELi64ELi64ELi4ELi64ELi4ELi4ELi64ELc78ELc78EKS2_S3_S2_EEvlllT_PT11_llS6_llS4_PT12_llPT13_lli.has_indirect_call, 0
	.section	.AMDGPU.csdata,"",@progbits
; Kernel info:
; codeLenInByte = 8512
; TotalNumSgprs: 54
; NumVgprs: 256
; ScratchSize: 372
; MemoryBound: 0
; FloatMode: 240
; IeeeMode: 1
; LDSByteSize: 8192 bytes/workgroup (compile time only)
; SGPRBlocks: 0
; VGPRBlocks: 31
; NumSGPRsForWavesPerEU: 54
; NumVGPRsForWavesPerEU: 256
; Occupancy: 5
; WaveLimiterHint : 1
; COMPUTE_PGM_RSRC2:SCRATCH_EN: 1
; COMPUTE_PGM_RSRC2:USER_SGPR: 2
; COMPUTE_PGM_RSRC2:TRAP_HANDLER: 0
; COMPUTE_PGM_RSRC2:TGID_X_EN: 1
; COMPUTE_PGM_RSRC2:TGID_Y_EN: 1
; COMPUTE_PGM_RSRC2:TGID_Z_EN: 1
; COMPUTE_PGM_RSRC2:TIDIG_COMP_CNT: 1
	.section	.text._ZN12_GLOBAL__N_127rocblas_gemm_batched_kernelI19rocblas_complex_numIdELi16ELi16ELi64ELi64ELi4ELi64ELi4ELi4ELi64ELc84ELc78EKS2_S3_S2_EEvlllT_PT11_llS6_llS4_PT12_llPT13_lli,"axG",@progbits,_ZN12_GLOBAL__N_127rocblas_gemm_batched_kernelI19rocblas_complex_numIdELi16ELi16ELi64ELi64ELi4ELi64ELi4ELi4ELi64ELc84ELc78EKS2_S3_S2_EEvlllT_PT11_llS6_llS4_PT12_llPT13_lli,comdat
	.globl	_ZN12_GLOBAL__N_127rocblas_gemm_batched_kernelI19rocblas_complex_numIdELi16ELi16ELi64ELi64ELi4ELi64ELi4ELi4ELi64ELc84ELc78EKS2_S3_S2_EEvlllT_PT11_llS6_llS4_PT12_llPT13_lli ; -- Begin function _ZN12_GLOBAL__N_127rocblas_gemm_batched_kernelI19rocblas_complex_numIdELi16ELi16ELi64ELi64ELi4ELi64ELi4ELi4ELi64ELc84ELc78EKS2_S3_S2_EEvlllT_PT11_llS6_llS4_PT12_llPT13_lli
	.p2align	8
	.type	_ZN12_GLOBAL__N_127rocblas_gemm_batched_kernelI19rocblas_complex_numIdELi16ELi16ELi64ELi64ELi4ELi64ELi4ELi4ELi64ELc84ELc78EKS2_S3_S2_EEvlllT_PT11_llS6_llS4_PT12_llPT13_lli,@function
_ZN12_GLOBAL__N_127rocblas_gemm_batched_kernelI19rocblas_complex_numIdELi16ELi16ELi64ELi64ELi4ELi64ELi4ELi4ELi64ELc84ELc78EKS2_S3_S2_EEvlllT_PT11_llS6_llS4_PT12_llPT13_lli: ; @_ZN12_GLOBAL__N_127rocblas_gemm_batched_kernelI19rocblas_complex_numIdELi16ELi16ELi64ELi64ELi4ELi64ELi4ELi4ELi64ELc84ELc78EKS2_S3_S2_EEvlllT_PT11_llS6_llS4_PT12_llPT13_lli
; %bb.0:
	s_load_b32 s24, s[0:1], 0x98
	s_lshr_b32 s2, ttmp7, 16
	s_wait_kmcnt 0x0
	s_cmp_ge_i32 s2, s24
	s_cbranch_scc1 .LBB119_11
; %bb.1:
	s_clause 0x2
	s_load_b512 s[4:19], s[0:1], 0x50
	s_load_b512 s[36:51], s[0:1], 0x10
	s_load_b64 s[20:21], s[0:1], 0x90
	v_and_b32_e32 v1, 0x3ff, v0
	v_bfe_u32 v2, v0, 10, 10
	s_lshl_b32 s3, ttmp7, 6
	s_mov_b32 s22, ttmp9
	s_and_b32 s3, s3, 0x3fffc0
	s_ashr_i32 s23, ttmp9, 31
	v_lshl_add_u32 v3, v2, 4, v1
	v_lshl_add_u32 v205, v2, 6, 0x1000
	v_add_nc_u32_e32 v2, s3, v2
	s_lshl_b64 s[0:1], s[22:23], 6
	v_lshlrev_b32_e32 v204, 4, v1
	v_add_co_u32 v4, s22, s0, v1
	v_and_b32_e32 v1, 63, v3
	v_add_co_ci_u32_e64 v5, null, s1, 0, s22
	v_lshrrev_b32_e32 v6, 2, v3
	s_wait_kmcnt 0x0
	v_mad_co_u64_u32 v[15:16], null, v2, s18, 0
	v_lshlrev_b32_e32 v0, 4, v0
	v_lshrrev_b32_e32 v3, 6, v3
	v_lshlrev_b32_e32 v7, 4, v1
	scratch_store_b64 off, v[4:5], off offset:328 ; 8-byte Folded Spill
	v_mad_co_u64_u32 v[4:5], null, v2, s12, 0
	v_lshlrev_b32_e32 v13, 4, v3
	v_lshl_or_b32 v134, v3, 10, v7
	v_dual_mov_b32 v3, v16 :: v_dual_and_b32 v0, 48, v0
	v_add_nc_u32_e32 v12, s3, v6
	v_or_b32_e32 v1, s0, v1
	v_cmp_eq_f64_e64 s25, s[6:7], 0
	v_cmp_eq_f64_e64 s26, s[8:9], 0
	v_lshl_or_b32 v8, v6, 6, v0
	v_mad_co_u64_u32 v[5:6], null, v2, s13, v[5:6]
	v_mad_co_u64_u32 v[6:7], null, s50, v12, 0
	s_delay_alu instid0(VALU_DEP_3)
	v_add_nc_u32_e32 v135, 0x1000, v8
	v_mul_lo_u32 v14, s45, v1
	v_mad_co_u64_u32 v[8:9], null, s44, v1, 0
	v_mad_co_u64_u32 v[10:11], null, v2, s19, v[3:4]
	v_lshlrev_b64_e32 v[4:5], 4, v[4:5]
	v_mov_b32_e32 v3, v7
	s_mul_i32 s0, s44, s1
	s_lshl_b64 s[22:23], s[18:19], 4
	s_wait_alu 0xfffe
	s_delay_alu instid0(VALU_DEP_4) | instskip(SKIP_3) | instid1(VALU_DEP_4)
	v_add3_u32 v9, v9, s0, v14
	v_cmp_gt_i64_e64 s0, s[36:37], 0
	v_add_co_u32 v1, vcc_lo, s10, v4
	v_mad_co_u64_u32 v[11:12], null, s51, v12, v[3:4]
	v_lshlrev_b64_e32 v[8:9], 4, v[8:9]
	scratch_store_b32 off, v1, off offset:360 ; 4-byte Folded Spill
	v_add_co_ci_u32_e64 v1, null, s11, v5, vcc_lo
	v_mov_b32_e32 v16, v10
	s_lshl_b64 s[12:13], s[12:13], 4
	v_mov_b32_e32 v7, v11
	scratch_store_b32 off, v1, off offset:364 ; 4-byte Folded Spill
	v_add_co_u32 v1, vcc_lo, v8, v13
	s_wait_alu 0xfffd
	v_add_co_ci_u32_e64 v2, null, 0, v9, vcc_lo
	v_lshlrev_b64_e32 v[6:7], 4, v[6:7]
	s_delay_alu instid0(VALU_DEP_3) | instskip(SKIP_1) | instid1(VALU_DEP_3)
	v_add_co_u32 v1, vcc_lo, s42, v1
	s_wait_alu 0xfffd
	v_add_co_ci_u32_e64 v2, null, s43, v2, vcc_lo
	scratch_store_b64 off, v[15:16], off offset:336 ; 8-byte Folded Spill
	v_add_co_u32 v0, vcc_lo, v6, v0
	scratch_store_b64 off, v[1:2], off offset:344 ; 8-byte Folded Spill
	s_wait_alu 0xfffd
	v_add_co_ci_u32_e64 v1, null, 0, v7, vcc_lo
	v_cndmask_b32_e64 v2, 0, 1, s0
	v_add_co_u32 v0, vcc_lo, s48, v0
	s_wait_alu 0xfffd
	s_delay_alu instid0(VALU_DEP_3) | instskip(NEXT) | instid1(VALU_DEP_3)
	v_add_co_ci_u32_e64 v1, null, s49, v1, vcc_lo
	v_cmp_ne_u32_e64 s0, 1, v2
	s_and_b32 s25, s25, s26
	s_lshl_b64 s[10:11], s[46:47], 4
	s_lshl_b64 s[4:5], s[4:5], 4
	s_mov_b32 s3, 0
	s_wait_alu 0xfffe
	s_lshl_b64 s[12:13], s[12:13], 4
	s_lshl_b64 s[18:19], s[22:23], 4
	s_clause 0x2
	scratch_store_b64 off, v[0:1], off offset:352
	scratch_store_b32 off, v134, off offset:320
	scratch_store_b32 off, v135, off offset:324
	s_branch .LBB119_3
.LBB119_2:                              ;   in Loop: Header=BB119_3 Depth=1
	s_add_co_i32 s2, s2, 0x10000
	global_store_b64 v[74:75], v[72:73], off offset:8
	s_wait_alu 0xfffe
	s_cmp_lt_i32 s2, s24
	s_cbranch_scc0 .LBB119_11
.LBB119_3:                              ; =>This Loop Header: Depth=1
                                        ;     Child Loop BB119_5 Depth 2
	s_and_b32 vcc_lo, exec_lo, s0
	s_wait_alu 0xfffe
	s_cbranch_vccnz .LBB119_6
; %bb.4:                                ;   in Loop: Header=BB119_3 Depth=1
	scratch_load_b64 v[0:1], off, off offset:344 ; 8-byte Folded Reload
	v_mov_b32_e32 v254, 0
	v_mov_b32_e32 v206, 0
	;; [unrolled: 1-line block ×3, first 2 shown]
	v_dual_mov_b32 v31, 0 :: v_dual_mov_b32 v26, 0
	v_mov_b32_e32 v140, 0
	v_dual_mov_b32 v141, 0 :: v_dual_mov_b32 v138, 0
	v_mov_b32_e32 v72, 0
	;; [unrolled: 2-line block ×3, first 2 shown]
	v_mov_b32_e32 v73, 0
	v_mov_b32_e32 v177, 0
	v_mov_b32_e32 v27, 0
	s_mov_b64 s[22:23], 0
	v_mov_b32_e32 v24, 0
	v_dual_mov_b32 v25, 0 :: v_dual_mov_b32 v22, 0
	v_dual_mov_b32 v23, 0 :: v_dual_mov_b32 v18, 0
	;; [unrolled: 1-line block ×18, first 2 shown]
	v_mov_b32_e32 v179, 0
	s_wait_loadcnt 0x0
	v_mad_co_u64_u32 v[32:33], null, s10, s2, v[0:1]
	scratch_load_b64 v[0:1], off, off offset:352 ; 8-byte Folded Reload
	v_dual_mov_b32 v255, 0 :: v_dual_mov_b32 v20, v33
	s_delay_alu instid0(VALU_DEP_1) | instskip(SKIP_2) | instid1(VALU_DEP_3)
	v_mad_co_u64_u32 v[28:29], null, s11, s2, v[20:21]
	v_mov_b32_e32 v20, 0
	v_mov_b32_e32 v21, 0
	;; [unrolled: 1-line block ×3, first 2 shown]
	s_wait_loadcnt 0x0
	v_mad_co_u64_u32 v[34:35], null, s4, s2, v[0:1]
	v_mov_b32_e32 v0, 0
	v_mov_b32_e32 v1, 0
	scratch_store_b64 off, v[0:1], off offset:8 ; 8-byte Folded Spill
	v_mov_b32_e32 v0, 0
	v_mov_b32_e32 v1, 0
	;; [unrolled: 1-line block ×3, first 2 shown]
	scratch_store_b64 off, v[0:1], off      ; 8-byte Folded Spill
	v_mov_b32_e32 v0, 0
	v_mad_co_u64_u32 v[75:76], null, s5, s2, v[29:30]
	v_mov_b32_e32 v1, 0
	s_delay_alu instid0(VALU_DEP_2)
	v_dual_mov_b32 v35, v75 :: v_dual_mov_b32 v74, 0
	v_mov_b32_e32 v75, 0
.LBB119_5:                              ;   Parent Loop BB119_3 Depth=1
                                        ; =>  This Inner Loop Header: Depth=2
	s_clause 0x2
	scratch_store_b64 off, v[138:139], off offset:32
	scratch_store_b64 off, v[140:141], off offset:24
	;; [unrolled: 1-line block ×3, first 2 shown]
	global_load_b128 v[76:79], v[32:33], off
	global_load_b128 v[80:83], v[34:35], off
	v_dual_mov_b32 v38, v170 :: v_dual_mov_b32 v39, v171
	v_dual_mov_b32 v36, v176 :: v_dual_mov_b32 v37, v177
	v_dual_mov_b32 v32, v180 :: v_dual_mov_b32 v33, v181
	s_wait_alu 0xfffe
	s_add_nc_u64 s[22:23], s[22:23], 4
	s_wait_loadcnt 0x1
	ds_store_2addr_b64 v134, v[76:77], v[78:79] offset1:1
	s_wait_loadcnt 0x0
	ds_store_2addr_b64 v135, v[80:81], v[82:83] offset1:1
	s_wait_storecnt_dscnt 0x0
	s_barrier_signal -1
	s_barrier_wait -1
	global_inv scope:SCOPE_SE
	ds_load_b128 v[90:93], v205
	ds_load_b128 v[126:129], v204
	ds_load_b128 v[130:133], v204 offset:256
	ds_load_b128 v[154:157], v205 offset:16
	s_wait_dscnt 0x2
	v_mul_f64_e32 v[76:77], v[92:93], v[128:129]
	v_mul_f64_e32 v[78:79], v[90:91], v[128:129]
	s_wait_dscnt 0x1
	v_mul_f64_e32 v[80:81], v[92:93], v[132:133]
	v_mul_f64_e32 v[82:83], v[90:91], v[132:133]
	s_delay_alu instid0(VALU_DEP_4)
	v_fma_f64 v[28:29], v[90:91], v[126:127], -v[76:77]
	scratch_store_b64 off, v[28:29], off offset:40 ; 8-byte Folded Spill
	v_fma_f64 v[28:29], v[92:93], v[126:127], v[78:79]
	scratch_store_b64 off, v[28:29], off offset:48 ; 8-byte Folded Spill
	v_fma_f64 v[28:29], v[90:91], v[130:131], -v[80:81]
	scratch_store_b64 off, v[28:29], off offset:56 ; 8-byte Folded Spill
	v_fma_f64 v[28:29], v[92:93], v[130:131], v[82:83]
	scratch_store_b64 off, v[28:29], off offset:64 ; 8-byte Folded Spill
	ds_load_b128 v[134:137], v204 offset:512
	ds_load_b128 v[138:141], v204 offset:768
	;; [unrolled: 1-line block ×4, first 2 shown]
	s_wait_dscnt 0x3
	v_mul_f64_e32 v[84:85], v[92:93], v[136:137]
	v_mul_f64_e32 v[86:87], v[90:91], v[136:137]
	s_wait_dscnt 0x2
	v_mul_f64_e32 v[88:89], v[92:93], v[140:141]
	s_wait_dscnt 0x1
	v_mul_f64_e32 v[94:95], v[106:107], v[128:129]
	v_mul_f64_e32 v[96:97], v[108:109], v[132:133]
	;; [unrolled: 1-line block ×6, first 2 shown]
	v_fma_f64 v[28:29], v[90:91], v[134:135], -v[84:85]
	scratch_store_b64 off, v[28:29], off offset:72 ; 8-byte Folded Spill
	v_fma_f64 v[28:29], v[92:93], v[134:135], v[86:87]
	scratch_store_b64 off, v[28:29], off offset:80 ; 8-byte Folded Spill
	v_fma_f64 v[28:29], v[90:91], v[138:139], -v[88:89]
	v_mul_f64_e32 v[90:91], v[90:91], v[140:141]
	scratch_store_b64 off, v[28:29], off offset:88 ; 8-byte Folded Spill
	v_fma_f64 v[28:29], v[92:93], v[138:139], v[90:91]
	v_mul_f64_e32 v[92:93], v[108:109], v[128:129]
	scratch_store_b64 off, v[28:29], off offset:96 ; 8-byte Folded Spill
	v_fma_f64 v[28:29], v[106:107], v[126:127], -v[92:93]
	scratch_store_b64 off, v[28:29], off offset:104 ; 8-byte Folded Spill
	v_fma_f64 v[28:29], v[108:109], v[126:127], v[94:95]
	scratch_store_b64 off, v[28:29], off offset:112 ; 8-byte Folded Spill
	v_fma_f64 v[28:29], v[106:107], v[130:131], -v[96:97]
	scratch_store_b64 off, v[28:29], off offset:120 ; 8-byte Folded Spill
	v_fma_f64 v[28:29], v[108:109], v[130:131], v[98:99]
	;; [unrolled: 4-line block ×3, first 2 shown]
	scratch_store_b64 off, v[28:29], off offset:144 ; 8-byte Folded Spill
	v_fma_f64 v[28:29], v[106:107], v[138:139], -v[104:105]
	v_mul_f64_e32 v[106:107], v[106:107], v[140:141]
	scratch_store_b64 off, v[28:29], off offset:152 ; 8-byte Folded Spill
	v_fma_f64 v[28:29], v[108:109], v[138:139], v[106:107]
	scratch_store_b64 off, v[28:29], off offset:160 ; 8-byte Folded Spill
	ds_load_b128 v[122:125], v205 offset:2048
	ds_load_b128 v[186:189], v205 offset:2064
	s_wait_dscnt 0x1
	v_mul_f64_e32 v[108:109], v[124:125], v[128:129]
	v_mul_f64_e32 v[110:111], v[122:123], v[128:129]
	;; [unrolled: 1-line block ×7, first 2 shown]
	v_fma_f64 v[28:29], v[122:123], v[126:127], -v[108:109]
	scratch_store_b64 off, v[28:29], off offset:168 ; 8-byte Folded Spill
	v_fma_f64 v[28:29], v[124:125], v[126:127], v[110:111]
	v_dual_mov_b32 v111, v35 :: v_dual_mov_b32 v110, v34
	scratch_store_b64 off, v[28:29], off offset:176 ; 8-byte Folded Spill
	v_fma_f64 v[28:29], v[122:123], v[130:131], -v[112:113]
	scratch_store_b64 off, v[28:29], off offset:184 ; 8-byte Folded Spill
	v_fma_f64 v[28:29], v[124:125], v[130:131], v[114:115]
	scratch_store_b64 off, v[28:29], off offset:192 ; 8-byte Folded Spill
	v_fma_f64 v[28:29], v[122:123], v[134:135], -v[116:117]
	scratch_store_b64 off, v[28:29], off offset:200 ; 8-byte Folded Spill
	v_fma_f64 v[28:29], v[124:125], v[134:135], v[118:119]
	scratch_store_b64 off, v[28:29], off offset:208 ; 8-byte Folded Spill
	v_fma_f64 v[28:29], v[122:123], v[138:139], -v[120:121]
	v_mul_f64_e32 v[122:123], v[122:123], v[140:141]
	scratch_store_b64 off, v[28:29], off offset:216 ; 8-byte Folded Spill
	v_fma_f64 v[28:29], v[124:125], v[138:139], v[122:123]
	scratch_store_b64 off, v[28:29], off offset:224 ; 8-byte Folded Spill
	ds_load_b128 v[142:145], v205 offset:3072
	ds_load_b128 v[210:213], v205 offset:3088
	s_wait_dscnt 0x1
	v_mul_f64_e32 v[124:125], v[144:145], v[128:129]
	v_mul_f64_e32 v[128:129], v[142:143], v[128:129]
	s_delay_alu instid0(VALU_DEP_2)
	v_fma_f64 v[28:29], v[142:143], v[126:127], -v[124:125]
	scratch_store_b64 off, v[28:29], off offset:232 ; 8-byte Folded Spill
	v_fma_f64 v[28:29], v[144:145], v[126:127], v[128:129]
	v_mul_f64_e32 v[128:129], v[144:145], v[132:133]
	v_mul_f64_e32 v[132:133], v[142:143], v[132:133]
	scratch_store_b64 off, v[28:29], off offset:240 ; 8-byte Folded Spill
	v_fma_f64 v[28:29], v[142:143], v[130:131], -v[128:129]
	scratch_store_b64 off, v[28:29], off offset:248 ; 8-byte Folded Spill
	v_fma_f64 v[28:29], v[144:145], v[130:131], v[132:133]
	v_mul_f64_e32 v[132:133], v[144:145], v[136:137]
	v_mul_f64_e32 v[136:137], v[142:143], v[136:137]
	scratch_store_b64 off, v[28:29], off offset:256 ; 8-byte Folded Spill
	;; [unrolled: 6-line block ×3, first 2 shown]
	v_fma_f64 v[28:29], v[142:143], v[138:139], -v[136:137]
	scratch_store_b64 off, v[28:29], off offset:280 ; 8-byte Folded Spill
	v_fma_f64 v[28:29], v[144:145], v[138:139], v[140:141]
	scratch_store_b64 off, v[28:29], off offset:288 ; 8-byte Folded Spill
	ds_load_b128 v[190:193], v204 offset:1024
	ds_load_b128 v[194:197], v204 offset:1280
	s_wait_dscnt 0x1
	v_mul_f64_e32 v[140:141], v[156:157], v[192:193]
	s_wait_dscnt 0x0
	v_mul_f64_e32 v[144:145], v[156:157], v[196:197]
	v_mul_f64_e32 v[142:143], v[154:155], v[192:193]
	;; [unrolled: 1-line block ×8, first 2 shown]
	v_fma_f64 v[28:29], v[154:155], v[190:191], -v[140:141]
	v_fma_f64 v[144:145], v[154:155], v[194:195], -v[144:145]
	v_fma_f64 v[142:143], v[156:157], v[190:191], v[142:143]
	v_fma_f64 v[146:147], v[156:157], v[194:195], v[146:147]
	v_fma_f64 v[160:161], v[170:171], v[194:195], -v[160:161]
	v_fma_f64 v[176:177], v[186:187], v[194:195], -v[176:177]
	v_fma_f64 v[174:175], v[188:189], v[190:191], v[174:175]
	scratch_store_b64 off, v[28:29], off offset:296 ; 8-byte Folded Spill
	ds_load_b128 v[198:201], v204 offset:1536
	ds_load_b128 v[214:217], v204 offset:1792
	s_wait_dscnt 0x1
	v_mul_f64_e32 v[148:149], v[156:157], v[200:201]
	s_wait_dscnt 0x0
	v_mul_f64_e32 v[152:153], v[156:157], v[216:217]
	v_mul_f64_e32 v[150:151], v[154:155], v[200:201]
	;; [unrolled: 1-line block ×9, first 2 shown]
	v_fma_f64 v[148:149], v[154:155], v[198:199], -v[148:149]
	v_fma_f64 v[152:153], v[154:155], v[214:215], -v[152:153]
	v_mul_f64_e32 v[154:155], v[154:155], v[216:217]
	v_fma_f64 v[150:151], v[156:157], v[198:199], v[150:151]
	v_fma_f64 v[168:169], v[170:171], v[214:215], -v[168:169]
	v_fma_f64 v[166:167], v[172:173], v[198:199], v[166:167]
	v_fma_f64 v[180:181], v[186:187], v[198:199], -v[180:181]
	v_fma_f64 v[184:185], v[186:187], v[214:215], -v[184:185]
	v_fma_f64 v[182:183], v[188:189], v[198:199], v[182:183]
	v_fma_f64 v[202:203], v[212:213], v[214:215], v[202:203]
	;; [unrolled: 1-line block ×3, first 2 shown]
	v_mul_f64_e32 v[156:157], v[172:173], v[192:193]
	s_delay_alu instid0(VALU_DEP_1)
	v_fma_f64 v[28:29], v[170:171], v[190:191], -v[156:157]
	v_fma_f64 v[156:157], v[170:171], v[198:199], -v[164:165]
	v_mul_f64_e32 v[170:171], v[170:171], v[216:217]
	scratch_store_b64 off, v[28:29], off offset:304 ; 8-byte Folded Spill
	v_fma_f64 v[28:29], v[172:173], v[190:191], v[158:159]
	v_fma_f64 v[158:159], v[172:173], v[194:195], v[162:163]
	;; [unrolled: 1-line block ×3, first 2 shown]
	v_mul_f64_e32 v[172:173], v[188:189], v[192:193]
	scratch_store_b64 off, v[28:29], off offset:312 ; 8-byte Folded Spill
	v_dual_mov_b32 v28, v178 :: v_dual_mov_b32 v29, v179
	v_fma_f64 v[172:173], v[186:187], v[190:191], -v[172:173]
	v_mul_f64_e32 v[178:179], v[186:187], v[196:197]
	v_mul_f64_e32 v[186:187], v[186:187], v[216:217]
	s_delay_alu instid0(VALU_DEP_2) | instskip(NEXT) | instid1(VALU_DEP_2)
	v_fma_f64 v[178:179], v[188:189], v[194:195], v[178:179]
	v_fma_f64 v[186:187], v[188:189], v[214:215], v[186:187]
	v_mul_f64_e32 v[188:189], v[212:213], v[192:193]
	v_mul_f64_e32 v[192:193], v[210:211], v[192:193]
	s_delay_alu instid0(VALU_DEP_2) | instskip(NEXT) | instid1(VALU_DEP_2)
	v_fma_f64 v[188:189], v[210:211], v[190:191], -v[188:189]
	v_fma_f64 v[190:191], v[212:213], v[190:191], v[192:193]
	v_mul_f64_e32 v[192:193], v[212:213], v[196:197]
	v_mul_f64_e32 v[196:197], v[210:211], v[196:197]
	s_delay_alu instid0(VALU_DEP_2) | instskip(NEXT) | instid1(VALU_DEP_2)
	v_fma_f64 v[192:193], v[210:211], v[194:195], -v[192:193]
	;; [unrolled: 5-line block ×3, first 2 shown]
	v_fma_f64 v[198:199], v[212:213], v[198:199], v[200:201]
	v_mul_f64_e32 v[200:201], v[212:213], v[216:217]
	s_delay_alu instid0(VALU_DEP_1)
	v_fma_f64 v[200:201], v[210:211], v[214:215], -v[200:201]
	ds_load_b128 v[210:213], v205 offset:32
	ds_load_b128 v[214:217], v204 offset:2048
	;; [unrolled: 1-line block ×4, first 2 shown]
	s_wait_dscnt 0x2
	v_mul_f64_e32 v[226:227], v[212:213], v[216:217]
	s_delay_alu instid0(VALU_DEP_1) | instskip(SKIP_1) | instid1(VALU_DEP_1)
	v_fma_f64 v[138:139], v[210:211], v[214:215], -v[226:227]
	v_mul_f64_e32 v[226:227], v[210:211], v[216:217]
	v_fma_f64 v[136:137], v[212:213], v[214:215], v[226:227]
	s_wait_dscnt 0x1
	v_mul_f64_e32 v[226:227], v[212:213], v[220:221]
	s_delay_alu instid0(VALU_DEP_1) | instskip(SKIP_1) | instid1(VALU_DEP_1)
	v_fma_f64 v[134:135], v[210:211], v[218:219], -v[226:227]
	v_mul_f64_e32 v[226:227], v[210:211], v[220:221]
	v_fma_f64 v[132:133], v[212:213], v[218:219], v[226:227]
	ds_load_b128 v[226:229], v204 offset:2560
	ds_load_b128 v[230:233], v204 offset:2816
	s_wait_dscnt 0x1
	v_mul_f64_e32 v[234:235], v[212:213], v[228:229]
	s_delay_alu instid0(VALU_DEP_1) | instskip(SKIP_1) | instid1(VALU_DEP_1)
	v_fma_f64 v[130:131], v[210:211], v[226:227], -v[234:235]
	v_mul_f64_e32 v[234:235], v[210:211], v[228:229]
	v_fma_f64 v[128:129], v[212:213], v[226:227], v[234:235]
	s_wait_dscnt 0x0
	v_mul_f64_e32 v[234:235], v[212:213], v[232:233]
	s_delay_alu instid0(VALU_DEP_1) | instskip(SKIP_1) | instid1(VALU_DEP_1)
	v_fma_f64 v[126:127], v[210:211], v[230:231], -v[234:235]
	v_mul_f64_e32 v[210:211], v[210:211], v[232:233]
	v_fma_f64 v[124:125], v[212:213], v[230:231], v[210:211]
	ds_load_b128 v[210:213], v205 offset:1056
	ds_load_b128 v[234:237], v205 offset:1072
	s_wait_dscnt 0x1
	v_mul_f64_e32 v[238:239], v[212:213], v[216:217]
	s_delay_alu instid0(VALU_DEP_1) | instskip(SKIP_1) | instid1(VALU_DEP_1)
	v_fma_f64 v[164:165], v[210:211], v[214:215], -v[238:239]
	v_mul_f64_e32 v[238:239], v[210:211], v[216:217]
	v_fma_f64 v[162:163], v[212:213], v[214:215], v[238:239]
	v_mul_f64_e32 v[238:239], v[212:213], v[220:221]
	s_delay_alu instid0(VALU_DEP_1) | instskip(SKIP_1) | instid1(VALU_DEP_1)
	v_fma_f64 v[122:123], v[210:211], v[218:219], -v[238:239]
	v_mul_f64_e32 v[238:239], v[210:211], v[220:221]
	v_fma_f64 v[120:121], v[212:213], v[218:219], v[238:239]
	;; [unrolled: 5-line block ×4, first 2 shown]
	ds_load_b128 v[210:213], v205 offset:2080
	ds_load_b128 v[238:241], v205 offset:2096
	s_wait_dscnt 0x1
	v_mul_f64_e32 v[242:243], v[212:213], v[216:217]
	s_delay_alu instid0(VALU_DEP_1) | instskip(SKIP_1) | instid1(VALU_DEP_1)
	v_fma_f64 v[108:109], v[210:211], v[214:215], -v[242:243]
	v_mul_f64_e32 v[242:243], v[210:211], v[216:217]
	v_fma_f64 v[106:107], v[212:213], v[214:215], v[242:243]
	v_mul_f64_e32 v[242:243], v[212:213], v[220:221]
	s_delay_alu instid0(VALU_DEP_1) | instskip(SKIP_1) | instid1(VALU_DEP_1)
	v_fma_f64 v[104:105], v[210:211], v[218:219], -v[242:243]
	v_mul_f64_e32 v[242:243], v[210:211], v[220:221]
	v_fma_f64 v[102:103], v[212:213], v[218:219], v[242:243]
	;; [unrolled: 5-line block ×4, first 2 shown]
	ds_load_b128 v[210:213], v205 offset:3104
	ds_load_b128 v[242:245], v205 offset:3120
	s_wait_dscnt 0x1
	v_mul_f64_e32 v[34:35], v[212:213], v[216:217]
	v_mul_f64_e32 v[216:217], v[210:211], v[216:217]
	s_delay_alu instid0(VALU_DEP_2) | instskip(NEXT) | instid1(VALU_DEP_2)
	v_fma_f64 v[92:93], v[210:211], v[214:215], -v[34:35]
	v_fma_f64 v[90:91], v[212:213], v[214:215], v[216:217]
	v_mul_f64_e32 v[214:215], v[212:213], v[220:221]
	s_delay_alu instid0(VALU_DEP_1) | instskip(SKIP_1) | instid1(VALU_DEP_1)
	v_fma_f64 v[88:89], v[210:211], v[218:219], -v[214:215]
	v_mul_f64_e32 v[214:215], v[210:211], v[220:221]
	v_fma_f64 v[40:41], v[212:213], v[218:219], v[214:215]
	v_mul_f64_e32 v[214:215], v[212:213], v[228:229]
	s_delay_alu instid0(VALU_DEP_1) | instskip(SKIP_1) | instid1(VALU_DEP_1)
	v_fma_f64 v[42:43], v[210:211], v[226:227], -v[214:215]
	v_mul_f64_e32 v[214:215], v[210:211], v[228:229]
	;; [unrolled: 5-line block ×3, first 2 shown]
	v_fma_f64 v[230:231], v[212:213], v[230:231], v[210:211]
	ds_load_b128 v[210:213], v204 offset:3072
	ds_load_b128 v[214:217], v204 offset:3328
	s_wait_dscnt 0x1
	v_mul_f64_e32 v[218:219], v[224:225], v[212:213]
	s_wait_dscnt 0x0
	v_mul_f64_e32 v[62:63], v[236:237], v[216:217]
	v_mul_f64_e32 v[60:61], v[234:235], v[212:213]
	;; [unrolled: 1-line block ×6, first 2 shown]
	v_fma_f64 v[232:233], v[222:223], v[210:211], -v[218:219]
	v_mul_f64_e32 v[218:219], v[222:223], v[212:213]
	v_fma_f64 v[62:63], v[234:235], v[214:215], -v[62:63]
	v_fma_f64 v[60:61], v[236:237], v[210:211], v[60:61]
	v_fma_f64 v[64:65], v[236:237], v[214:215], v[64:65]
	v_fma_f64 v[78:79], v[238:239], v[214:215], -v[78:79]
	v_fma_f64 v[76:77], v[240:241], v[210:211], v[76:77]
	v_fma_f64 v[80:81], v[240:241], v[214:215], v[80:81]
	;; [unrolled: 1-line block ×3, first 2 shown]
	v_mul_f64_e32 v[218:219], v[224:225], v[216:217]
	s_delay_alu instid0(VALU_DEP_1) | instskip(SKIP_1) | instid1(VALU_DEP_1)
	v_fma_f64 v[50:51], v[222:223], v[214:215], -v[218:219]
	v_mul_f64_e32 v[218:219], v[222:223], v[216:217]
	v_fma_f64 v[52:53], v[224:225], v[214:215], v[218:219]
	ds_load_b128 v[218:221], v204 offset:3584
	ds_load_b128 v[226:229], v204 offset:3840
	scratch_load_b64 v[34:35], off, off offset:40 th:TH_LOAD_LU ; 8-byte Folded Reload
	s_wait_dscnt 0x1
	v_mul_f64_e32 v[54:55], v[224:225], v[220:221]
	s_wait_dscnt 0x0
	v_mul_f64_e32 v[58:59], v[224:225], v[228:229]
	v_mul_f64_e32 v[56:57], v[222:223], v[220:221]
	;; [unrolled: 1-line block ×8, first 2 shown]
	v_fma_f64 v[54:55], v[222:223], v[218:219], -v[54:55]
	v_fma_f64 v[58:59], v[222:223], v[226:227], -v[58:59]
	v_mul_f64_e32 v[222:223], v[222:223], v[228:229]
	v_fma_f64 v[56:57], v[224:225], v[218:219], v[56:57]
	v_fma_f64 v[66:67], v[234:235], v[218:219], -v[66:67]
	v_fma_f64 v[70:71], v[234:235], v[226:227], -v[70:71]
	v_fma_f64 v[68:69], v[236:237], v[218:219], v[68:69]
	v_fma_f64 v[82:83], v[238:239], v[218:219], -v[82:83]
	v_fma_f64 v[86:87], v[238:239], v[226:227], -v[86:87]
	v_fma_f64 v[84:85], v[240:241], v[218:219], v[84:85]
	v_fma_f64 v[222:223], v[224:225], v[226:227], v[222:223]
	v_mul_f64_e32 v[224:225], v[236:237], v[212:213]
	s_delay_alu instid0(VALU_DEP_1) | instskip(SKIP_1) | instid1(VALU_DEP_1)
	v_fma_f64 v[224:225], v[234:235], v[210:211], -v[224:225]
	v_mul_f64_e32 v[234:235], v[234:235], v[228:229]
	v_fma_f64 v[234:235], v[236:237], v[226:227], v[234:235]
	v_mul_f64_e32 v[236:237], v[240:241], v[212:213]
	s_delay_alu instid0(VALU_DEP_1) | instskip(SKIP_1) | instid1(VALU_DEP_1)
	v_fma_f64 v[236:237], v[238:239], v[210:211], -v[236:237]
	v_mul_f64_e32 v[238:239], v[238:239], v[228:229]
	v_fma_f64 v[238:239], v[240:241], v[226:227], v[238:239]
	v_mul_f64_e32 v[240:241], v[244:245], v[212:213]
	v_mul_f64_e32 v[212:213], v[242:243], v[212:213]
	s_delay_alu instid0(VALU_DEP_2) | instskip(NEXT) | instid1(VALU_DEP_2)
	v_fma_f64 v[240:241], v[242:243], v[210:211], -v[240:241]
	v_fma_f64 v[210:211], v[244:245], v[210:211], v[212:213]
	v_mul_f64_e32 v[212:213], v[244:245], v[216:217]
	v_mul_f64_e32 v[216:217], v[242:243], v[216:217]
	s_delay_alu instid0(VALU_DEP_2) | instskip(NEXT) | instid1(VALU_DEP_2)
	v_fma_f64 v[212:213], v[242:243], v[214:215], -v[212:213]
	;; [unrolled: 5-line block ×4, first 2 shown]
	v_fma_f64 v[226:227], v[244:245], v[226:227], v[228:229]
	s_wait_loadcnt 0x0
	v_add_f64_e32 v[228:229], v[28:29], v[34:35]
	scratch_load_b64 v[28:29], off, off offset:48 th:TH_LOAD_LU ; 8-byte Folded Reload
	s_wait_loadcnt 0x0
	v_add_f64_e32 v[242:243], v[28:29], v[32:33]
	scratch_load_b64 v[28:29], off, off offset:56 th:TH_LOAD_LU ; 8-byte Folded Reload
	v_add_f64_e32 v[142:143], v[142:143], v[242:243]
	s_delay_alu instid0(VALU_DEP_1)
	v_add_f64_e32 v[136:137], v[136:137], v[142:143]
	s_wait_loadcnt 0x0
	v_add_f64_e32 v[244:245], v[38:39], v[28:29]
	scratch_load_b64 v[28:29], off, off offset:64 th:TH_LOAD_LU ; 8-byte Folded Reload
	v_dual_mov_b32 v38, v204 :: v_dual_mov_b32 v39, v205
	v_add_f64_e32 v[144:145], v[244:245], v[144:145]
	s_delay_alu instid0(VALU_DEP_1)
	v_add_f64_e32 v[134:135], v[144:145], v[134:135]
	s_wait_loadcnt 0x0
	v_add_f64_e32 v[204:205], v[28:29], v[208:209]
	scratch_load_b64 v[28:29], off, off offset:72 th:TH_LOAD_LU ; 8-byte Folded Reload
	v_add_f64_e32 v[146:147], v[146:147], v[204:205]
	v_dual_mov_b32 v205, v39 :: v_dual_mov_b32 v204, v38
	s_delay_alu instid0(VALU_DEP_2) | instskip(SKIP_4) | instid1(VALU_DEP_1)
	v_add_f64_e32 v[132:133], v[132:133], v[146:147]
	s_wait_loadcnt 0x0
	v_add_f64_e32 v[246:247], v[246:247], v[28:29]
	scratch_load_b64 v[28:29], off, off offset:80 th:TH_LOAD_LU ; 8-byte Folded Reload
	v_add_f64_e32 v[148:149], v[246:247], v[148:149]
	v_add_f64_e32 v[130:131], v[148:149], v[130:131]
	s_delay_alu instid0(VALU_DEP_1) | instskip(SKIP_4) | instid1(VALU_DEP_1)
	v_add_f64_e32 v[246:247], v[130:131], v[54:55]
	s_wait_loadcnt 0x0
	v_add_f64_e32 v[248:249], v[28:29], v[248:249]
	scratch_load_b64 v[28:29], off, off offset:88 th:TH_LOAD_LU ; 8-byte Folded Reload
	v_add_f64_e32 v[150:151], v[150:151], v[248:249]
	v_add_f64_e32 v[128:129], v[128:129], v[150:151]
	s_delay_alu instid0(VALU_DEP_1) | instskip(SKIP_4) | instid1(VALU_DEP_1)
	;; [unrolled: 7-line block ×3, first 2 shown]
	v_add_f64_e32 v[250:251], v[126:127], v[58:59]
	s_wait_loadcnt 0x0
	v_add_f64_e32 v[252:253], v[28:29], v[252:253]
	scratch_load_b64 v[28:29], off, off offset:104 th:TH_LOAD_LU ; 8-byte Folded Reload
	v_add_f64_e32 v[154:155], v[154:155], v[252:253]
	v_add_f64_e32 v[124:125], v[124:125], v[154:155]
	s_delay_alu instid0(VALU_DEP_1)
	v_add_f64_e32 v[252:253], v[222:223], v[124:125]
	s_wait_loadcnt 0x0
	v_add_f64_e32 v[0:1], v[0:1], v[28:29]
	scratch_load_b64 v[28:29], off, off offset:112 th:TH_LOAD_LU ; 8-byte Folded Reload
	s_wait_loadcnt 0x0
	v_add_f64_e32 v[2:3], v[28:29], v[2:3]
	scratch_load_b64 v[28:29], off, off offset:120 th:TH_LOAD_LU ; 8-byte Folded Reload
	;; [unrolled: 3-line block ×3, first 2 shown]
	v_add_f64_e32 v[4:5], v[4:5], v[160:161]
	s_delay_alu instid0(VALU_DEP_1) | instskip(NEXT) | instid1(VALU_DEP_1)
	v_add_f64_e32 v[4:5], v[4:5], v[122:123]
	v_add_f64_e32 v[4:5], v[4:5], v[62:63]
	s_wait_loadcnt 0x0
	v_add_f64_e32 v[6:7], v[28:29], v[6:7]
	scratch_load_b64 v[28:29], off, off offset:136 th:TH_LOAD_LU ; 8-byte Folded Reload
	v_add_f64_e32 v[6:7], v[158:159], v[6:7]
	s_delay_alu instid0(VALU_DEP_1) | instskip(NEXT) | instid1(VALU_DEP_1)
	v_add_f64_e32 v[6:7], v[120:121], v[6:7]
	v_add_f64_e32 v[6:7], v[64:65], v[6:7]
	s_wait_loadcnt 0x0
	v_add_f64_e32 v[8:9], v[8:9], v[28:29]
	scratch_load_b64 v[28:29], off, off offset:144 th:TH_LOAD_LU ; 8-byte Folded Reload
	;; [unrolled: 7-line block ×5, first 2 shown]
	v_add_f64_e32 v[14:15], v[170:171], v[14:15]
	v_add_f64_e32 v[170:171], v[134:135], v[50:51]
	s_delay_alu instid0(VALU_DEP_2) | instskip(NEXT) | instid1(VALU_DEP_1)
	v_add_f64_e32 v[14:15], v[112:113], v[14:15]
	v_add_f64_e32 v[14:15], v[234:235], v[14:15]
	s_wait_loadcnt 0x0
	v_add_f64_e32 v[16:17], v[16:17], v[28:29]
	scratch_load_b64 v[28:29], off, off offset:176 th:TH_LOAD_LU ; 8-byte Folded Reload
	v_add_f64_e32 v[16:17], v[16:17], v[172:173]
	s_delay_alu instid0(VALU_DEP_1) | instskip(NEXT) | instid1(VALU_DEP_1)
	v_add_f64_e32 v[16:17], v[16:17], v[108:109]
	v_add_f64_e32 v[16:17], v[16:17], v[236:237]
	s_wait_loadcnt 0x0
	v_add_f64_e32 v[18:19], v[28:29], v[18:19]
	scratch_load_b64 v[28:29], off, off offset:184 th:TH_LOAD_LU ; 8-byte Folded Reload
	v_add_f64_e32 v[18:19], v[174:175], v[18:19]
	s_delay_alu instid0(VALU_DEP_1) | instskip(NEXT) | instid1(VALU_DEP_1)
	;; [unrolled: 7-line block ×4, first 2 shown]
	v_add_f64_e32 v[22:23], v[102:103], v[22:23]
	v_add_f64_e32 v[22:23], v[80:81], v[22:23]
	s_wait_loadcnt 0x0
	v_add_f64_e32 v[24:25], v[24:25], v[28:29]
	scratch_load_b64 v[28:29], off, off offset:208 th:TH_LOAD_LU ; 8-byte Folded Reload
	v_add_f64_e32 v[24:25], v[24:25], v[180:181]
	v_add_f64_e32 v[180:181], v[48:49], v[136:137]
	s_delay_alu instid0(VALU_DEP_2) | instskip(NEXT) | instid1(VALU_DEP_1)
	v_add_f64_e32 v[24:25], v[24:25], v[100:101]
	v_add_f64_e32 v[24:25], v[24:25], v[82:83]
	s_wait_loadcnt 0x0
	v_add_f64_e32 v[26:27], v[28:29], v[26:27]
	s_clause 0x1
	scratch_load_b64 v[28:29], off, off th:TH_LOAD_LU
	scratch_load_b64 v[32:33], off, off offset:216 th:TH_LOAD_LU
	v_add_f64_e32 v[26:27], v[182:183], v[26:27]
	s_delay_alu instid0(VALU_DEP_1) | instskip(NEXT) | instid1(VALU_DEP_1)
	v_add_f64_e32 v[26:27], v[98:99], v[26:27]
	v_add_f64_e32 v[26:27], v[84:85], v[26:27]
	s_wait_loadcnt 0x0
	v_add_f64_e32 v[28:29], v[28:29], v[32:33]
	scratch_load_b64 v[32:33], off, off offset:224 th:TH_LOAD_LU ; 8-byte Folded Reload
	v_add_f64_e32 v[28:29], v[28:29], v[184:185]
	s_delay_alu instid0(VALU_DEP_1) | instskip(NEXT) | instid1(VALU_DEP_1)
	v_add_f64_e32 v[28:29], v[28:29], v[96:97]
	v_add_f64_e32 v[28:29], v[28:29], v[86:87]
	s_wait_loadcnt 0x0
	v_add_f64_e32 v[30:31], v[32:33], v[30:31]
	s_clause 0x1
	scratch_load_b64 v[32:33], off, off offset:8 th:TH_LOAD_LU
	scratch_load_b64 v[34:35], off, off offset:232 th:TH_LOAD_LU
	v_add_f64_e32 v[30:31], v[186:187], v[30:31]
	s_delay_alu instid0(VALU_DEP_1) | instskip(NEXT) | instid1(VALU_DEP_1)
	v_add_f64_e32 v[30:31], v[94:95], v[30:31]
	v_add_f64_e32 v[30:31], v[238:239], v[30:31]
	s_wait_loadcnt 0x0
	v_add_f64_e32 v[32:33], v[32:33], v[34:35]
	scratch_load_b64 v[34:35], off, off offset:240 th:TH_LOAD_LU ; 8-byte Folded Reload
	v_add_f64_e32 v[32:33], v[32:33], v[188:189]
	s_delay_alu instid0(VALU_DEP_1) | instskip(SKIP_4) | instid1(VALU_DEP_1)
	v_add_f64_e32 v[32:33], v[32:33], v[92:93]
	s_wait_loadcnt 0x0
	v_add_f64_e32 v[34:35], v[34:35], v[206:207]
	scratch_load_b64 v[206:207], off, off offset:248 th:TH_LOAD_LU ; 8-byte Folded Reload
	v_add_f64_e32 v[34:35], v[190:191], v[34:35]
	v_add_f64_e32 v[34:35], v[90:91], v[34:35]
	s_wait_loadcnt 0x0
	v_add_f64_e32 v[36:37], v[36:37], v[206:207]
	scratch_load_b64 v[206:207], off, off offset:256 th:TH_LOAD_LU ; 8-byte Folded Reload
	v_add_f64_e32 v[36:37], v[36:37], v[192:193]
	s_delay_alu instid0(VALU_DEP_1) | instskip(NEXT) | instid1(VALU_DEP_1)
	v_add_f64_e32 v[36:37], v[36:37], v[88:89]
	v_add_f64_e32 v[176:177], v[36:37], v[212:213]
	s_wait_loadcnt 0x0
	v_add_f64_e32 v[72:73], v[206:207], v[72:73]
	scratch_load_b64 v[206:207], off, off offset:264 th:TH_LOAD_LU ; 8-byte Folded Reload
	v_add_f64_e32 v[72:73], v[194:195], v[72:73]
	s_wait_loadcnt 0x0
	v_add_f64_e32 v[254:255], v[254:255], v[206:207]
	s_clause 0x1
	scratch_load_b64 v[206:207], off, off offset:32 th:TH_LOAD_LU
	scratch_load_b64 v[208:209], off, off offset:272 th:TH_LOAD_LU
	v_add_f64_e32 v[156:157], v[254:255], v[196:197]
	s_wait_loadcnt 0x0
	v_add_f64_e32 v[208:209], v[208:209], v[206:207]
	s_clause 0x2
	scratch_load_b64 v[206:207], off, off offset:24 th:TH_LOAD_LU
	scratch_load_b64 v[140:141], off, off offset:280 th:TH_LOAD_LU
	;; [unrolled: 1-line block ×3, first 2 shown]
	v_add_f64_e32 v[158:159], v[198:199], v[208:209]
	v_add_f64_e32 v[208:209], v[52:53], v[132:133]
	s_wait_loadcnt 0x1
	v_add_f64_e32 v[206:207], v[206:207], v[140:141]
	scratch_load_b64 v[140:141], off, off offset:288 th:TH_LOAD_LU ; 8-byte Folded Reload
	s_wait_loadcnt 0x1
	v_add_f64_e32 v[0:1], v[0:1], v[38:39]
	scratch_load_b64 v[38:39], off, off offset:312 th:TH_LOAD_LU ; 8-byte Folded Reload
	v_add_f64_e32 v[160:161], v[206:207], v[200:201]
	v_add_f64_e32 v[206:207], v[210:211], v[34:35]
	v_dual_mov_b32 v34, v110 :: v_dual_mov_b32 v35, v111
	v_add_f64_e32 v[0:1], v[0:1], v[164:165]
	s_delay_alu instid0(VALU_DEP_2) | instskip(SKIP_1) | instid1(VALU_DEP_3)
	v_add_co_u32 v34, vcc_lo, v34, 64
	s_wait_alu 0xfffd
	v_add_co_ci_u32_e64 v35, null, 0, v35, vcc_lo
	s_delay_alu instid0(VALU_DEP_3)
	v_add_f64_e32 v[0:1], v[0:1], v[224:225]
	s_wait_loadcnt 0x1
	v_add_f64_e32 v[74:75], v[140:141], v[74:75]
	s_clause 0x2
	scratch_load_b64 v[140:141], off, off offset:296 th:TH_LOAD_LU
	scratch_load_b32 v135, off, off offset:324
	scratch_load_b32 v134, off, off offset:320
	scratch_store_b64 off, v[28:29], off    ; 8-byte Folded Spill
	v_add_f64_e32 v[28:29], v[32:33], v[240:241]
	scratch_load_b64 v[32:33], off, off offset:16 th:TH_LOAD_LU ; 8-byte Folded Reload
	s_wait_loadcnt 0x4
	v_add_f64_e32 v[2:3], v[38:39], v[2:3]
	v_add_f64_e32 v[38:39], v[40:41], v[72:73]
	;; [unrolled: 1-line block ×6, first 2 shown]
	scratch_store_b64 off, v[28:29], off offset:8 ; 8-byte Folded Spill
	s_wait_loadcnt 0x0
	s_wait_storecnt 0x0
	s_barrier_signal -1
	s_barrier_wait -1
	global_inv scope:SCOPE_SE
	v_add_f64_e32 v[2:3], v[162:163], v[2:3]
	v_add_f64_e32 v[72:73], v[214:215], v[38:39]
	;; [unrolled: 1-line block ×4, first 2 shown]
	s_delay_alu instid0(VALU_DEP_4) | instskip(NEXT) | instid1(VALU_DEP_2)
	v_add_f64_e32 v[2:3], v[60:61], v[2:3]
	v_add_f64_e32 v[74:75], v[226:227], v[46:47]
	;; [unrolled: 1-line block ×3, first 2 shown]
	v_add_co_u32 v32, s1, v32, 64
	s_wait_alu 0xf1ff
	v_add_co_ci_u32_e64 v33, null, 0, v33, s1
	s_wait_alu 0xfffe
	v_cmp_lt_i64_e64 s1, s[22:23], s[36:37]
	s_and_b32 vcc_lo, exec_lo, s1
	v_add_f64_e32 v[138:139], v[140:141], v[138:139]
	v_add_f64_e32 v[140:141], v[44:45], v[220:221]
	s_delay_alu instid0(VALU_DEP_2)
	v_add_f64_e32 v[178:179], v[138:139], v[232:233]
	v_add_f64_e32 v[138:139], v[218:219], v[42:43]
	s_wait_alu 0xfffe
	s_cbranch_vccnz .LBB119_5
	s_branch .LBB119_7
.LBB119_6:                              ;   in Loop: Header=BB119_3 Depth=1
	v_mov_b32_e32 v28, 0
	v_dual_mov_b32 v29, 0 :: v_dual_mov_b32 v30, 0
	v_mov_b32_e32 v178, 0
	v_mov_b32_e32 v170, 0
	;; [unrolled: 1-line block ×3, first 2 shown]
	scratch_store_b64 off, v[28:29], off    ; 8-byte Folded Spill
	v_mov_b32_e32 v28, 0
	v_dual_mov_b32 v29, 0 :: v_dual_mov_b32 v206, 0
	v_mov_b32_e32 v250, 0
	v_mov_b32_e32 v0, 0
	;; [unrolled: 1-line block ×10, first 2 shown]
	v_dual_mov_b32 v140, 0 :: v_dual_mov_b32 v179, 0
	v_dual_mov_b32 v180, 0 :: v_dual_mov_b32 v171, 0
	;; [unrolled: 1-line block ×15, first 2 shown]
	v_mov_b32_e32 v209, 0
	v_mov_b32_e32 v249, 0
	;; [unrolled: 1-line block ×11, first 2 shown]
	scratch_store_b64 off, v[28:29], off offset:8 ; 8-byte Folded Spill
	v_mov_b32_e32 v207, 0
	v_mov_b32_e32 v73, 0
	;; [unrolled: 1-line block ×4, first 2 shown]
.LBB119_7:                              ;   in Loop: Header=BB119_3 Depth=1
	s_mul_u64 s[22:23], s[20:21], s[2:3]
	v_dual_mov_b32 v151, v23 :: v_dual_mov_b32 v150, v22
	v_dual_mov_b32 v149, v27 :: v_dual_mov_b32 v148, v26
	;; [unrolled: 1-line block ×14, first 2 shown]
	s_wait_alu 0xfffe
	s_lshl_b64 s[22:23], s[22:23], 4
	s_and_not1_b32 vcc_lo, exec_lo, s25
	s_wait_alu 0xfffe
	s_add_nc_u64 s[22:23], s[16:17], s[22:23]
	s_mov_b32 s1, -1
                                        ; implicit-def: $vgpr72_vgpr73
                                        ; implicit-def: $vgpr74_vgpr75
	s_cbranch_vccz .LBB119_9
; %bb.8:                                ;   in Loop: Header=BB119_3 Depth=1
	s_wait_alu 0xfffe
	s_and_not1_b32 vcc_lo, exec_lo, s1
	s_wait_alu 0xfffe
	s_cbranch_vccnz .LBB119_2
	s_branch .LBB119_10
.LBB119_9:                              ;   in Loop: Header=BB119_3 Depth=1
	v_mul_f64_e32 v[10:11], s[38:39], v[248:249]
	v_dual_mov_b32 v18, v168 :: v_dual_mov_b32 v19, v169
	v_mul_f64_e32 v[12:13], s[40:41], v[252:253]
	v_dual_mov_b32 v69, v17 :: v_dual_mov_b32 v68, v16
	s_clause 0x1
	scratch_load_b64 v[32:33], off, off offset:336
	scratch_load_b64 v[34:35], off, off offset:328
	v_mul_f64_e32 v[16:17], s[40:41], v[18:19]
	v_mul_f64_e32 v[18:19], s[38:39], v[18:19]
	;; [unrolled: 1-line block ×7, first 2 shown]
	v_dual_mov_b32 v22, v164 :: v_dual_mov_b32 v23, v165
	v_dual_mov_b32 v67, v21 :: v_dual_mov_b32 v66, v20
	;; [unrolled: 1-line block ×3, first 2 shown]
	s_delay_alu instid0(VALU_DEP_3) | instskip(SKIP_2) | instid1(VALU_DEP_4)
	v_mul_f64_e32 v[20:21], s[40:41], v[22:23]
	v_mul_f64_e32 v[22:23], s[38:39], v[22:23]
	v_dual_mov_b32 v65, v25 :: v_dual_mov_b32 v64, v24
	v_mul_f64_e32 v[24:25], s[40:41], v[26:27]
	v_dual_mov_b32 v38, v152 :: v_dual_mov_b32 v39, v153
	v_dual_mov_b32 v46, v148 :: v_dual_mov_b32 v47, v149
	v_mul_f64_e32 v[14:15], s[38:39], v[252:253]
	v_mul_f64_e32 v[26:27], s[38:39], v[26:27]
	v_dual_mov_b32 v30, v156 :: v_dual_mov_b32 v31, v157
	v_dual_mov_b32 v42, v150 :: v_dual_mov_b32 v43, v151
	;; [unrolled: 1-line block ×3, first 2 shown]
	v_fma_f64 v[84:85], s[40:41], v[246:247], v[10:11]
	v_dual_mov_b32 v10, v166 :: v_dual_mov_b32 v11, v167
	v_fma_f64 v[86:87], s[38:39], v[250:251], -v[12:13]
	scratch_load_b64 v[12:13], off, off     ; 8-byte Folded Reload
	v_dual_mov_b32 v58, v142 :: v_dual_mov_b32 v59, v143
	v_mul_f64_e32 v[36:37], s[40:41], v[38:39]
	v_mul_f64_e32 v[38:39], s[38:39], v[38:39]
	v_fma_f64 v[92:93], s[40:41], v[10:11], v[18:19]
	scratch_load_b64 v[18:19], off, off offset:8 ; 8-byte Folded Reload
	v_fma_f64 v[82:83], s[38:39], v[246:247], -v[8:9]
	v_dual_mov_b32 v8, v136 :: v_dual_mov_b32 v9, v137
	v_mul_f64_e32 v[44:45], s[40:41], v[46:47]
	v_mul_f64_e32 v[46:47], s[38:39], v[46:47]
	;; [unrolled: 1-line block ×4, first 2 shown]
	v_fma_f64 v[76:77], s[40:41], v[178:179], v[2:3]
	v_fma_f64 v[78:79], s[38:39], v[170:171], -v[4:5]
	v_fma_f64 v[80:81], s[40:41], v[170:171], v[6:7]
	v_mul_f64_e32 v[2:3], s[40:41], v[138:139]
	v_mul_f64_e32 v[4:5], s[38:39], v[138:139]
	;; [unrolled: 1-line block ×11, first 2 shown]
	v_fma_f64 v[74:75], s[38:39], v[178:179], -v[0:1]
	v_mul_f64_e32 v[0:1], s[38:39], v[58:59]
	v_fma_f64 v[90:91], s[38:39], v[10:11], -v[16:17]
	v_dual_mov_b32 v10, v162 :: v_dual_mov_b32 v11, v163
	v_dual_mov_b32 v16, v68 :: v_dual_mov_b32 v17, v69
	v_fma_f64 v[88:89], s[40:41], v[250:251], v[14:15]
	s_delay_alu instid0(VALU_DEP_3)
	v_fma_f64 v[94:95], s[38:39], v[10:11], -v[20:21]
	v_fma_f64 v[96:97], s[40:41], v[10:11], v[22:23]
	v_dual_mov_b32 v10, v158 :: v_dual_mov_b32 v11, v159
	v_dual_mov_b32 v20, v66 :: v_dual_mov_b32 v21, v67
	v_fma_f64 v[106:107], s[38:39], v[16:17], -v[36:37]
	v_fma_f64 v[108:109], s[40:41], v[16:17], v[38:39]
	s_delay_alu instid0(VALU_DEP_4) | instskip(SKIP_3) | instid1(VALU_DEP_3)
	v_fma_f64 v[98:99], s[38:39], v[10:11], -v[24:25]
	v_dual_mov_b32 v24, v64 :: v_dual_mov_b32 v25, v65
	v_fma_f64 v[100:101], s[40:41], v[10:11], v[26:27]
	v_dual_mov_b32 v10, v154 :: v_dual_mov_b32 v11, v155
	v_fma_f64 v[114:115], s[38:39], v[24:25], -v[44:45]
	v_fma_f64 v[116:117], s[40:41], v[24:25], v[46:47]
	v_fma_f64 v[130:131], s[38:39], v[254:255], -v[2:3]
	v_fma_f64 v[132:133], s[40:41], v[254:255], v[4:5]
	v_fma_f64 v[72:73], s[40:41], v[140:141], v[8:9]
	v_fma_f64 v[102:103], s[38:39], v[10:11], -v[28:29]
	v_fma_f64 v[104:105], s[40:41], v[10:11], v[30:31]
	v_fma_f64 v[110:111], s[38:39], v[20:21], -v[40:41]
	;; [unrolled: 2-line block ×4, first 2 shown]
	s_wait_loadcnt 0x3
	v_lshlrev_b64_e32 v[32:33], 4, v[32:33]
	s_wait_loadcnt 0x2
	v_lshlrev_b64_e32 v[34:35], 4, v[34:35]
	s_wait_alu 0xfffe
	s_delay_alu instid0(VALU_DEP_2) | instskip(SKIP_2) | instid1(VALU_DEP_2)
	v_add_co_u32 v32, vcc_lo, s22, v32
	s_wait_alu 0xfffd
	v_add_co_ci_u32_e64 v33, null, s23, v33, vcc_lo
	v_add_co_u32 v10, vcc_lo, v32, v34
	s_wait_alu 0xfffd
	s_delay_alu instid0(VALU_DEP_2)
	v_add_co_ci_u32_e64 v11, null, v33, v35, vcc_lo
	v_add_co_u32 v14, vcc_lo, v32, s18
	s_wait_alu 0xfffd
	v_add_co_ci_u32_e64 v15, null, s19, v33, vcc_lo
	s_wait_loadcnt 0x1
	v_fma_f64 v[118:119], s[38:39], v[12:13], -v[48:49]
	v_fma_f64 v[120:121], s[40:41], v[12:13], v[50:51]
	v_add_co_u32 v12, vcc_lo, v14, v34
	s_wait_alu 0xfffd
	v_add_co_ci_u32_e64 v13, null, v15, v35, vcc_lo
	s_wait_loadcnt 0x0
	v_fma_f64 v[122:123], s[38:39], v[18:19], -v[52:53]
	v_fma_f64 v[124:125], s[40:41], v[18:19], v[54:55]
	v_add_co_u32 v4, vcc_lo, v14, s18
	s_wait_alu 0xfffd
	v_add_co_ci_u32_e64 v5, null, s19, v15, vcc_lo
	s_clause 0x5
	global_store_b128 v[10:11], v[74:77], off
	global_store_b128 v[10:11], v[78:81], off offset:256
	global_store_b128 v[10:11], v[82:85], off offset:512
	;; [unrolled: 1-line block ×3, first 2 shown]
	global_store_b128 v[12:13], v[90:93], off
	global_store_b128 v[12:13], v[94:97], off offset:256
	v_add_co_u32 v2, vcc_lo, v4, v34
	s_wait_alu 0xfffd
	v_add_co_ci_u32_e64 v3, null, v5, v35, vcc_lo
	v_add_co_u32 v4, vcc_lo, v4, s18
	s_wait_alu 0xfffd
	v_add_co_ci_u32_e64 v5, null, s19, v5, vcc_lo
	s_clause 0x1
	global_store_b128 v[12:13], v[98:101], off offset:512
	global_store_b128 v[12:13], v[102:105], off offset:768
	v_add_co_u32 v4, vcc_lo, v4, v34
	s_wait_alu 0xfffd
	v_add_co_ci_u32_e64 v5, null, v5, v35, vcc_lo
	s_clause 0x1
	global_store_b128 v[2:3], v[106:109], off
	global_store_b128 v[2:3], v[110:113], off offset:256
	v_add_co_u32 v74, vcc_lo, 0x300, v4
	s_wait_alu 0xfffd
	v_add_co_ci_u32_e64 v75, null, 0, v5, vcc_lo
	s_clause 0x5
	global_store_b128 v[2:3], v[114:117], off offset:512
	global_store_b128 v[2:3], v[118:121], off offset:768
	global_store_b128 v[4:5], v[122:125], off
	global_store_b128 v[4:5], v[126:129], off offset:256
	global_store_b128 v[4:5], v[130:133], off offset:512
	global_store_b64 v[4:5], v[0:1], off offset:768
	s_cbranch_execnz .LBB119_2
.LBB119_10:                             ;   in Loop: Header=BB119_3 Depth=1
	s_clause 0x1
	scratch_load_b64 v[0:1], off, off offset:328
	scratch_load_b32 v2, off, off offset:360
	s_mul_u64 s[26:27], s[14:15], s[2:3]
	v_mul_f64_e32 v[4:5], s[40:41], v[180:181]
	s_wait_alu 0xfffe
	s_lshl_b64 s[26:27], s[26:27], 4
	v_mul_f64_e32 v[6:7], s[38:39], v[180:181]
	v_dual_mov_b32 v19, v17 :: v_dual_mov_b32 v18, v16
	s_delay_alu instid0(VALU_DEP_3) | instskip(NEXT) | instid1(VALU_DEP_3)
	v_fma_f64 v[4:5], s[38:39], v[178:179], -v[4:5]
	v_fma_f64 v[6:7], s[40:41], v[178:179], v[6:7]
	s_wait_loadcnt 0x1
	v_lshlrev_b64_e32 v[0:1], 4, v[0:1]
	s_wait_loadcnt 0x0
	s_wait_alu 0xfffe
	v_add_co_u32 v14, vcc_lo, v2, s26
	scratch_load_b32 v2, off, off offset:364 ; 4-byte Folded Reload
	s_wait_loadcnt 0x0
	s_wait_alu 0xfffd
	v_add_co_ci_u32_e64 v15, null, s27, v2, vcc_lo
	v_add_co_u32 v2, vcc_lo, v14, v0
	s_wait_alu 0xfffd
	s_delay_alu instid0(VALU_DEP_2) | instskip(SKIP_4) | instid1(VALU_DEP_2)
	v_add_co_ci_u32_e64 v3, null, v15, v1, vcc_lo
	global_load_b128 v[72:75], v[2:3], off
	s_wait_loadcnt 0x0
	v_mul_f64_e32 v[8:9], s[8:9], v[74:75]
	v_mul_f64_e32 v[10:11], s[6:7], v[74:75]
	v_fma_f64 v[8:9], s[6:7], v[72:73], -v[8:9]
	s_delay_alu instid0(VALU_DEP_2) | instskip(NEXT) | instid1(VALU_DEP_2)
	v_fma_f64 v[10:11], s[8:9], v[72:73], v[10:11]
	v_add_f64_e32 v[68:69], v[4:5], v[8:9]
	scratch_load_b64 v[4:5], off, off offset:336 ; 8-byte Folded Reload
	v_add_f64_e32 v[70:71], v[6:7], v[10:11]
	v_mul_f64_e32 v[6:7], s[40:41], v[208:209]
	v_mul_f64_e32 v[8:9], s[38:39], v[208:209]
	s_delay_alu instid0(VALU_DEP_2) | instskip(NEXT) | instid1(VALU_DEP_2)
	v_fma_f64 v[6:7], s[38:39], v[170:171], -v[6:7]
	v_fma_f64 v[8:9], s[40:41], v[170:171], v[8:9]
	s_wait_loadcnt 0x0
	v_lshlrev_b64_e32 v[4:5], 4, v[4:5]
	s_delay_alu instid0(VALU_DEP_1) | instskip(SKIP_1) | instid1(VALU_DEP_2)
	v_add_co_u32 v16, vcc_lo, s22, v4
	s_wait_alu 0xfffd
	v_add_co_ci_u32_e64 v17, null, s23, v5, vcc_lo
	s_delay_alu instid0(VALU_DEP_2) | instskip(SKIP_1) | instid1(VALU_DEP_2)
	v_add_co_u32 v4, vcc_lo, v16, v0
	s_wait_alu 0xfffd
	v_add_co_ci_u32_e64 v5, null, v17, v1, vcc_lo
	v_add_co_u32 v14, vcc_lo, v14, s12
	s_wait_alu 0xfffd
	v_add_co_ci_u32_e64 v15, null, s13, v15, vcc_lo
	global_store_b128 v[4:5], v[68:71], off
	global_load_b128 v[68:71], v[2:3], off offset:256
	s_wait_loadcnt 0x0
	v_mul_f64_e32 v[10:11], s[8:9], v[70:71]
	v_mul_f64_e32 v[12:13], s[6:7], v[70:71]
	s_delay_alu instid0(VALU_DEP_2) | instskip(NEXT) | instid1(VALU_DEP_2)
	v_fma_f64 v[10:11], s[6:7], v[68:69], -v[10:11]
	v_fma_f64 v[12:13], s[8:9], v[68:69], v[12:13]
	s_delay_alu instid0(VALU_DEP_2) | instskip(NEXT) | instid1(VALU_DEP_2)
	v_add_f64_e32 v[64:65], v[6:7], v[10:11]
	v_add_f64_e32 v[66:67], v[8:9], v[12:13]
	v_mul_f64_e32 v[6:7], s[40:41], v[248:249]
	v_mul_f64_e32 v[8:9], s[38:39], v[248:249]
	global_store_b128 v[4:5], v[64:67], off offset:256
	global_load_b128 v[64:67], v[2:3], off offset:512
	v_fma_f64 v[6:7], s[38:39], v[246:247], -v[6:7]
	v_fma_f64 v[8:9], s[40:41], v[246:247], v[8:9]
	s_wait_loadcnt 0x0
	v_mul_f64_e32 v[10:11], s[8:9], v[66:67]
	v_mul_f64_e32 v[12:13], s[6:7], v[66:67]
	s_delay_alu instid0(VALU_DEP_2) | instskip(NEXT) | instid1(VALU_DEP_2)
	v_fma_f64 v[10:11], s[6:7], v[64:65], -v[10:11]
	v_fma_f64 v[12:13], s[8:9], v[64:65], v[12:13]
	s_delay_alu instid0(VALU_DEP_2) | instskip(NEXT) | instid1(VALU_DEP_2)
	v_add_f64_e32 v[60:61], v[6:7], v[10:11]
	v_add_f64_e32 v[62:63], v[8:9], v[12:13]
	v_mul_f64_e32 v[6:7], s[38:39], v[252:253]
	global_store_b128 v[4:5], v[60:63], off offset:512
	global_load_b128 v[60:63], v[2:3], off offset:768
	v_mul_f64_e32 v[2:3], s[40:41], v[252:253]
	v_fma_f64 v[6:7], s[40:41], v[250:251], v[6:7]
	s_delay_alu instid0(VALU_DEP_2) | instskip(SKIP_3) | instid1(VALU_DEP_2)
	v_fma_f64 v[2:3], s[38:39], v[250:251], -v[2:3]
	s_wait_loadcnt 0x0
	v_mul_f64_e32 v[8:9], s[8:9], v[62:63]
	v_mul_f64_e32 v[10:11], s[6:7], v[62:63]
	v_fma_f64 v[8:9], s[6:7], v[60:61], -v[8:9]
	s_delay_alu instid0(VALU_DEP_2) | instskip(NEXT) | instid1(VALU_DEP_2)
	v_fma_f64 v[10:11], s[8:9], v[60:61], v[10:11]
	v_add_f64_e32 v[56:57], v[2:3], v[8:9]
	s_delay_alu instid0(VALU_DEP_2)
	v_add_f64_e32 v[58:59], v[6:7], v[10:11]
	v_add_co_u32 v2, vcc_lo, v14, v0
	s_wait_alu 0xfffd
	v_add_co_ci_u32_e64 v3, null, v15, v1, vcc_lo
	v_mul_f64_e32 v[6:7], s[38:39], v[168:169]
	v_add_co_u32 v16, vcc_lo, v16, s18
	s_wait_alu 0xfffd
	v_add_co_ci_u32_e64 v17, null, s19, v17, vcc_lo
	global_store_b128 v[4:5], v[56:59], off offset:768
	global_load_b128 v[56:59], v[2:3], off
	v_mul_f64_e32 v[4:5], s[40:41], v[168:169]
	v_fma_f64 v[6:7], s[40:41], v[166:167], v[6:7]
	s_delay_alu instid0(VALU_DEP_2) | instskip(SKIP_3) | instid1(VALU_DEP_2)
	v_fma_f64 v[4:5], s[38:39], v[166:167], -v[4:5]
	s_wait_loadcnt 0x0
	v_mul_f64_e32 v[8:9], s[8:9], v[58:59]
	v_mul_f64_e32 v[10:11], s[6:7], v[58:59]
	v_fma_f64 v[8:9], s[6:7], v[56:57], -v[8:9]
	s_delay_alu instid0(VALU_DEP_2) | instskip(NEXT) | instid1(VALU_DEP_2)
	v_fma_f64 v[10:11], s[8:9], v[56:57], v[10:11]
	v_add_f64_e32 v[52:53], v[4:5], v[8:9]
	s_delay_alu instid0(VALU_DEP_2)
	v_add_f64_e32 v[54:55], v[6:7], v[10:11]
	v_add_co_u32 v4, vcc_lo, v16, v0
	s_wait_alu 0xfffd
	v_add_co_ci_u32_e64 v5, null, v17, v1, vcc_lo
	v_mul_f64_e32 v[6:7], s[40:41], v[164:165]
	v_mul_f64_e32 v[8:9], s[38:39], v[164:165]
	v_add_co_u32 v14, vcc_lo, v14, s12
	s_wait_alu 0xfffd
	v_add_co_ci_u32_e64 v15, null, s13, v15, vcc_lo
	global_store_b128 v[4:5], v[52:55], off
	global_load_b128 v[52:55], v[2:3], off offset:256
	v_fma_f64 v[6:7], s[38:39], v[162:163], -v[6:7]
	v_fma_f64 v[8:9], s[40:41], v[162:163], v[8:9]
	s_wait_loadcnt 0x0
	v_mul_f64_e32 v[10:11], s[8:9], v[54:55]
	v_mul_f64_e32 v[12:13], s[6:7], v[54:55]
	s_delay_alu instid0(VALU_DEP_2) | instskip(NEXT) | instid1(VALU_DEP_2)
	v_fma_f64 v[10:11], s[6:7], v[52:53], -v[10:11]
	v_fma_f64 v[12:13], s[8:9], v[52:53], v[12:13]
	s_delay_alu instid0(VALU_DEP_2) | instskip(NEXT) | instid1(VALU_DEP_2)
	v_add_f64_e32 v[48:49], v[6:7], v[10:11]
	v_add_f64_e32 v[50:51], v[8:9], v[12:13]
	v_mul_f64_e32 v[6:7], s[40:41], v[160:161]
	v_mul_f64_e32 v[8:9], s[38:39], v[160:161]
	global_store_b128 v[4:5], v[48:51], off offset:256
	global_load_b128 v[48:51], v[2:3], off offset:512
	v_fma_f64 v[6:7], s[38:39], v[158:159], -v[6:7]
	v_fma_f64 v[8:9], s[40:41], v[158:159], v[8:9]
	s_wait_loadcnt 0x0
	v_mul_f64_e32 v[10:11], s[8:9], v[50:51]
	v_mul_f64_e32 v[12:13], s[6:7], v[50:51]
	s_delay_alu instid0(VALU_DEP_2) | instskip(NEXT) | instid1(VALU_DEP_2)
	v_fma_f64 v[10:11], s[6:7], v[48:49], -v[10:11]
	v_fma_f64 v[12:13], s[8:9], v[48:49], v[12:13]
	s_delay_alu instid0(VALU_DEP_2) | instskip(NEXT) | instid1(VALU_DEP_2)
	v_add_f64_e32 v[44:45], v[6:7], v[10:11]
	v_add_f64_e32 v[46:47], v[8:9], v[12:13]
	v_mul_f64_e32 v[6:7], s[38:39], v[156:157]
	global_store_b128 v[4:5], v[44:47], off offset:512
	global_load_b128 v[44:47], v[2:3], off offset:768
	v_mul_f64_e32 v[2:3], s[40:41], v[156:157]
	v_fma_f64 v[6:7], s[40:41], v[154:155], v[6:7]
	s_delay_alu instid0(VALU_DEP_2) | instskip(SKIP_3) | instid1(VALU_DEP_2)
	v_fma_f64 v[2:3], s[38:39], v[154:155], -v[2:3]
	s_wait_loadcnt 0x0
	v_mul_f64_e32 v[8:9], s[8:9], v[46:47]
	v_mul_f64_e32 v[10:11], s[6:7], v[46:47]
	v_fma_f64 v[8:9], s[6:7], v[44:45], -v[8:9]
	s_delay_alu instid0(VALU_DEP_2) | instskip(NEXT) | instid1(VALU_DEP_2)
	v_fma_f64 v[10:11], s[8:9], v[44:45], v[10:11]
	v_add_f64_e32 v[40:41], v[2:3], v[8:9]
	s_delay_alu instid0(VALU_DEP_2)
	v_add_f64_e32 v[42:43], v[6:7], v[10:11]
	v_add_co_u32 v2, vcc_lo, v14, v0
	s_wait_alu 0xfffd
	v_add_co_ci_u32_e64 v3, null, v15, v1, vcc_lo
	v_mul_f64_e32 v[6:7], s[38:39], v[152:153]
	v_add_co_u32 v16, vcc_lo, v16, s18
	s_wait_alu 0xfffd
	v_add_co_ci_u32_e64 v17, null, s19, v17, vcc_lo
	global_store_b128 v[4:5], v[40:43], off offset:768
	global_load_b128 v[40:43], v[2:3], off
	v_mul_f64_e32 v[4:5], s[40:41], v[152:153]
	v_fma_f64 v[6:7], s[40:41], v[18:19], v[6:7]
	s_delay_alu instid0(VALU_DEP_2) | instskip(SKIP_4) | instid1(VALU_DEP_2)
	v_fma_f64 v[4:5], s[38:39], v[18:19], -v[4:5]
	scratch_load_b64 v[18:19], off, off offset:8 th:TH_LOAD_LU ; 8-byte Folded Reload
	s_wait_loadcnt 0x1
	v_mul_f64_e32 v[8:9], s[8:9], v[42:43]
	v_mul_f64_e32 v[10:11], s[6:7], v[42:43]
	v_fma_f64 v[8:9], s[6:7], v[40:41], -v[8:9]
	s_delay_alu instid0(VALU_DEP_2) | instskip(NEXT) | instid1(VALU_DEP_2)
	v_fma_f64 v[10:11], s[8:9], v[40:41], v[10:11]
	v_add_f64_e32 v[36:37], v[4:5], v[8:9]
	s_delay_alu instid0(VALU_DEP_2)
	v_add_f64_e32 v[38:39], v[6:7], v[10:11]
	v_add_co_u32 v4, vcc_lo, v16, v0
	s_wait_alu 0xfffd
	v_add_co_ci_u32_e64 v5, null, v17, v1, vcc_lo
	v_mul_f64_e32 v[6:7], s[40:41], v[150:151]
	v_mul_f64_e32 v[8:9], s[38:39], v[150:151]
	global_store_b128 v[4:5], v[36:39], off
	global_load_b128 v[36:39], v[2:3], off offset:256
	v_fma_f64 v[6:7], s[38:39], v[20:21], -v[6:7]
	v_fma_f64 v[8:9], s[40:41], v[20:21], v[8:9]
	scratch_load_b64 v[20:21], off, off th:TH_LOAD_LU ; 8-byte Folded Reload
	s_wait_loadcnt 0x1
	v_mul_f64_e32 v[10:11], s[8:9], v[38:39]
	v_mul_f64_e32 v[12:13], s[6:7], v[38:39]
	s_delay_alu instid0(VALU_DEP_2) | instskip(NEXT) | instid1(VALU_DEP_2)
	v_fma_f64 v[10:11], s[6:7], v[36:37], -v[10:11]
	v_fma_f64 v[12:13], s[8:9], v[36:37], v[12:13]
	s_delay_alu instid0(VALU_DEP_2) | instskip(NEXT) | instid1(VALU_DEP_2)
	v_add_f64_e32 v[32:33], v[6:7], v[10:11]
	v_add_f64_e32 v[34:35], v[8:9], v[12:13]
	v_mul_f64_e32 v[6:7], s[40:41], v[148:149]
	v_mul_f64_e32 v[8:9], s[38:39], v[148:149]
	global_store_b128 v[4:5], v[32:35], off offset:256
	global_load_b128 v[32:35], v[2:3], off offset:512
	v_fma_f64 v[6:7], s[38:39], v[24:25], -v[6:7]
	v_fma_f64 v[8:9], s[40:41], v[24:25], v[8:9]
	s_wait_loadcnt 0x0
	v_mul_f64_e32 v[10:11], s[8:9], v[34:35]
	v_mul_f64_e32 v[12:13], s[6:7], v[34:35]
	s_delay_alu instid0(VALU_DEP_2) | instskip(NEXT) | instid1(VALU_DEP_2)
	v_fma_f64 v[10:11], s[6:7], v[32:33], -v[10:11]
	v_fma_f64 v[12:13], s[8:9], v[32:33], v[12:13]
	s_delay_alu instid0(VALU_DEP_2) | instskip(NEXT) | instid1(VALU_DEP_2)
	v_add_f64_e32 v[28:29], v[6:7], v[10:11]
	v_add_f64_e32 v[30:31], v[8:9], v[12:13]
	v_mul_f64_e32 v[6:7], s[38:39], v[146:147]
	global_store_b128 v[4:5], v[28:31], off offset:512
	global_load_b128 v[28:31], v[2:3], off offset:768
	v_mul_f64_e32 v[2:3], s[40:41], v[146:147]
	v_fma_f64 v[6:7], s[40:41], v[20:21], v[6:7]
	s_delay_alu instid0(VALU_DEP_2) | instskip(SKIP_3) | instid1(VALU_DEP_2)
	v_fma_f64 v[2:3], s[38:39], v[20:21], -v[2:3]
	s_wait_loadcnt 0x0
	v_mul_f64_e32 v[8:9], s[8:9], v[30:31]
	v_mul_f64_e32 v[10:11], s[6:7], v[30:31]
	v_fma_f64 v[8:9], s[6:7], v[28:29], -v[8:9]
	s_delay_alu instid0(VALU_DEP_2) | instskip(NEXT) | instid1(VALU_DEP_2)
	v_fma_f64 v[10:11], s[8:9], v[28:29], v[10:11]
	v_add_f64_e32 v[24:25], v[2:3], v[8:9]
	s_delay_alu instid0(VALU_DEP_2) | instskip(SKIP_4) | instid1(VALU_DEP_3)
	v_add_f64_e32 v[26:27], v[6:7], v[10:11]
	v_add_co_u32 v2, vcc_lo, v14, s12
	s_wait_alu 0xfffd
	v_add_co_ci_u32_e64 v3, null, s13, v15, vcc_lo
	v_mul_f64_e32 v[6:7], s[38:39], v[206:207]
	v_add_co_u32 v2, vcc_lo, v2, v0
	s_wait_alu 0xfffd
	s_delay_alu instid0(VALU_DEP_3) | instskip(SKIP_4) | instid1(VALU_DEP_2)
	v_add_co_ci_u32_e64 v3, null, v3, v1, vcc_lo
	global_store_b128 v[4:5], v[24:27], off offset:768
	global_load_b128 v[24:27], v[2:3], off
	v_mul_f64_e32 v[4:5], s[40:41], v[206:207]
	v_fma_f64 v[6:7], s[40:41], v[18:19], v[6:7]
	v_fma_f64 v[4:5], s[38:39], v[18:19], -v[4:5]
	s_wait_loadcnt 0x0
	v_mul_f64_e32 v[8:9], s[8:9], v[26:27]
	v_mul_f64_e32 v[10:11], s[6:7], v[26:27]
	s_delay_alu instid0(VALU_DEP_2) | instskip(NEXT) | instid1(VALU_DEP_2)
	v_fma_f64 v[8:9], s[6:7], v[24:25], -v[8:9]
	v_fma_f64 v[10:11], s[8:9], v[24:25], v[10:11]
	s_delay_alu instid0(VALU_DEP_2) | instskip(NEXT) | instid1(VALU_DEP_2)
	v_add_f64_e32 v[20:21], v[4:5], v[8:9]
	v_add_f64_e32 v[22:23], v[6:7], v[10:11]
	v_add_co_u32 v4, vcc_lo, v16, s18
	s_wait_alu 0xfffd
	v_add_co_ci_u32_e64 v5, null, s19, v17, vcc_lo
	v_mul_f64_e32 v[6:7], s[38:39], v[142:143]
	s_delay_alu instid0(VALU_DEP_3) | instskip(SKIP_1) | instid1(VALU_DEP_3)
	v_add_co_u32 v0, vcc_lo, v4, v0
	s_wait_alu 0xfffd
	v_add_co_ci_u32_e64 v1, null, v5, v1, vcc_lo
	v_mul_f64_e32 v[4:5], s[40:41], v[142:143]
	s_delay_alu instid0(VALU_DEP_3) | instskip(SKIP_1) | instid1(VALU_DEP_3)
	v_add_co_u32 v74, vcc_lo, 0x300, v0
	s_wait_alu 0xfffd
	v_add_co_ci_u32_e64 v75, null, 0, v1, vcc_lo
	global_store_b128 v[0:1], v[20:23], off
	global_load_b128 v[20:23], v[2:3], off offset:256
	v_fma_f64 v[6:7], s[40:41], v[176:177], v[6:7]
	v_fma_f64 v[4:5], s[38:39], v[176:177], -v[4:5]
	s_wait_loadcnt 0x0
	v_mul_f64_e32 v[8:9], s[8:9], v[22:23]
	v_mul_f64_e32 v[10:11], s[6:7], v[22:23]
	s_delay_alu instid0(VALU_DEP_2) | instskip(NEXT) | instid1(VALU_DEP_2)
	v_fma_f64 v[8:9], s[6:7], v[20:21], -v[8:9]
	v_fma_f64 v[10:11], s[8:9], v[20:21], v[10:11]
	s_delay_alu instid0(VALU_DEP_2) | instskip(NEXT) | instid1(VALU_DEP_2)
	v_add_f64_e32 v[16:17], v[4:5], v[8:9]
	v_add_f64_e32 v[18:19], v[6:7], v[10:11]
	v_mul_f64_e32 v[4:5], s[40:41], v[138:139]
	v_mul_f64_e32 v[6:7], s[38:39], v[138:139]
	global_store_b128 v[0:1], v[16:19], off offset:256
	global_load_b128 v[16:19], v[2:3], off offset:512
	v_fma_f64 v[4:5], s[38:39], v[254:255], -v[4:5]
	v_fma_f64 v[6:7], s[40:41], v[254:255], v[6:7]
	s_wait_loadcnt 0x0
	v_mul_f64_e32 v[8:9], s[8:9], v[18:19]
	v_mul_f64_e32 v[10:11], s[6:7], v[18:19]
	s_delay_alu instid0(VALU_DEP_2) | instskip(NEXT) | instid1(VALU_DEP_2)
	v_fma_f64 v[8:9], s[6:7], v[16:17], -v[8:9]
	v_fma_f64 v[10:11], s[8:9], v[16:17], v[10:11]
	s_delay_alu instid0(VALU_DEP_2) | instskip(NEXT) | instid1(VALU_DEP_2)
	v_add_f64_e32 v[12:13], v[4:5], v[8:9]
	v_add_f64_e32 v[14:15], v[6:7], v[10:11]
	v_mul_f64_e32 v[4:5], s[38:39], v[136:137]
	global_store_b128 v[0:1], v[12:15], off offset:512
	global_load_b128 v[12:15], v[2:3], off offset:768
	v_mul_f64_e32 v[2:3], s[40:41], v[136:137]
	v_fma_f64 v[4:5], s[40:41], v[140:141], v[4:5]
	s_delay_alu instid0(VALU_DEP_2) | instskip(SKIP_3) | instid1(VALU_DEP_2)
	v_fma_f64 v[2:3], s[38:39], v[140:141], -v[2:3]
	s_wait_loadcnt 0x0
	v_mul_f64_e32 v[6:7], s[8:9], v[14:15]
	v_mul_f64_e32 v[8:9], s[6:7], v[14:15]
	v_fma_f64 v[6:7], s[6:7], v[12:13], -v[6:7]
	s_delay_alu instid0(VALU_DEP_2) | instskip(NEXT) | instid1(VALU_DEP_2)
	v_fma_f64 v[8:9], s[8:9], v[12:13], v[8:9]
	v_add_f64_e32 v[2:3], v[2:3], v[6:7]
	s_delay_alu instid0(VALU_DEP_2)
	v_add_f64_e32 v[72:73], v[4:5], v[8:9]
	global_store_b64 v[0:1], v[2:3], off offset:768
	s_branch .LBB119_2
.LBB119_11:
	s_nop 0
	s_sendmsg sendmsg(MSG_DEALLOC_VGPRS)
	s_endpgm
	.section	.rodata,"a",@progbits
	.p2align	6, 0x0
	.amdhsa_kernel _ZN12_GLOBAL__N_127rocblas_gemm_batched_kernelI19rocblas_complex_numIdELi16ELi16ELi64ELi64ELi4ELi64ELi4ELi4ELi64ELc84ELc78EKS2_S3_S2_EEvlllT_PT11_llS6_llS4_PT12_llPT13_lli
		.amdhsa_group_segment_fixed_size 8192
		.amdhsa_private_segment_fixed_size 372
		.amdhsa_kernarg_size 156
		.amdhsa_user_sgpr_count 2
		.amdhsa_user_sgpr_dispatch_ptr 0
		.amdhsa_user_sgpr_queue_ptr 0
		.amdhsa_user_sgpr_kernarg_segment_ptr 1
		.amdhsa_user_sgpr_dispatch_id 0
		.amdhsa_user_sgpr_private_segment_size 0
		.amdhsa_wavefront_size32 1
		.amdhsa_uses_dynamic_stack 0
		.amdhsa_enable_private_segment 1
		.amdhsa_system_sgpr_workgroup_id_x 1
		.amdhsa_system_sgpr_workgroup_id_y 1
		.amdhsa_system_sgpr_workgroup_id_z 1
		.amdhsa_system_sgpr_workgroup_info 0
		.amdhsa_system_vgpr_workitem_id 1
		.amdhsa_next_free_vgpr 256
		.amdhsa_next_free_sgpr 52
		.amdhsa_reserve_vcc 1
		.amdhsa_float_round_mode_32 0
		.amdhsa_float_round_mode_16_64 0
		.amdhsa_float_denorm_mode_32 3
		.amdhsa_float_denorm_mode_16_64 3
		.amdhsa_fp16_overflow 0
		.amdhsa_workgroup_processor_mode 1
		.amdhsa_memory_ordered 1
		.amdhsa_forward_progress 1
		.amdhsa_inst_pref_size 67
		.amdhsa_round_robin_scheduling 0
		.amdhsa_exception_fp_ieee_invalid_op 0
		.amdhsa_exception_fp_denorm_src 0
		.amdhsa_exception_fp_ieee_div_zero 0
		.amdhsa_exception_fp_ieee_overflow 0
		.amdhsa_exception_fp_ieee_underflow 0
		.amdhsa_exception_fp_ieee_inexact 0
		.amdhsa_exception_int_div_zero 0
	.end_amdhsa_kernel
	.section	.text._ZN12_GLOBAL__N_127rocblas_gemm_batched_kernelI19rocblas_complex_numIdELi16ELi16ELi64ELi64ELi4ELi64ELi4ELi4ELi64ELc84ELc78EKS2_S3_S2_EEvlllT_PT11_llS6_llS4_PT12_llPT13_lli,"axG",@progbits,_ZN12_GLOBAL__N_127rocblas_gemm_batched_kernelI19rocblas_complex_numIdELi16ELi16ELi64ELi64ELi4ELi64ELi4ELi4ELi64ELc84ELc78EKS2_S3_S2_EEvlllT_PT11_llS6_llS4_PT12_llPT13_lli,comdat
.Lfunc_end119:
	.size	_ZN12_GLOBAL__N_127rocblas_gemm_batched_kernelI19rocblas_complex_numIdELi16ELi16ELi64ELi64ELi4ELi64ELi4ELi4ELi64ELc84ELc78EKS2_S3_S2_EEvlllT_PT11_llS6_llS4_PT12_llPT13_lli, .Lfunc_end119-_ZN12_GLOBAL__N_127rocblas_gemm_batched_kernelI19rocblas_complex_numIdELi16ELi16ELi64ELi64ELi4ELi64ELi4ELi4ELi64ELc84ELc78EKS2_S3_S2_EEvlllT_PT11_llS6_llS4_PT12_llPT13_lli
                                        ; -- End function
	.set _ZN12_GLOBAL__N_127rocblas_gemm_batched_kernelI19rocblas_complex_numIdELi16ELi16ELi64ELi64ELi4ELi64ELi4ELi4ELi64ELc84ELc78EKS2_S3_S2_EEvlllT_PT11_llS6_llS4_PT12_llPT13_lli.num_vgpr, 256
	.set _ZN12_GLOBAL__N_127rocblas_gemm_batched_kernelI19rocblas_complex_numIdELi16ELi16ELi64ELi64ELi4ELi64ELi4ELi4ELi64ELc84ELc78EKS2_S3_S2_EEvlllT_PT11_llS6_llS4_PT12_llPT13_lli.num_agpr, 0
	.set _ZN12_GLOBAL__N_127rocblas_gemm_batched_kernelI19rocblas_complex_numIdELi16ELi16ELi64ELi64ELi4ELi64ELi4ELi4ELi64ELc84ELc78EKS2_S3_S2_EEvlllT_PT11_llS6_llS4_PT12_llPT13_lli.numbered_sgpr, 52
	.set _ZN12_GLOBAL__N_127rocblas_gemm_batched_kernelI19rocblas_complex_numIdELi16ELi16ELi64ELi64ELi4ELi64ELi4ELi4ELi64ELc84ELc78EKS2_S3_S2_EEvlllT_PT11_llS6_llS4_PT12_llPT13_lli.num_named_barrier, 0
	.set _ZN12_GLOBAL__N_127rocblas_gemm_batched_kernelI19rocblas_complex_numIdELi16ELi16ELi64ELi64ELi4ELi64ELi4ELi4ELi64ELc84ELc78EKS2_S3_S2_EEvlllT_PT11_llS6_llS4_PT12_llPT13_lli.private_seg_size, 372
	.set _ZN12_GLOBAL__N_127rocblas_gemm_batched_kernelI19rocblas_complex_numIdELi16ELi16ELi64ELi64ELi4ELi64ELi4ELi4ELi64ELc84ELc78EKS2_S3_S2_EEvlllT_PT11_llS6_llS4_PT12_llPT13_lli.uses_vcc, 1
	.set _ZN12_GLOBAL__N_127rocblas_gemm_batched_kernelI19rocblas_complex_numIdELi16ELi16ELi64ELi64ELi4ELi64ELi4ELi4ELi64ELc84ELc78EKS2_S3_S2_EEvlllT_PT11_llS6_llS4_PT12_llPT13_lli.uses_flat_scratch, 1
	.set _ZN12_GLOBAL__N_127rocblas_gemm_batched_kernelI19rocblas_complex_numIdELi16ELi16ELi64ELi64ELi4ELi64ELi4ELi4ELi64ELc84ELc78EKS2_S3_S2_EEvlllT_PT11_llS6_llS4_PT12_llPT13_lli.has_dyn_sized_stack, 0
	.set _ZN12_GLOBAL__N_127rocblas_gemm_batched_kernelI19rocblas_complex_numIdELi16ELi16ELi64ELi64ELi4ELi64ELi4ELi4ELi64ELc84ELc78EKS2_S3_S2_EEvlllT_PT11_llS6_llS4_PT12_llPT13_lli.has_recursion, 0
	.set _ZN12_GLOBAL__N_127rocblas_gemm_batched_kernelI19rocblas_complex_numIdELi16ELi16ELi64ELi64ELi4ELi64ELi4ELi4ELi64ELc84ELc78EKS2_S3_S2_EEvlllT_PT11_llS6_llS4_PT12_llPT13_lli.has_indirect_call, 0
	.section	.AMDGPU.csdata,"",@progbits
; Kernel info:
; codeLenInByte = 8516
; TotalNumSgprs: 54
; NumVgprs: 256
; ScratchSize: 372
; MemoryBound: 0
; FloatMode: 240
; IeeeMode: 1
; LDSByteSize: 8192 bytes/workgroup (compile time only)
; SGPRBlocks: 0
; VGPRBlocks: 31
; NumSGPRsForWavesPerEU: 54
; NumVGPRsForWavesPerEU: 256
; Occupancy: 5
; WaveLimiterHint : 1
; COMPUTE_PGM_RSRC2:SCRATCH_EN: 1
; COMPUTE_PGM_RSRC2:USER_SGPR: 2
; COMPUTE_PGM_RSRC2:TRAP_HANDLER: 0
; COMPUTE_PGM_RSRC2:TGID_X_EN: 1
; COMPUTE_PGM_RSRC2:TGID_Y_EN: 1
; COMPUTE_PGM_RSRC2:TGID_Z_EN: 1
; COMPUTE_PGM_RSRC2:TIDIG_COMP_CNT: 1
	.section	.text._ZN12_GLOBAL__N_127rocblas_gemm_batched_kernelI19rocblas_complex_numIdELi16ELi16ELi64ELi64ELi4ELi64ELi4ELi4ELi64ELc78ELc84EKS2_S3_S2_EEvlllT_PT11_llS6_llS4_PT12_llPT13_lli,"axG",@progbits,_ZN12_GLOBAL__N_127rocblas_gemm_batched_kernelI19rocblas_complex_numIdELi16ELi16ELi64ELi64ELi4ELi64ELi4ELi4ELi64ELc78ELc84EKS2_S3_S2_EEvlllT_PT11_llS6_llS4_PT12_llPT13_lli,comdat
	.globl	_ZN12_GLOBAL__N_127rocblas_gemm_batched_kernelI19rocblas_complex_numIdELi16ELi16ELi64ELi64ELi4ELi64ELi4ELi4ELi64ELc78ELc84EKS2_S3_S2_EEvlllT_PT11_llS6_llS4_PT12_llPT13_lli ; -- Begin function _ZN12_GLOBAL__N_127rocblas_gemm_batched_kernelI19rocblas_complex_numIdELi16ELi16ELi64ELi64ELi4ELi64ELi4ELi4ELi64ELc78ELc84EKS2_S3_S2_EEvlllT_PT11_llS6_llS4_PT12_llPT13_lli
	.p2align	8
	.type	_ZN12_GLOBAL__N_127rocblas_gemm_batched_kernelI19rocblas_complex_numIdELi16ELi16ELi64ELi64ELi4ELi64ELi4ELi4ELi64ELc78ELc84EKS2_S3_S2_EEvlllT_PT11_llS6_llS4_PT12_llPT13_lli,@function
_ZN12_GLOBAL__N_127rocblas_gemm_batched_kernelI19rocblas_complex_numIdELi16ELi16ELi64ELi64ELi4ELi64ELi4ELi4ELi64ELc78ELc84EKS2_S3_S2_EEvlllT_PT11_llS6_llS4_PT12_llPT13_lli: ; @_ZN12_GLOBAL__N_127rocblas_gemm_batched_kernelI19rocblas_complex_numIdELi16ELi16ELi64ELi64ELi4ELi64ELi4ELi4ELi64ELc78ELc84EKS2_S3_S2_EEvlllT_PT11_llS6_llS4_PT12_llPT13_lli
; %bb.0:
	s_load_b32 s28, s[0:1], 0x98
	s_lshr_b32 s2, ttmp7, 16
	s_wait_kmcnt 0x0
	s_cmp_ge_i32 s2, s28
	s_cbranch_scc1 .LBB120_11
; %bb.1:
	v_and_b32_e32 v1, 0x3ff, v0
	v_bfe_u32 v2, v0, 10, 10
	s_clause 0x2
	s_load_b512 s[4:19], s[0:1], 0x50
	s_load_b512 s[36:51], s[0:1], 0x10
	s_load_b64 s[20:21], s[0:1], 0x90
	s_mov_b32 s22, ttmp9
	s_ashr_i32 s23, ttmp9, 31
	s_lshl_b32 s24, ttmp7, 6
	v_lshl_add_u32 v4, v2, 4, v1
	s_lshl_b64 s[0:1], s[22:23], 6
	s_and_b32 s22, s24, 0x3fffc0
	v_lshl_add_u32 v205, v2, 6, 0x1000
	v_add_nc_u32_e32 v14, s22, v2
	v_lshrrev_b32_e32 v11, 2, v4
	v_lshrrev_b32_e32 v13, 6, v4
	s_mov_b32 s3, 0
	s_delay_alu instid0(VALU_DEP_2)
	v_add_co_u32 v2, s22, v11, s22
	s_wait_alu 0xf1ff
	v_add_co_ci_u32_e64 v3, null, 0, 0, s22
	v_add_co_u32 v5, s22, s0, v1
	s_wait_alu 0xf1ff
	v_add_co_ci_u32_e64 v6, null, s1, 0, s22
	s_wait_kmcnt 0x0
	v_mad_co_u64_u32 v[16:17], null, v14, s18, 0
	v_and_b32_e32 v0, 3, v0
	scratch_store_b64 off, v[5:6], off offset:328 ; 8-byte Folded Spill
	v_mad_co_u64_u32 v[8:9], null, s44, v13, s[0:1]
	v_cmp_eq_f64_e64 s23, s[6:7], 0
	v_mad_co_u64_u32 v[6:7], null, s50, v0, v[2:3]
	v_dual_mov_b32 v3, v17 :: v_dual_lshlrev_b32 v10, 4, v0
	v_cmp_eq_f64_e64 s24, s[8:9], 0
	v_cmp_gt_i64_e64 s0, s[36:37], 0
	s_lshl_b64 s[4:5], s[4:5], 4
	v_lshl_or_b32 v15, v11, 6, v10
	v_mad_co_u64_u32 v[10:11], null, s51, v0, v[7:8]
	v_lshlrev_b32_e32 v204, 4, v1
	v_and_b32_e32 v1, 63, v4
	v_mad_co_u64_u32 v[4:5], null, v14, s12, 0
	v_add_nc_u32_e32 v135, 0x1000, v15
	s_delay_alu instid0(VALU_DEP_3) | instskip(SKIP_3) | instid1(VALU_DEP_4)
	v_lshlrev_b32_e32 v2, 4, v1
	v_add_co_u32 v8, vcc_lo, v8, v1
	v_mov_b32_e32 v7, v10
	v_mad_co_u64_u32 v[11:12], null, v14, s13, v[5:6]
	v_lshl_or_b32 v134, v13, 10, v2
	v_mad_co_u64_u32 v[12:13], null, s45, v13, v[9:10]
	v_mad_co_u64_u32 v[13:14], null, v14, s19, v[3:4]
	v_lshlrev_b64_e32 v[6:7], 4, v[6:7]
	v_mov_b32_e32 v5, v11
	s_delay_alu instid0(VALU_DEP_4) | instskip(NEXT) | instid1(VALU_DEP_2)
	v_add_co_ci_u32_e64 v9, null, 0, v12, vcc_lo
	v_lshlrev_b64_e32 v[4:5], 4, v[4:5]
	v_mov_b32_e32 v17, v13
	s_delay_alu instid0(VALU_DEP_3) | instskip(NEXT) | instid1(VALU_DEP_3)
	v_lshlrev_b64_e32 v[8:9], 4, v[8:9]
	v_add_co_u32 v0, vcc_lo, s10, v4
	s_and_b32 s29, s23, s24
	s_lshl_b64 s[24:25], s[18:19], 4
	s_lshl_b64 s[22:23], s[12:13], 4
	scratch_store_b32 off, v0, off offset:360 ; 4-byte Folded Spill
	s_wait_alu 0xfffd
	v_add_co_ci_u32_e64 v0, null, s11, v5, vcc_lo
	s_lshl_b64 s[10:11], s[46:47], 4
	s_lshl_b64 s[12:13], s[44:45], 6
	;; [unrolled: 1-line block ×3, first 2 shown]
	scratch_store_b32 off, v0, off offset:364 ; 4-byte Folded Spill
	v_add_co_u32 v0, vcc_lo, s42, v8
	s_wait_alu 0xfffd
	v_add_co_ci_u32_e64 v1, null, s43, v9, vcc_lo
	scratch_store_b64 off, v[16:17], off offset:336 ; 8-byte Folded Spill
	s_wait_alu 0xfffe
	s_lshl_b64 s[22:23], s[22:23], 4
	s_lshl_b64 s[24:25], s[24:25], 4
	scratch_store_b64 off, v[0:1], off offset:344 ; 8-byte Folded Spill
	v_cndmask_b32_e64 v0, 0, 1, s0
	v_add_co_u32 v1, vcc_lo, s48, v6
	s_wait_alu 0xfffd
	v_add_co_ci_u32_e64 v2, null, s49, v7, vcc_lo
	s_delay_alu instid0(VALU_DEP_3)
	v_cmp_ne_u32_e64 s0, 1, v0
	s_clause 0x2
	scratch_store_b64 off, v[1:2], off offset:352
	scratch_store_b32 off, v134, off offset:320
	scratch_store_b32 off, v135, off offset:324
	s_branch .LBB120_3
.LBB120_2:                              ;   in Loop: Header=BB120_3 Depth=1
	s_add_co_i32 s2, s2, 0x10000
	global_store_b64 v[74:75], v[72:73], off offset:8
	s_wait_alu 0xfffe
	s_cmp_lt_i32 s2, s28
	s_cbranch_scc0 .LBB120_11
.LBB120_3:                              ; =>This Loop Header: Depth=1
                                        ;     Child Loop BB120_5 Depth 2
	s_and_b32 vcc_lo, exec_lo, s0
	s_wait_alu 0xfffe
	s_cbranch_vccnz .LBB120_6
; %bb.4:                                ;   in Loop: Header=BB120_3 Depth=1
	scratch_load_b64 v[0:1], off, off offset:344 ; 8-byte Folded Reload
	v_mov_b32_e32 v176, 0
	v_mov_b32_e32 v32, 0
	v_mov_b32_e32 v140, 0
	v_dual_mov_b32 v141, 0 :: v_dual_mov_b32 v138, 0
	v_mov_b32_e32 v36, 0
	v_dual_mov_b32 v206, 0 :: v_dual_mov_b32 v33, 0
	v_mov_b32_e32 v139, 0
	v_mov_b32_e32 v37, 0
	;; [unrolled: 1-line block ×3, first 2 shown]
	s_mov_b64 s[26:27], 0
	v_mov_b32_e32 v24, 0
	v_dual_mov_b32 v25, 0 :: v_dual_mov_b32 v22, 0
	v_dual_mov_b32 v23, 0 :: v_dual_mov_b32 v18, 0
	;; [unrolled: 1-line block ×19, first 2 shown]
	v_mov_b32_e32 v179, 0
	s_wait_loadcnt 0x0
	v_mad_co_u64_u32 v[26:27], null, s10, s2, v[0:1]
	scratch_load_b64 v[0:1], off, off offset:352 ; 8-byte Folded Reload
	v_dual_mov_b32 v177, 0 :: v_dual_mov_b32 v20, v27
	s_delay_alu instid0(VALU_DEP_1) | instskip(SKIP_2) | instid1(VALU_DEP_3)
	v_mad_co_u64_u32 v[28:29], null, s11, s2, v[20:21]
	v_mov_b32_e32 v20, 0
	v_mov_b32_e32 v21, 0
	;; [unrolled: 1-line block ×3, first 2 shown]
	s_wait_loadcnt 0x0
	v_mad_co_u64_u32 v[30:31], null, s4, s2, v[0:1]
	v_mov_b32_e32 v0, 0
	v_mov_b32_e32 v1, 0
	s_delay_alu instid0(VALU_DEP_3)
	v_mov_b32_e32 v29, v31
	scratch_store_b64 off, v[0:1], off offset:8 ; 8-byte Folded Spill
	v_mov_b32_e32 v0, 0
	v_mov_b32_e32 v1, 0
	v_mad_co_u64_u32 v[75:76], null, s5, s2, v[29:30]
	v_mov_b32_e32 v28, 0
	v_mov_b32_e32 v29, 0
	scratch_store_b64 off, v[0:1], off      ; 8-byte Folded Spill
	v_mov_b32_e32 v0, 0
	v_mov_b32_e32 v1, 0
	v_dual_mov_b32 v31, v75 :: v_dual_mov_b32 v74, 0
	v_mov_b32_e32 v75, 0
.LBB120_5:                              ;   Parent Loop BB120_3 Depth=1
                                        ; =>  This Inner Loop Header: Depth=2
	s_clause 0x3
	scratch_store_b64 off, v[138:139], off offset:40
	scratch_store_b64 off, v[140:141], off offset:32
	;; [unrolled: 1-line block ×4, first 2 shown]
	global_load_b128 v[76:79], v[26:27], off
	global_load_b128 v[80:83], v[30:31], off
	v_dual_mov_b32 v38, v172 :: v_dual_mov_b32 v39, v173
	v_dual_mov_b32 v72, v176 :: v_dual_mov_b32 v73, v177
	;; [unrolled: 1-line block ×3, first 2 shown]
	s_wait_alu 0xfffe
	s_add_nc_u64 s[26:27], s[26:27], 4
	s_wait_loadcnt 0x1
	ds_store_2addr_b64 v134, v[76:77], v[78:79] offset1:1
	s_wait_loadcnt 0x0
	ds_store_2addr_b64 v135, v[80:81], v[82:83] offset1:1
	s_wait_storecnt_dscnt 0x0
	s_barrier_signal -1
	s_barrier_wait -1
	global_inv scope:SCOPE_SE
	ds_load_b128 v[90:93], v205
	ds_load_b128 v[126:129], v204
	ds_load_b128 v[130:133], v204 offset:256
	ds_load_b128 v[154:157], v205 offset:16
	s_wait_dscnt 0x2
	v_mul_f64_e32 v[76:77], v[92:93], v[128:129]
	v_mul_f64_e32 v[78:79], v[90:91], v[128:129]
	s_wait_dscnt 0x1
	v_mul_f64_e32 v[80:81], v[92:93], v[132:133]
	v_mul_f64_e32 v[82:83], v[90:91], v[132:133]
	s_delay_alu instid0(VALU_DEP_4)
	v_fma_f64 v[26:27], v[90:91], v[126:127], -v[76:77]
	scratch_store_b64 off, v[26:27], off offset:48 ; 8-byte Folded Spill
	v_fma_f64 v[26:27], v[92:93], v[126:127], v[78:79]
	scratch_store_b64 off, v[26:27], off offset:56 ; 8-byte Folded Spill
	v_fma_f64 v[26:27], v[90:91], v[130:131], -v[80:81]
	scratch_store_b64 off, v[26:27], off offset:64 ; 8-byte Folded Spill
	v_fma_f64 v[26:27], v[92:93], v[130:131], v[82:83]
	scratch_store_b64 off, v[26:27], off offset:72 ; 8-byte Folded Spill
	ds_load_b128 v[134:137], v204 offset:512
	ds_load_b128 v[138:141], v204 offset:768
	;; [unrolled: 1-line block ×4, first 2 shown]
	s_wait_dscnt 0x3
	v_mul_f64_e32 v[84:85], v[92:93], v[136:137]
	v_mul_f64_e32 v[86:87], v[90:91], v[136:137]
	s_wait_dscnt 0x2
	v_mul_f64_e32 v[88:89], v[92:93], v[140:141]
	s_wait_dscnt 0x1
	v_mul_f64_e32 v[94:95], v[106:107], v[128:129]
	v_mul_f64_e32 v[96:97], v[108:109], v[132:133]
	;; [unrolled: 1-line block ×6, first 2 shown]
	v_fma_f64 v[26:27], v[90:91], v[134:135], -v[84:85]
	scratch_store_b64 off, v[26:27], off offset:80 ; 8-byte Folded Spill
	v_fma_f64 v[26:27], v[92:93], v[134:135], v[86:87]
	scratch_store_b64 off, v[26:27], off offset:88 ; 8-byte Folded Spill
	v_fma_f64 v[26:27], v[90:91], v[138:139], -v[88:89]
	v_mul_f64_e32 v[90:91], v[90:91], v[140:141]
	scratch_store_b64 off, v[26:27], off offset:96 ; 8-byte Folded Spill
	v_fma_f64 v[26:27], v[92:93], v[138:139], v[90:91]
	v_mul_f64_e32 v[92:93], v[108:109], v[128:129]
	scratch_store_b64 off, v[26:27], off offset:104 ; 8-byte Folded Spill
	v_fma_f64 v[26:27], v[106:107], v[126:127], -v[92:93]
	scratch_store_b64 off, v[26:27], off offset:112 ; 8-byte Folded Spill
	v_fma_f64 v[26:27], v[108:109], v[126:127], v[94:95]
	scratch_store_b64 off, v[26:27], off offset:120 ; 8-byte Folded Spill
	v_fma_f64 v[26:27], v[106:107], v[130:131], -v[96:97]
	scratch_store_b64 off, v[26:27], off offset:128 ; 8-byte Folded Spill
	v_fma_f64 v[26:27], v[108:109], v[130:131], v[98:99]
	;; [unrolled: 4-line block ×3, first 2 shown]
	scratch_store_b64 off, v[26:27], off offset:152 ; 8-byte Folded Spill
	v_fma_f64 v[26:27], v[106:107], v[138:139], -v[104:105]
	v_mul_f64_e32 v[106:107], v[106:107], v[140:141]
	scratch_store_b64 off, v[26:27], off offset:160 ; 8-byte Folded Spill
	v_fma_f64 v[26:27], v[108:109], v[138:139], v[106:107]
	scratch_store_b64 off, v[26:27], off offset:168 ; 8-byte Folded Spill
	ds_load_b128 v[122:125], v205 offset:2048
	ds_load_b128 v[186:189], v205 offset:2064
	s_wait_dscnt 0x1
	v_mul_f64_e32 v[108:109], v[124:125], v[128:129]
	v_mul_f64_e32 v[110:111], v[122:123], v[128:129]
	;; [unrolled: 1-line block ×7, first 2 shown]
	v_fma_f64 v[26:27], v[122:123], v[126:127], -v[108:109]
	scratch_store_b64 off, v[26:27], off offset:176 ; 8-byte Folded Spill
	v_fma_f64 v[26:27], v[124:125], v[126:127], v[110:111]
	scratch_store_b64 off, v[26:27], off offset:184 ; 8-byte Folded Spill
	v_fma_f64 v[26:27], v[122:123], v[130:131], -v[112:113]
	scratch_store_b64 off, v[26:27], off offset:192 ; 8-byte Folded Spill
	v_fma_f64 v[26:27], v[124:125], v[130:131], v[114:115]
	scratch_store_b64 off, v[26:27], off offset:200 ; 8-byte Folded Spill
	;; [unrolled: 4-line block ×3, first 2 shown]
	v_fma_f64 v[26:27], v[122:123], v[138:139], -v[120:121]
	v_mul_f64_e32 v[122:123], v[122:123], v[140:141]
	scratch_store_b64 off, v[26:27], off offset:224 ; 8-byte Folded Spill
	v_fma_f64 v[26:27], v[124:125], v[138:139], v[122:123]
	scratch_store_b64 off, v[26:27], off offset:232 ; 8-byte Folded Spill
	ds_load_b128 v[142:145], v205 offset:3072
	ds_load_b128 v[210:213], v205 offset:3088
	s_wait_dscnt 0x1
	v_mul_f64_e32 v[124:125], v[144:145], v[128:129]
	v_mul_f64_e32 v[128:129], v[142:143], v[128:129]
	s_delay_alu instid0(VALU_DEP_2)
	v_fma_f64 v[26:27], v[142:143], v[126:127], -v[124:125]
	scratch_store_b64 off, v[26:27], off offset:240 ; 8-byte Folded Spill
	v_fma_f64 v[26:27], v[144:145], v[126:127], v[128:129]
	v_mul_f64_e32 v[128:129], v[144:145], v[132:133]
	v_mul_f64_e32 v[132:133], v[142:143], v[132:133]
	scratch_store_b64 off, v[26:27], off offset:248 ; 8-byte Folded Spill
	v_fma_f64 v[26:27], v[142:143], v[130:131], -v[128:129]
	scratch_store_b64 off, v[26:27], off offset:256 ; 8-byte Folded Spill
	v_fma_f64 v[26:27], v[144:145], v[130:131], v[132:133]
	v_mul_f64_e32 v[132:133], v[144:145], v[136:137]
	v_mul_f64_e32 v[136:137], v[142:143], v[136:137]
	scratch_store_b64 off, v[26:27], off offset:264 ; 8-byte Folded Spill
	;; [unrolled: 6-line block ×3, first 2 shown]
	v_fma_f64 v[26:27], v[142:143], v[138:139], -v[136:137]
	scratch_store_b64 off, v[26:27], off offset:288 ; 8-byte Folded Spill
	v_fma_f64 v[26:27], v[144:145], v[138:139], v[140:141]
	scratch_store_b64 off, v[26:27], off offset:296 ; 8-byte Folded Spill
	ds_load_b128 v[190:193], v204 offset:1024
	ds_load_b128 v[194:197], v204 offset:1280
	s_wait_dscnt 0x1
	v_mul_f64_e32 v[140:141], v[156:157], v[192:193]
	s_wait_dscnt 0x0
	v_mul_f64_e32 v[144:145], v[156:157], v[196:197]
	v_mul_f64_e32 v[142:143], v[154:155], v[192:193]
	;; [unrolled: 1-line block ×8, first 2 shown]
	v_fma_f64 v[26:27], v[154:155], v[190:191], -v[140:141]
	v_fma_f64 v[144:145], v[154:155], v[194:195], -v[144:145]
	v_fma_f64 v[142:143], v[156:157], v[190:191], v[142:143]
	v_fma_f64 v[146:147], v[156:157], v[194:195], v[146:147]
	v_fma_f64 v[160:161], v[170:171], v[194:195], -v[160:161]
	v_fma_f64 v[176:177], v[186:187], v[194:195], -v[176:177]
	v_fma_f64 v[174:175], v[188:189], v[190:191], v[174:175]
	scratch_store_b64 off, v[26:27], off offset:304 ; 8-byte Folded Spill
	ds_load_b128 v[198:201], v204 offset:1536
	ds_load_b128 v[214:217], v204 offset:1792
	v_fma_f64 v[26:27], v[172:173], v[190:191], v[158:159]
	v_fma_f64 v[158:159], v[172:173], v[194:195], v[162:163]
	s_wait_dscnt 0x1
	v_mul_f64_e32 v[148:149], v[156:157], v[200:201]
	s_wait_dscnt 0x0
	v_mul_f64_e32 v[152:153], v[156:157], v[216:217]
	v_mul_f64_e32 v[150:151], v[154:155], v[200:201]
	;; [unrolled: 1-line block ×9, first 2 shown]
	scratch_store_b64 off, v[26:27], off offset:312 ; 8-byte Folded Spill
	v_dual_mov_b32 v26, v178 :: v_dual_mov_b32 v27, v179
	v_mul_f64_e32 v[178:179], v[186:187], v[196:197]
	v_fma_f64 v[148:149], v[154:155], v[198:199], -v[148:149]
	v_fma_f64 v[152:153], v[154:155], v[214:215], -v[152:153]
	v_mul_f64_e32 v[154:155], v[154:155], v[216:217]
	v_fma_f64 v[150:151], v[156:157], v[198:199], v[150:151]
	v_fma_f64 v[164:165], v[170:171], v[198:199], -v[164:165]
	v_fma_f64 v[168:169], v[170:171], v[214:215], -v[168:169]
	v_fma_f64 v[166:167], v[172:173], v[198:199], v[166:167]
	v_fma_f64 v[180:181], v[186:187], v[198:199], -v[180:181]
	v_fma_f64 v[184:185], v[186:187], v[214:215], -v[184:185]
	v_fma_f64 v[182:183], v[188:189], v[198:199], v[182:183]
	v_fma_f64 v[202:203], v[212:213], v[214:215], v[202:203]
	;; [unrolled: 1-line block ×4, first 2 shown]
	v_mul_f64_e32 v[156:157], v[172:173], v[192:193]
	s_delay_alu instid0(VALU_DEP_1) | instskip(SKIP_1) | instid1(VALU_DEP_1)
	v_fma_f64 v[156:157], v[170:171], v[190:191], -v[156:157]
	v_mul_f64_e32 v[170:171], v[170:171], v[216:217]
	v_fma_f64 v[170:171], v[172:173], v[214:215], v[170:171]
	v_mul_f64_e32 v[172:173], v[188:189], v[192:193]
	s_delay_alu instid0(VALU_DEP_1) | instskip(SKIP_1) | instid1(VALU_DEP_1)
	v_fma_f64 v[172:173], v[186:187], v[190:191], -v[172:173]
	v_mul_f64_e32 v[186:187], v[186:187], v[216:217]
	v_fma_f64 v[186:187], v[188:189], v[214:215], v[186:187]
	v_mul_f64_e32 v[188:189], v[212:213], v[192:193]
	v_mul_f64_e32 v[192:193], v[210:211], v[192:193]
	s_delay_alu instid0(VALU_DEP_2) | instskip(NEXT) | instid1(VALU_DEP_2)
	v_fma_f64 v[188:189], v[210:211], v[190:191], -v[188:189]
	v_fma_f64 v[190:191], v[212:213], v[190:191], v[192:193]
	v_mul_f64_e32 v[192:193], v[212:213], v[196:197]
	v_mul_f64_e32 v[196:197], v[210:211], v[196:197]
	s_delay_alu instid0(VALU_DEP_2) | instskip(NEXT) | instid1(VALU_DEP_2)
	v_fma_f64 v[192:193], v[210:211], v[194:195], -v[192:193]
	;; [unrolled: 5-line block ×3, first 2 shown]
	v_fma_f64 v[198:199], v[212:213], v[198:199], v[200:201]
	v_mul_f64_e32 v[200:201], v[212:213], v[216:217]
	s_delay_alu instid0(VALU_DEP_1)
	v_fma_f64 v[200:201], v[210:211], v[214:215], -v[200:201]
	ds_load_b128 v[210:213], v205 offset:32
	ds_load_b128 v[214:217], v204 offset:2048
	ds_load_b128 v[218:221], v204 offset:2304
	ds_load_b128 v[222:225], v205 offset:48
	s_wait_dscnt 0x2
	v_mul_f64_e32 v[226:227], v[212:213], v[216:217]
	s_delay_alu instid0(VALU_DEP_1) | instskip(SKIP_1) | instid1(VALU_DEP_1)
	v_fma_f64 v[138:139], v[210:211], v[214:215], -v[226:227]
	v_mul_f64_e32 v[226:227], v[210:211], v[216:217]
	v_fma_f64 v[136:137], v[212:213], v[214:215], v[226:227]
	s_wait_dscnt 0x1
	v_mul_f64_e32 v[226:227], v[212:213], v[220:221]
	s_delay_alu instid0(VALU_DEP_1) | instskip(SKIP_1) | instid1(VALU_DEP_1)
	v_fma_f64 v[134:135], v[210:211], v[218:219], -v[226:227]
	v_mul_f64_e32 v[226:227], v[210:211], v[220:221]
	v_fma_f64 v[132:133], v[212:213], v[218:219], v[226:227]
	ds_load_b128 v[226:229], v204 offset:2560
	ds_load_b128 v[230:233], v204 offset:2816
	s_wait_dscnt 0x1
	v_mul_f64_e32 v[234:235], v[212:213], v[228:229]
	s_delay_alu instid0(VALU_DEP_1) | instskip(SKIP_1) | instid1(VALU_DEP_1)
	v_fma_f64 v[130:131], v[210:211], v[226:227], -v[234:235]
	v_mul_f64_e32 v[234:235], v[210:211], v[228:229]
	v_fma_f64 v[128:129], v[212:213], v[226:227], v[234:235]
	s_wait_dscnt 0x0
	v_mul_f64_e32 v[234:235], v[212:213], v[232:233]
	s_delay_alu instid0(VALU_DEP_1) | instskip(SKIP_1) | instid1(VALU_DEP_1)
	v_fma_f64 v[126:127], v[210:211], v[230:231], -v[234:235]
	v_mul_f64_e32 v[210:211], v[210:211], v[232:233]
	v_fma_f64 v[124:125], v[212:213], v[230:231], v[210:211]
	ds_load_b128 v[210:213], v205 offset:1056
	ds_load_b128 v[234:237], v205 offset:1072
	s_wait_dscnt 0x1
	v_mul_f64_e32 v[238:239], v[212:213], v[216:217]
	s_delay_alu instid0(VALU_DEP_1) | instskip(SKIP_1) | instid1(VALU_DEP_1)
	v_fma_f64 v[122:123], v[210:211], v[214:215], -v[238:239]
	v_mul_f64_e32 v[238:239], v[210:211], v[216:217]
	v_fma_f64 v[162:163], v[212:213], v[214:215], v[238:239]
	v_mul_f64_e32 v[238:239], v[212:213], v[220:221]
	s_delay_alu instid0(VALU_DEP_1) | instskip(SKIP_1) | instid1(VALU_DEP_1)
	v_fma_f64 v[120:121], v[210:211], v[218:219], -v[238:239]
	v_mul_f64_e32 v[238:239], v[210:211], v[220:221]
	v_fma_f64 v[118:119], v[212:213], v[218:219], v[238:239]
	;; [unrolled: 5-line block ×4, first 2 shown]
	ds_load_b128 v[210:213], v205 offset:2080
	ds_load_b128 v[238:241], v205 offset:2096
	s_wait_dscnt 0x1
	v_mul_f64_e32 v[242:243], v[212:213], v[216:217]
	s_delay_alu instid0(VALU_DEP_1) | instskip(SKIP_1) | instid1(VALU_DEP_1)
	v_fma_f64 v[108:109], v[210:211], v[214:215], -v[242:243]
	v_mul_f64_e32 v[242:243], v[210:211], v[216:217]
	v_fma_f64 v[106:107], v[212:213], v[214:215], v[242:243]
	v_mul_f64_e32 v[242:243], v[212:213], v[220:221]
	s_delay_alu instid0(VALU_DEP_1) | instskip(SKIP_1) | instid1(VALU_DEP_1)
	v_fma_f64 v[104:105], v[210:211], v[218:219], -v[242:243]
	v_mul_f64_e32 v[242:243], v[210:211], v[220:221]
	v_fma_f64 v[102:103], v[212:213], v[218:219], v[242:243]
	;; [unrolled: 5-line block ×4, first 2 shown]
	ds_load_b128 v[210:213], v205 offset:3104
	ds_load_b128 v[242:245], v205 offset:3120
	s_wait_dscnt 0x1
	v_mul_f64_e32 v[34:35], v[212:213], v[216:217]
	v_mul_f64_e32 v[216:217], v[210:211], v[216:217]
	s_delay_alu instid0(VALU_DEP_2) | instskip(NEXT) | instid1(VALU_DEP_2)
	v_fma_f64 v[92:93], v[210:211], v[214:215], -v[34:35]
	v_fma_f64 v[90:91], v[212:213], v[214:215], v[216:217]
	v_mul_f64_e32 v[214:215], v[212:213], v[220:221]
	s_delay_alu instid0(VALU_DEP_1) | instskip(SKIP_1) | instid1(VALU_DEP_1)
	v_fma_f64 v[88:89], v[210:211], v[218:219], -v[214:215]
	v_mul_f64_e32 v[214:215], v[210:211], v[220:221]
	v_fma_f64 v[40:41], v[212:213], v[218:219], v[214:215]
	v_mul_f64_e32 v[214:215], v[212:213], v[228:229]
	s_delay_alu instid0(VALU_DEP_1) | instskip(SKIP_1) | instid1(VALU_DEP_1)
	v_fma_f64 v[42:43], v[210:211], v[226:227], -v[214:215]
	v_mul_f64_e32 v[214:215], v[210:211], v[228:229]
	;; [unrolled: 5-line block ×3, first 2 shown]
	v_fma_f64 v[230:231], v[212:213], v[230:231], v[210:211]
	ds_load_b128 v[210:213], v204 offset:3072
	ds_load_b128 v[214:217], v204 offset:3328
	s_wait_dscnt 0x1
	v_mul_f64_e32 v[218:219], v[224:225], v[212:213]
	s_wait_dscnt 0x0
	v_mul_f64_e32 v[62:63], v[236:237], v[216:217]
	v_mul_f64_e32 v[60:61], v[234:235], v[212:213]
	;; [unrolled: 1-line block ×6, first 2 shown]
	v_fma_f64 v[232:233], v[222:223], v[210:211], -v[218:219]
	v_mul_f64_e32 v[218:219], v[222:223], v[212:213]
	v_fma_f64 v[62:63], v[234:235], v[214:215], -v[62:63]
	v_fma_f64 v[60:61], v[236:237], v[210:211], v[60:61]
	v_fma_f64 v[64:65], v[236:237], v[214:215], v[64:65]
	v_fma_f64 v[78:79], v[238:239], v[214:215], -v[78:79]
	v_fma_f64 v[76:77], v[240:241], v[210:211], v[76:77]
	v_fma_f64 v[80:81], v[240:241], v[214:215], v[80:81]
	;; [unrolled: 1-line block ×3, first 2 shown]
	v_mul_f64_e32 v[218:219], v[224:225], v[216:217]
	s_delay_alu instid0(VALU_DEP_1) | instskip(SKIP_1) | instid1(VALU_DEP_1)
	v_fma_f64 v[50:51], v[222:223], v[214:215], -v[218:219]
	v_mul_f64_e32 v[218:219], v[222:223], v[216:217]
	v_fma_f64 v[52:53], v[224:225], v[214:215], v[218:219]
	ds_load_b128 v[218:221], v204 offset:3584
	ds_load_b128 v[226:229], v204 offset:3840
	scratch_load_b64 v[34:35], off, off offset:48 th:TH_LOAD_LU ; 8-byte Folded Reload
	s_wait_dscnt 0x1
	v_mul_f64_e32 v[54:55], v[224:225], v[220:221]
	s_wait_dscnt 0x0
	v_mul_f64_e32 v[58:59], v[224:225], v[228:229]
	v_mul_f64_e32 v[56:57], v[222:223], v[220:221]
	;; [unrolled: 1-line block ×8, first 2 shown]
	v_fma_f64 v[54:55], v[222:223], v[218:219], -v[54:55]
	v_fma_f64 v[58:59], v[222:223], v[226:227], -v[58:59]
	v_mul_f64_e32 v[222:223], v[222:223], v[228:229]
	v_fma_f64 v[56:57], v[224:225], v[218:219], v[56:57]
	v_fma_f64 v[66:67], v[234:235], v[218:219], -v[66:67]
	v_fma_f64 v[70:71], v[234:235], v[226:227], -v[70:71]
	v_fma_f64 v[68:69], v[236:237], v[218:219], v[68:69]
	v_fma_f64 v[82:83], v[238:239], v[218:219], -v[82:83]
	v_fma_f64 v[86:87], v[238:239], v[226:227], -v[86:87]
	v_fma_f64 v[84:85], v[240:241], v[218:219], v[84:85]
	v_fma_f64 v[222:223], v[224:225], v[226:227], v[222:223]
	v_mul_f64_e32 v[224:225], v[236:237], v[212:213]
	s_delay_alu instid0(VALU_DEP_1) | instskip(SKIP_1) | instid1(VALU_DEP_1)
	v_fma_f64 v[224:225], v[234:235], v[210:211], -v[224:225]
	v_mul_f64_e32 v[234:235], v[234:235], v[228:229]
	v_fma_f64 v[234:235], v[236:237], v[226:227], v[234:235]
	v_mul_f64_e32 v[236:237], v[240:241], v[212:213]
	s_delay_alu instid0(VALU_DEP_1) | instskip(SKIP_1) | instid1(VALU_DEP_1)
	v_fma_f64 v[236:237], v[238:239], v[210:211], -v[236:237]
	v_mul_f64_e32 v[238:239], v[238:239], v[228:229]
	v_fma_f64 v[238:239], v[240:241], v[226:227], v[238:239]
	v_mul_f64_e32 v[240:241], v[244:245], v[212:213]
	v_mul_f64_e32 v[212:213], v[242:243], v[212:213]
	s_delay_alu instid0(VALU_DEP_2) | instskip(NEXT) | instid1(VALU_DEP_2)
	v_fma_f64 v[240:241], v[242:243], v[210:211], -v[240:241]
	v_fma_f64 v[210:211], v[244:245], v[210:211], v[212:213]
	v_mul_f64_e32 v[212:213], v[244:245], v[216:217]
	v_mul_f64_e32 v[216:217], v[242:243], v[216:217]
	s_delay_alu instid0(VALU_DEP_2) | instskip(NEXT) | instid1(VALU_DEP_2)
	v_fma_f64 v[212:213], v[242:243], v[214:215], -v[212:213]
	;; [unrolled: 5-line block ×4, first 2 shown]
	v_fma_f64 v[226:227], v[244:245], v[226:227], v[228:229]
	s_wait_loadcnt 0x0
	v_add_f64_e32 v[228:229], v[26:27], v[34:35]
	scratch_load_b64 v[26:27], off, off offset:56 th:TH_LOAD_LU ; 8-byte Folded Reload
	s_wait_loadcnt 0x0
	v_add_f64_e32 v[242:243], v[26:27], v[30:31]
	scratch_load_b64 v[26:27], off, off offset:64 th:TH_LOAD_LU ; 8-byte Folded Reload
	v_add_f64_e32 v[142:143], v[142:143], v[242:243]
	s_delay_alu instid0(VALU_DEP_1)
	v_add_f64_e32 v[136:137], v[136:137], v[142:143]
	s_wait_loadcnt 0x0
	v_add_f64_e32 v[244:245], v[38:39], v[26:27]
	scratch_load_b64 v[26:27], off, off offset:72 th:TH_LOAD_LU ; 8-byte Folded Reload
	v_dual_mov_b32 v38, v204 :: v_dual_mov_b32 v39, v205
	v_add_f64_e32 v[144:145], v[244:245], v[144:145]
	s_delay_alu instid0(VALU_DEP_1)
	v_add_f64_e32 v[134:135], v[144:145], v[134:135]
	s_wait_loadcnt 0x0
	v_add_f64_e32 v[204:205], v[26:27], v[208:209]
	scratch_load_b64 v[26:27], off, off offset:80 th:TH_LOAD_LU ; 8-byte Folded Reload
	v_add_f64_e32 v[146:147], v[146:147], v[204:205]
	v_dual_mov_b32 v205, v39 :: v_dual_mov_b32 v204, v38
	s_delay_alu instid0(VALU_DEP_2) | instskip(SKIP_4) | instid1(VALU_DEP_1)
	v_add_f64_e32 v[132:133], v[132:133], v[146:147]
	s_wait_loadcnt 0x0
	v_add_f64_e32 v[246:247], v[246:247], v[26:27]
	scratch_load_b64 v[26:27], off, off offset:88 th:TH_LOAD_LU ; 8-byte Folded Reload
	v_add_f64_e32 v[148:149], v[246:247], v[148:149]
	v_add_f64_e32 v[130:131], v[148:149], v[130:131]
	s_delay_alu instid0(VALU_DEP_1) | instskip(SKIP_4) | instid1(VALU_DEP_1)
	v_add_f64_e32 v[246:247], v[130:131], v[54:55]
	s_wait_loadcnt 0x0
	v_add_f64_e32 v[248:249], v[26:27], v[248:249]
	scratch_load_b64 v[26:27], off, off offset:96 th:TH_LOAD_LU ; 8-byte Folded Reload
	v_add_f64_e32 v[150:151], v[150:151], v[248:249]
	v_add_f64_e32 v[128:129], v[128:129], v[150:151]
	s_delay_alu instid0(VALU_DEP_1) | instskip(SKIP_4) | instid1(VALU_DEP_1)
	;; [unrolled: 7-line block ×4, first 2 shown]
	v_add_f64_e32 v[252:253], v[222:223], v[124:125]
	s_wait_loadcnt 0x0
	v_add_f64_e32 v[254:255], v[254:255], v[26:27]
	scratch_load_b64 v[26:27], off, off offset:120 th:TH_LOAD_LU ; 8-byte Folded Reload
	v_add_f64_e32 v[156:157], v[254:255], v[156:157]
	v_add_f64_e32 v[122:123], v[156:157], v[122:123]
	s_delay_alu instid0(VALU_DEP_1)
	v_add_f64_e32 v[254:255], v[122:123], v[224:225]
	s_wait_loadcnt 0x0
	v_add_f64_e32 v[0:1], v[26:27], v[0:1]
	scratch_load_b64 v[26:27], off, off offset:128 th:TH_LOAD_LU ; 8-byte Folded Reload
	s_wait_loadcnt 0x0
	v_add_f64_e32 v[2:3], v[2:3], v[26:27]
	scratch_load_b64 v[26:27], off, off offset:136 th:TH_LOAD_LU ; 8-byte Folded Reload
	v_add_f64_e32 v[2:3], v[2:3], v[160:161]
	s_delay_alu instid0(VALU_DEP_1) | instskip(NEXT) | instid1(VALU_DEP_1)
	v_add_f64_e32 v[2:3], v[2:3], v[120:121]
	v_add_f64_e32 v[2:3], v[2:3], v[62:63]
	s_wait_loadcnt 0x0
	v_add_f64_e32 v[4:5], v[26:27], v[4:5]
	scratch_load_b64 v[26:27], off, off offset:144 th:TH_LOAD_LU ; 8-byte Folded Reload
	v_add_f64_e32 v[4:5], v[158:159], v[4:5]
	s_delay_alu instid0(VALU_DEP_1) | instskip(NEXT) | instid1(VALU_DEP_1)
	v_add_f64_e32 v[4:5], v[118:119], v[4:5]
	v_add_f64_e32 v[4:5], v[64:65], v[4:5]
	;; [unrolled: 7-line block ×6, first 2 shown]
	s_wait_loadcnt 0x0
	v_add_f64_e32 v[14:15], v[14:15], v[26:27]
	scratch_load_b64 v[26:27], off, off offset:184 th:TH_LOAD_LU ; 8-byte Folded Reload
	v_add_f64_e32 v[14:15], v[14:15], v[172:173]
	v_add_f64_e32 v[172:173], v[134:135], v[50:51]
	s_delay_alu instid0(VALU_DEP_2) | instskip(NEXT) | instid1(VALU_DEP_1)
	v_add_f64_e32 v[14:15], v[14:15], v[108:109]
	v_add_f64_e32 v[14:15], v[14:15], v[236:237]
	s_wait_loadcnt 0x0
	v_add_f64_e32 v[16:17], v[26:27], v[16:17]
	scratch_load_b64 v[26:27], off, off offset:192 th:TH_LOAD_LU ; 8-byte Folded Reload
	v_add_f64_e32 v[16:17], v[174:175], v[16:17]
	s_delay_alu instid0(VALU_DEP_1) | instskip(NEXT) | instid1(VALU_DEP_1)
	v_add_f64_e32 v[16:17], v[106:107], v[16:17]
	v_add_f64_e32 v[16:17], v[76:77], v[16:17]
	s_wait_loadcnt 0x0
	v_add_f64_e32 v[18:19], v[18:19], v[26:27]
	scratch_load_b64 v[26:27], off, off offset:200 th:TH_LOAD_LU ; 8-byte Folded Reload
	v_add_f64_e32 v[18:19], v[18:19], v[176:177]
	s_delay_alu instid0(VALU_DEP_1) | instskip(NEXT) | instid1(VALU_DEP_1)
	;; [unrolled: 7-line block ×3, first 2 shown]
	v_add_f64_e32 v[20:21], v[102:103], v[20:21]
	v_add_f64_e32 v[20:21], v[80:81], v[20:21]
	s_wait_loadcnt 0x0
	v_add_f64_e32 v[22:23], v[22:23], v[26:27]
	scratch_load_b64 v[26:27], off, off offset:216 th:TH_LOAD_LU ; 8-byte Folded Reload
	v_add_f64_e32 v[22:23], v[22:23], v[180:181]
	v_add_f64_e32 v[180:181], v[48:49], v[136:137]
	s_delay_alu instid0(VALU_DEP_2) | instskip(NEXT) | instid1(VALU_DEP_1)
	v_add_f64_e32 v[22:23], v[22:23], v[100:101]
	v_add_f64_e32 v[22:23], v[22:23], v[82:83]
	s_wait_loadcnt 0x0
	v_add_f64_e32 v[24:25], v[26:27], v[24:25]
	s_clause 0x1
	scratch_load_b64 v[26:27], off, off th:TH_LOAD_LU
	scratch_load_b64 v[30:31], off, off offset:224 th:TH_LOAD_LU
	v_add_f64_e32 v[24:25], v[182:183], v[24:25]
	s_delay_alu instid0(VALU_DEP_1) | instskip(NEXT) | instid1(VALU_DEP_1)
	v_add_f64_e32 v[24:25], v[98:99], v[24:25]
	v_add_f64_e32 v[24:25], v[84:85], v[24:25]
	s_wait_loadcnt 0x0
	v_add_f64_e32 v[26:27], v[26:27], v[30:31]
	scratch_load_b64 v[30:31], off, off offset:232 th:TH_LOAD_LU ; 8-byte Folded Reload
	v_add_f64_e32 v[26:27], v[26:27], v[184:185]
	s_delay_alu instid0(VALU_DEP_1) | instskip(NEXT) | instid1(VALU_DEP_1)
	v_add_f64_e32 v[26:27], v[26:27], v[96:97]
	v_add_f64_e32 v[26:27], v[26:27], v[86:87]
	s_wait_loadcnt 0x0
	v_add_f64_e32 v[28:29], v[30:31], v[28:29]
	s_clause 0x1
	scratch_load_b64 v[30:31], off, off offset:8 th:TH_LOAD_LU
	scratch_load_b64 v[34:35], off, off offset:240 th:TH_LOAD_LU
	v_add_f64_e32 v[28:29], v[186:187], v[28:29]
	s_delay_alu instid0(VALU_DEP_1) | instskip(NEXT) | instid1(VALU_DEP_1)
	v_add_f64_e32 v[28:29], v[94:95], v[28:29]
	v_add_f64_e32 v[28:29], v[238:239], v[28:29]
	s_wait_loadcnt 0x0
	v_add_f64_e32 v[30:31], v[30:31], v[34:35]
	scratch_load_b64 v[34:35], off, off offset:248 th:TH_LOAD_LU ; 8-byte Folded Reload
	v_add_f64_e32 v[30:31], v[30:31], v[188:189]
	s_delay_alu instid0(VALU_DEP_1) | instskip(SKIP_4) | instid1(VALU_DEP_1)
	v_add_f64_e32 v[30:31], v[30:31], v[92:93]
	s_wait_loadcnt 0x0
	v_add_f64_e32 v[32:33], v[34:35], v[32:33]
	scratch_load_b64 v[34:35], off, off offset:256 th:TH_LOAD_LU ; 8-byte Folded Reload
	v_add_f64_e32 v[32:33], v[190:191], v[32:33]
	v_add_f64_e32 v[32:33], v[90:91], v[32:33]
	s_delay_alu instid0(VALU_DEP_1) | instskip(SKIP_4) | instid1(VALU_DEP_1)
	v_add_f64_e32 v[32:33], v[210:211], v[32:33]
	s_wait_loadcnt 0x0
	v_add_f64_e32 v[34:35], v[206:207], v[34:35]
	scratch_load_b64 v[206:207], off, off offset:264 th:TH_LOAD_LU ; 8-byte Folded Reload
	v_add_f64_e32 v[34:35], v[34:35], v[192:193]
	v_add_f64_e32 v[34:35], v[34:35], v[88:89]
	s_wait_loadcnt 0x0
	v_add_f64_e32 v[36:37], v[206:207], v[36:37]
	scratch_load_b64 v[206:207], off, off offset:272 th:TH_LOAD_LU ; 8-byte Folded Reload
	v_add_f64_e32 v[36:37], v[194:195], v[36:37]
	s_delay_alu instid0(VALU_DEP_1) | instskip(NEXT) | instid1(VALU_DEP_1)
	v_add_f64_e32 v[36:37], v[40:41], v[36:37]
	v_add_f64_e32 v[36:37], v[214:215], v[36:37]
	s_wait_loadcnt 0x0
	v_add_f64_e32 v[72:73], v[72:73], v[206:207]
	s_clause 0x1
	scratch_load_b64 v[206:207], off, off offset:40 th:TH_LOAD_LU
	scratch_load_b64 v[208:209], off, off offset:280 th:TH_LOAD_LU
	v_add_f64_e32 v[72:73], v[72:73], v[196:197]
	s_wait_loadcnt 0x0
	v_add_f64_e32 v[208:209], v[208:209], v[206:207]
	s_clause 0x2
	scratch_load_b64 v[206:207], off, off offset:32 th:TH_LOAD_LU
	scratch_load_b64 v[140:141], off, off offset:288 th:TH_LOAD_LU
	;; [unrolled: 1-line block ×3, first 2 shown]
	v_add_f64_e32 v[158:159], v[198:199], v[208:209]
	v_add_f64_e32 v[208:209], v[52:53], v[132:133]
	s_delay_alu instid0(VALU_DEP_2)
	v_add_f64_e32 v[40:41], v[44:45], v[158:159]
	s_wait_loadcnt 0x1
	v_add_f64_e32 v[206:207], v[206:207], v[140:141]
	scratch_load_b64 v[140:141], off, off offset:296 th:TH_LOAD_LU ; 8-byte Folded Reload
	s_wait_loadcnt 0x1
	v_add_f64_e32 v[0:1], v[38:39], v[0:1]
	v_add_f64_e32 v[38:39], v[72:73], v[42:43]
	;; [unrolled: 1-line block ×4, first 2 shown]
	s_delay_alu instid0(VALU_DEP_4) | instskip(NEXT) | instid1(VALU_DEP_4)
	v_add_f64_e32 v[0:1], v[162:163], v[0:1]
	v_add_f64_e32 v[176:177], v[38:39], v[216:217]
	s_delay_alu instid0(VALU_DEP_4) | instskip(NEXT) | instid1(VALU_DEP_3)
	v_add_f64_e32 v[42:43], v[160:161], v[46:47]
	v_add_f64_e32 v[0:1], v[60:61], v[0:1]
	s_wait_loadcnt 0x0
	v_add_f64_e32 v[74:75], v[140:141], v[74:75]
	s_clause 0x2
	scratch_load_b64 v[140:141], off, off offset:304 th:TH_LOAD_LU
	scratch_load_b32 v135, off, off offset:324
	scratch_load_b32 v134, off, off offset:320
	scratch_store_b64 off, v[26:27], off    ; 8-byte Folded Spill
	v_add_f64_e32 v[26:27], v[30:31], v[240:241]
	scratch_load_b64 v[30:31], off, off offset:24 th:TH_LOAD_LU ; 8-byte Folded Reload
	v_add_f64_e32 v[74:75], v[202:203], v[74:75]
	scratch_store_b64 off, v[26:27], off offset:8 ; 8-byte Folded Spill
	scratch_load_b64 v[26:27], off, off offset:16 th:TH_LOAD_LU ; 8-byte Folded Reload
	s_wait_loadcnt 0x0
	s_wait_storecnt 0x0
	s_barrier_signal -1
	s_barrier_wait -1
	global_inv scope:SCOPE_SE
	v_add_f64_e32 v[44:45], v[230:231], v[74:75]
	s_delay_alu instid0(VALU_DEP_1) | instskip(SKIP_4) | instid1(VALU_DEP_3)
	v_add_f64_e32 v[74:75], v[226:227], v[44:45]
	v_add_f64_e32 v[140:141], v[228:229], v[140:141]
	v_add_co_u32 v30, vcc_lo, v30, s18
	s_wait_alu 0xfffd
	v_add_co_ci_u32_e64 v31, null, s19, v31, vcc_lo
	v_add_f64_e32 v[138:139], v[140:141], v[138:139]
	v_add_f64_e32 v[140:141], v[42:43], v[220:221]
	v_add_co_u32 v26, s1, v26, s12
	s_wait_alu 0xf1ff
	v_add_co_ci_u32_e64 v27, null, s13, v27, s1
	s_wait_alu 0xfffe
	v_cmp_lt_i64_e64 s1, s[26:27], s[36:37]
	s_and_b32 vcc_lo, exec_lo, s1
	v_add_f64_e32 v[178:179], v[138:139], v[232:233]
	v_add_f64_e32 v[138:139], v[218:219], v[40:41]
	s_wait_alu 0xfffe
	s_cbranch_vccnz .LBB120_5
	s_branch .LBB120_7
.LBB120_6:                              ;   in Loop: Header=BB120_3 Depth=1
	v_mov_b32_e32 v26, 0
	v_dual_mov_b32 v27, 0 :: v_dual_mov_b32 v28, 0
	v_mov_b32_e32 v178, 0
	v_mov_b32_e32 v172, 0
	;; [unrolled: 1-line block ×3, first 2 shown]
	scratch_store_b64 off, v[26:27], off    ; 8-byte Folded Spill
	v_mov_b32_e32 v26, 0
	v_dual_mov_b32 v27, 0 :: v_dual_mov_b32 v32, 0
	v_mov_b32_e32 v250, 0
	v_mov_b32_e32 v254, 0
	;; [unrolled: 1-line block ×10, first 2 shown]
	v_dual_mov_b32 v140, 0 :: v_dual_mov_b32 v179, 0
	v_dual_mov_b32 v180, 0 :: v_dual_mov_b32 v173, 0
	;; [unrolled: 1-line block ×15, first 2 shown]
	v_mov_b32_e32 v209, 0
	v_mov_b32_e32 v249, 0
	;; [unrolled: 1-line block ×11, first 2 shown]
	scratch_store_b64 off, v[26:27], off offset:8 ; 8-byte Folded Spill
	v_mov_b32_e32 v33, 0
	v_mov_b32_e32 v37, 0
	;; [unrolled: 1-line block ×4, first 2 shown]
.LBB120_7:                              ;   in Loop: Header=BB120_3 Depth=1
	s_mul_u64 s[26:27], s[20:21], s[2:3]
	v_dual_mov_b32 v153, v21 :: v_dual_mov_b32 v152, v20
	v_dual_mov_b32 v151, v25 :: v_dual_mov_b32 v150, v24
	s_delay_alu instid0(VALU_DEP_3)
	v_dual_mov_b32 v137, v75 :: v_dual_mov_b32 v136, v74
	v_dual_mov_b32 v171, v1 :: v_dual_mov_b32 v170, v0
	;; [unrolled: 1-line block ×13, first 2 shown]
	s_wait_alu 0xfffe
	s_lshl_b64 s[26:27], s[26:27], 4
	s_and_not1_b32 vcc_lo, exec_lo, s29
	s_wait_alu 0xfffe
	s_add_nc_u64 s[26:27], s[16:17], s[26:27]
	s_mov_b32 s1, -1
                                        ; implicit-def: $vgpr72_vgpr73
                                        ; implicit-def: $vgpr74_vgpr75
	s_cbranch_vccz .LBB120_9
; %bb.8:                                ;   in Loop: Header=BB120_3 Depth=1
	s_wait_alu 0xfffe
	s_and_not1_b32 vcc_lo, exec_lo, s1
	s_wait_alu 0xfffe
	s_cbranch_vccnz .LBB120_2
	s_branch .LBB120_10
.LBB120_9:                              ;   in Loop: Header=BB120_3 Depth=1
	v_dual_mov_b32 v20, v170 :: v_dual_mov_b32 v21, v171
	v_mul_f64_e32 v[10:11], s[38:39], v[248:249]
	v_dual_mov_b32 v24, v168 :: v_dual_mov_b32 v25, v169
	v_dual_mov_b32 v67, v19 :: v_dual_mov_b32 v66, v18
	s_delay_alu instid0(VALU_DEP_4) | instskip(SKIP_1) | instid1(VALU_DEP_4)
	v_mul_f64_e32 v[16:17], s[40:41], v[20:21]
	v_mul_f64_e32 v[18:19], s[38:39], v[20:21]
	;; [unrolled: 1-line block ×3, first 2 shown]
	v_dual_mov_b32 v28, v164 :: v_dual_mov_b32 v29, v165
	v_dual_mov_b32 v32, v160 :: v_dual_mov_b32 v33, v161
	;; [unrolled: 1-line block ×3, first 2 shown]
	v_mul_f64_e32 v[22:23], s[38:39], v[24:25]
	s_delay_alu instid0(VALU_DEP_4)
	v_mul_f64_e32 v[24:25], s[40:41], v[28:29]
	v_mul_f64_e32 v[26:27], s[38:39], v[28:29]
	;; [unrolled: 1-line block ×4, first 2 shown]
	s_clause 0x1
	scratch_load_b64 v[32:33], off, off offset:336
	scratch_load_b64 v[34:35], off, off offset:328
	v_mul_f64_e32 v[8:9], s[40:41], v[248:249]
	v_mul_f64_e32 v[2:3], s[38:39], v[180:181]
	;; [unrolled: 1-line block ×5, first 2 shown]
	v_dual_mov_b32 v50, v148 :: v_dual_mov_b32 v51, v149
	v_mul_f64_e32 v[12:13], s[40:41], v[252:253]
	v_dual_mov_b32 v38, v156 :: v_dual_mov_b32 v39, v157
	v_dual_mov_b32 v46, v150 :: v_dual_mov_b32 v47, v151
	;; [unrolled: 1-line block ×3, first 2 shown]
	v_mul_f64_e32 v[14:15], s[38:39], v[252:253]
	v_dual_mov_b32 v42, v152 :: v_dual_mov_b32 v43, v153
	v_fma_f64 v[84:85], s[40:41], v[246:247], v[10:11]
	v_dual_mov_b32 v10, v166 :: v_dual_mov_b32 v11, v167
	v_mul_f64_e32 v[48:49], s[40:41], v[50:51]
	v_mul_f64_e32 v[50:51], s[38:39], v[50:51]
	v_fma_f64 v[90:91], s[38:39], v[254:255], -v[16:17]
	scratch_load_b64 v[16:17], off, off     ; 8-byte Folded Reload
	v_fma_f64 v[94:95], s[38:39], v[10:11], -v[20:21]
	scratch_load_b64 v[20:21], off, off offset:8 ; 8-byte Folded Reload
	v_dual_mov_b32 v58, v144 :: v_dual_mov_b32 v59, v145
	v_mul_f64_e32 v[36:37], s[40:41], v[38:39]
	v_mul_f64_e32 v[38:39], s[38:39], v[38:39]
	v_mul_f64_e32 v[44:45], s[40:41], v[46:47]
	v_mul_f64_e32 v[46:47], s[38:39], v[46:47]
	v_mul_f64_e32 v[52:53], s[40:41], v[54:55]
	v_mul_f64_e32 v[54:55], s[38:39], v[54:55]
	v_mul_f64_e32 v[40:41], s[40:41], v[42:43]
	v_mul_f64_e32 v[42:43], s[38:39], v[42:43]
	v_mul_f64_e32 v[56:57], s[40:41], v[58:59]
	v_fma_f64 v[96:97], s[40:41], v[10:11], v[22:23]
	v_fma_f64 v[82:83], s[38:39], v[246:247], -v[8:9]
	v_dual_mov_b32 v8, v136 :: v_dual_mov_b32 v9, v137
	v_fma_f64 v[76:77], s[40:41], v[178:179], v[2:3]
	v_fma_f64 v[78:79], s[38:39], v[172:173], -v[4:5]
	v_fma_f64 v[80:81], s[40:41], v[172:173], v[6:7]
	v_mul_f64_e32 v[2:3], s[40:41], v[138:139]
	v_mul_f64_e32 v[4:5], s[38:39], v[138:139]
	;; [unrolled: 1-line block ×4, first 2 shown]
	v_fma_f64 v[74:75], s[38:39], v[178:179], -v[0:1]
	v_mul_f64_e32 v[0:1], s[38:39], v[58:59]
	v_dual_mov_b32 v10, v162 :: v_dual_mov_b32 v11, v163
	v_fma_f64 v[86:87], s[38:39], v[250:251], -v[12:13]
	v_dual_mov_b32 v22, v64 :: v_dual_mov_b32 v23, v65
	v_dual_mov_b32 v12, v154 :: v_dual_mov_b32 v13, v155
	v_fma_f64 v[88:89], s[40:41], v[250:251], v[14:15]
	v_fma_f64 v[92:93], s[40:41], v[254:255], v[18:19]
	v_dual_mov_b32 v18, v66 :: v_dual_mov_b32 v19, v67
	v_fma_f64 v[98:99], s[38:39], v[10:11], -v[24:25]
	v_fma_f64 v[100:101], s[40:41], v[10:11], v[26:27]
	v_dual_mov_b32 v10, v158 :: v_dual_mov_b32 v11, v159
	v_fma_f64 v[106:107], s[38:39], v[12:13], -v[36:37]
	v_fma_f64 v[108:109], s[40:41], v[12:13], v[38:39]
	v_fma_f64 v[114:115], s[38:39], v[22:23], -v[44:45]
	v_fma_f64 v[116:117], s[40:41], v[22:23], v[46:47]
	;; [unrolled: 2-line block ×5, first 2 shown]
	v_fma_f64 v[72:73], s[40:41], v[140:141], v[8:9]
	s_wait_loadcnt 0x3
	v_lshlrev_b64_e32 v[32:33], 4, v[32:33]
	s_wait_loadcnt 0x2
	v_lshlrev_b64_e32 v[34:35], 4, v[34:35]
	s_wait_alu 0xfffe
	s_delay_alu instid0(VALU_DEP_2) | instskip(SKIP_2) | instid1(VALU_DEP_2)
	v_add_co_u32 v32, vcc_lo, s26, v32
	s_wait_alu 0xfffd
	v_add_co_ci_u32_e64 v33, null, s27, v33, vcc_lo
	v_add_co_u32 v10, vcc_lo, v32, v34
	s_wait_alu 0xfffd
	s_delay_alu instid0(VALU_DEP_2) | instskip(SKIP_3) | instid1(VALU_DEP_2)
	v_add_co_ci_u32_e64 v11, null, v33, v35, vcc_lo
	v_add_co_u32 v14, vcc_lo, v32, s24
	s_wait_alu 0xfffd
	v_add_co_ci_u32_e64 v15, null, s25, v33, vcc_lo
	v_add_co_u32 v12, vcc_lo, v14, v34
	s_wait_alu 0xfffd
	s_delay_alu instid0(VALU_DEP_2)
	v_add_co_ci_u32_e64 v13, null, v15, v35, vcc_lo
	v_add_co_u32 v4, vcc_lo, v14, s24
	s_wait_loadcnt 0x1
	v_fma_f64 v[118:119], s[38:39], v[16:17], -v[48:49]
	v_fma_f64 v[120:121], s[40:41], v[16:17], v[50:51]
	v_dual_mov_b32 v16, v206 :: v_dual_mov_b32 v17, v207
	s_wait_loadcnt 0x0
	v_fma_f64 v[122:123], s[38:39], v[20:21], -v[52:53]
	v_fma_f64 v[124:125], s[40:41], v[20:21], v[54:55]
	s_wait_alu 0xfffd
	v_add_co_ci_u32_e64 v5, null, s25, v15, vcc_lo
	v_fma_f64 v[126:127], s[38:39], v[16:17], -v[56:57]
	v_fma_f64 v[128:129], s[40:41], v[16:17], v[0:1]
	v_fma_f64 v[0:1], s[38:39], v[140:141], -v[6:7]
	v_add_co_u32 v2, vcc_lo, v4, v34
	s_wait_alu 0xfffd
	v_add_co_ci_u32_e64 v3, null, v5, v35, vcc_lo
	v_add_co_u32 v4, vcc_lo, v4, s24
	s_wait_alu 0xfffd
	v_add_co_ci_u32_e64 v5, null, s25, v5, vcc_lo
	s_clause 0x5
	global_store_b128 v[10:11], v[74:77], off
	global_store_b128 v[10:11], v[78:81], off offset:256
	global_store_b128 v[10:11], v[82:85], off offset:512
	;; [unrolled: 1-line block ×3, first 2 shown]
	global_store_b128 v[12:13], v[90:93], off
	global_store_b128 v[12:13], v[94:97], off offset:256
	v_add_co_u32 v4, vcc_lo, v4, v34
	s_wait_alu 0xfffd
	v_add_co_ci_u32_e64 v5, null, v5, v35, vcc_lo
	s_clause 0x1
	global_store_b128 v[12:13], v[98:101], off offset:512
	global_store_b128 v[12:13], v[102:105], off offset:768
	v_add_co_u32 v74, vcc_lo, 0x300, v4
	s_wait_alu 0xfffd
	v_add_co_ci_u32_e64 v75, null, 0, v5, vcc_lo
	s_clause 0x7
	global_store_b128 v[2:3], v[106:109], off
	global_store_b128 v[2:3], v[110:113], off offset:256
	global_store_b128 v[2:3], v[114:117], off offset:512
	;; [unrolled: 1-line block ×3, first 2 shown]
	global_store_b128 v[4:5], v[122:125], off
	global_store_b128 v[4:5], v[126:129], off offset:256
	global_store_b128 v[4:5], v[130:133], off offset:512
	global_store_b64 v[4:5], v[0:1], off offset:768
	s_cbranch_execnz .LBB120_2
.LBB120_10:                             ;   in Loop: Header=BB120_3 Depth=1
	s_clause 0x1
	scratch_load_b64 v[0:1], off, off offset:328
	scratch_load_b32 v2, off, off offset:360
	s_mul_u64 s[30:31], s[14:15], s[2:3]
	v_mul_f64_e32 v[4:5], s[40:41], v[180:181]
	s_wait_alu 0xfffe
	s_lshl_b64 s[30:31], s[30:31], 4
	v_mul_f64_e32 v[6:7], s[38:39], v[180:181]
	s_delay_alu instid0(VALU_DEP_2) | instskip(NEXT) | instid1(VALU_DEP_2)
	v_fma_f64 v[4:5], s[38:39], v[178:179], -v[4:5]
	v_fma_f64 v[6:7], s[40:41], v[178:179], v[6:7]
	s_wait_loadcnt 0x1
	v_lshlrev_b64_e32 v[0:1], 4, v[0:1]
	s_wait_loadcnt 0x0
	s_wait_alu 0xfffe
	v_add_co_u32 v14, vcc_lo, v2, s30
	scratch_load_b32 v2, off, off offset:364 ; 4-byte Folded Reload
	s_wait_loadcnt 0x0
	s_wait_alu 0xfffd
	v_add_co_ci_u32_e64 v15, null, s31, v2, vcc_lo
	v_add_co_u32 v2, vcc_lo, v14, v0
	s_wait_alu 0xfffd
	s_delay_alu instid0(VALU_DEP_2) | instskip(SKIP_4) | instid1(VALU_DEP_2)
	v_add_co_ci_u32_e64 v3, null, v15, v1, vcc_lo
	global_load_b128 v[72:75], v[2:3], off
	s_wait_loadcnt 0x0
	v_mul_f64_e32 v[8:9], s[8:9], v[74:75]
	v_mul_f64_e32 v[10:11], s[6:7], v[74:75]
	v_fma_f64 v[8:9], s[6:7], v[72:73], -v[8:9]
	s_delay_alu instid0(VALU_DEP_2) | instskip(NEXT) | instid1(VALU_DEP_2)
	v_fma_f64 v[10:11], s[8:9], v[72:73], v[10:11]
	v_add_f64_e32 v[68:69], v[4:5], v[8:9]
	scratch_load_b64 v[4:5], off, off offset:336 ; 8-byte Folded Reload
	v_add_f64_e32 v[70:71], v[6:7], v[10:11]
	v_mul_f64_e32 v[6:7], s[40:41], v[208:209]
	v_mul_f64_e32 v[8:9], s[38:39], v[208:209]
	s_delay_alu instid0(VALU_DEP_2) | instskip(NEXT) | instid1(VALU_DEP_2)
	v_fma_f64 v[6:7], s[38:39], v[172:173], -v[6:7]
	v_fma_f64 v[8:9], s[40:41], v[172:173], v[8:9]
	s_wait_loadcnt 0x0
	v_lshlrev_b64_e32 v[4:5], 4, v[4:5]
	s_delay_alu instid0(VALU_DEP_1) | instskip(SKIP_1) | instid1(VALU_DEP_2)
	v_add_co_u32 v16, vcc_lo, s26, v4
	s_wait_alu 0xfffd
	v_add_co_ci_u32_e64 v17, null, s27, v5, vcc_lo
	s_delay_alu instid0(VALU_DEP_2) | instskip(SKIP_1) | instid1(VALU_DEP_2)
	v_add_co_u32 v4, vcc_lo, v16, v0
	s_wait_alu 0xfffd
	v_add_co_ci_u32_e64 v5, null, v17, v1, vcc_lo
	v_add_co_u32 v14, vcc_lo, v14, s22
	s_wait_alu 0xfffd
	v_add_co_ci_u32_e64 v15, null, s23, v15, vcc_lo
	global_store_b128 v[4:5], v[68:71], off
	global_load_b128 v[68:71], v[2:3], off offset:256
	s_wait_loadcnt 0x0
	v_mul_f64_e32 v[10:11], s[8:9], v[70:71]
	v_mul_f64_e32 v[12:13], s[6:7], v[70:71]
	s_delay_alu instid0(VALU_DEP_2) | instskip(NEXT) | instid1(VALU_DEP_2)
	v_fma_f64 v[10:11], s[6:7], v[68:69], -v[10:11]
	v_fma_f64 v[12:13], s[8:9], v[68:69], v[12:13]
	s_delay_alu instid0(VALU_DEP_2) | instskip(NEXT) | instid1(VALU_DEP_2)
	v_add_f64_e32 v[64:65], v[6:7], v[10:11]
	v_add_f64_e32 v[66:67], v[8:9], v[12:13]
	v_mul_f64_e32 v[6:7], s[40:41], v[248:249]
	v_mul_f64_e32 v[8:9], s[38:39], v[248:249]
	global_store_b128 v[4:5], v[64:67], off offset:256
	global_load_b128 v[64:67], v[2:3], off offset:512
	v_fma_f64 v[6:7], s[38:39], v[246:247], -v[6:7]
	v_fma_f64 v[8:9], s[40:41], v[246:247], v[8:9]
	s_wait_loadcnt 0x0
	v_mul_f64_e32 v[10:11], s[8:9], v[66:67]
	v_mul_f64_e32 v[12:13], s[6:7], v[66:67]
	s_delay_alu instid0(VALU_DEP_2) | instskip(NEXT) | instid1(VALU_DEP_2)
	v_fma_f64 v[10:11], s[6:7], v[64:65], -v[10:11]
	v_fma_f64 v[12:13], s[8:9], v[64:65], v[12:13]
	s_delay_alu instid0(VALU_DEP_2) | instskip(NEXT) | instid1(VALU_DEP_2)
	v_add_f64_e32 v[60:61], v[6:7], v[10:11]
	v_add_f64_e32 v[62:63], v[8:9], v[12:13]
	v_mul_f64_e32 v[6:7], s[38:39], v[252:253]
	global_store_b128 v[4:5], v[60:63], off offset:512
	global_load_b128 v[60:63], v[2:3], off offset:768
	v_mul_f64_e32 v[2:3], s[40:41], v[252:253]
	v_fma_f64 v[6:7], s[40:41], v[250:251], v[6:7]
	s_delay_alu instid0(VALU_DEP_2) | instskip(SKIP_3) | instid1(VALU_DEP_2)
	v_fma_f64 v[2:3], s[38:39], v[250:251], -v[2:3]
	s_wait_loadcnt 0x0
	v_mul_f64_e32 v[8:9], s[8:9], v[62:63]
	v_mul_f64_e32 v[10:11], s[6:7], v[62:63]
	v_fma_f64 v[8:9], s[6:7], v[60:61], -v[8:9]
	s_delay_alu instid0(VALU_DEP_2) | instskip(NEXT) | instid1(VALU_DEP_2)
	v_fma_f64 v[10:11], s[8:9], v[60:61], v[10:11]
	v_add_f64_e32 v[56:57], v[2:3], v[8:9]
	s_delay_alu instid0(VALU_DEP_2)
	v_add_f64_e32 v[58:59], v[6:7], v[10:11]
	v_add_co_u32 v2, vcc_lo, v14, v0
	s_wait_alu 0xfffd
	v_add_co_ci_u32_e64 v3, null, v15, v1, vcc_lo
	v_mul_f64_e32 v[6:7], s[38:39], v[170:171]
	v_add_co_u32 v16, vcc_lo, v16, s24
	s_wait_alu 0xfffd
	v_add_co_ci_u32_e64 v17, null, s25, v17, vcc_lo
	global_store_b128 v[4:5], v[56:59], off offset:768
	global_load_b128 v[56:59], v[2:3], off
	v_mul_f64_e32 v[4:5], s[40:41], v[170:171]
	v_fma_f64 v[6:7], s[40:41], v[254:255], v[6:7]
	s_delay_alu instid0(VALU_DEP_2) | instskip(SKIP_3) | instid1(VALU_DEP_2)
	v_fma_f64 v[4:5], s[38:39], v[254:255], -v[4:5]
	s_wait_loadcnt 0x0
	v_mul_f64_e32 v[8:9], s[8:9], v[58:59]
	v_mul_f64_e32 v[10:11], s[6:7], v[58:59]
	v_fma_f64 v[8:9], s[6:7], v[56:57], -v[8:9]
	s_delay_alu instid0(VALU_DEP_2) | instskip(NEXT) | instid1(VALU_DEP_2)
	v_fma_f64 v[10:11], s[8:9], v[56:57], v[10:11]
	v_add_f64_e32 v[52:53], v[4:5], v[8:9]
	s_delay_alu instid0(VALU_DEP_2)
	v_add_f64_e32 v[54:55], v[6:7], v[10:11]
	v_add_co_u32 v4, vcc_lo, v16, v0
	s_wait_alu 0xfffd
	v_add_co_ci_u32_e64 v5, null, v17, v1, vcc_lo
	v_mul_f64_e32 v[6:7], s[40:41], v[168:169]
	v_mul_f64_e32 v[8:9], s[38:39], v[168:169]
	v_add_co_u32 v14, vcc_lo, v14, s22
	s_wait_alu 0xfffd
	v_add_co_ci_u32_e64 v15, null, s23, v15, vcc_lo
	global_store_b128 v[4:5], v[52:55], off
	global_load_b128 v[52:55], v[2:3], off offset:256
	v_fma_f64 v[6:7], s[38:39], v[166:167], -v[6:7]
	v_fma_f64 v[8:9], s[40:41], v[166:167], v[8:9]
	s_wait_loadcnt 0x0
	v_mul_f64_e32 v[10:11], s[8:9], v[54:55]
	v_mul_f64_e32 v[12:13], s[6:7], v[54:55]
	s_delay_alu instid0(VALU_DEP_2) | instskip(NEXT) | instid1(VALU_DEP_2)
	v_fma_f64 v[10:11], s[6:7], v[52:53], -v[10:11]
	v_fma_f64 v[12:13], s[8:9], v[52:53], v[12:13]
	s_delay_alu instid0(VALU_DEP_2) | instskip(NEXT) | instid1(VALU_DEP_2)
	v_add_f64_e32 v[48:49], v[6:7], v[10:11]
	v_add_f64_e32 v[50:51], v[8:9], v[12:13]
	v_mul_f64_e32 v[6:7], s[40:41], v[164:165]
	v_mul_f64_e32 v[8:9], s[38:39], v[164:165]
	global_store_b128 v[4:5], v[48:51], off offset:256
	global_load_b128 v[48:51], v[2:3], off offset:512
	v_fma_f64 v[6:7], s[38:39], v[162:163], -v[6:7]
	v_fma_f64 v[8:9], s[40:41], v[162:163], v[8:9]
	s_wait_loadcnt 0x0
	v_mul_f64_e32 v[10:11], s[8:9], v[50:51]
	v_mul_f64_e32 v[12:13], s[6:7], v[50:51]
	s_delay_alu instid0(VALU_DEP_2) | instskip(NEXT) | instid1(VALU_DEP_2)
	v_fma_f64 v[10:11], s[6:7], v[48:49], -v[10:11]
	v_fma_f64 v[12:13], s[8:9], v[48:49], v[12:13]
	s_delay_alu instid0(VALU_DEP_2) | instskip(NEXT) | instid1(VALU_DEP_2)
	v_add_f64_e32 v[44:45], v[6:7], v[10:11]
	v_add_f64_e32 v[46:47], v[8:9], v[12:13]
	v_mul_f64_e32 v[6:7], s[38:39], v[160:161]
	global_store_b128 v[4:5], v[44:47], off offset:512
	global_load_b128 v[44:47], v[2:3], off offset:768
	v_mul_f64_e32 v[2:3], s[40:41], v[160:161]
	v_fma_f64 v[6:7], s[40:41], v[158:159], v[6:7]
	s_delay_alu instid0(VALU_DEP_2) | instskip(SKIP_3) | instid1(VALU_DEP_2)
	v_fma_f64 v[2:3], s[38:39], v[158:159], -v[2:3]
	s_wait_loadcnt 0x0
	v_mul_f64_e32 v[8:9], s[8:9], v[46:47]
	v_mul_f64_e32 v[10:11], s[6:7], v[46:47]
	v_fma_f64 v[8:9], s[6:7], v[44:45], -v[8:9]
	s_delay_alu instid0(VALU_DEP_2) | instskip(NEXT) | instid1(VALU_DEP_2)
	v_fma_f64 v[10:11], s[8:9], v[44:45], v[10:11]
	v_add_f64_e32 v[40:41], v[2:3], v[8:9]
	s_delay_alu instid0(VALU_DEP_2)
	v_add_f64_e32 v[42:43], v[6:7], v[10:11]
	v_add_co_u32 v2, vcc_lo, v14, v0
	s_wait_alu 0xfffd
	v_add_co_ci_u32_e64 v3, null, v15, v1, vcc_lo
	v_mul_f64_e32 v[6:7], s[38:39], v[156:157]
	v_add_co_u32 v16, vcc_lo, v16, s24
	s_wait_alu 0xfffd
	v_add_co_ci_u32_e64 v17, null, s25, v17, vcc_lo
	global_store_b128 v[4:5], v[40:43], off offset:768
	global_load_b128 v[40:43], v[2:3], off
	v_mul_f64_e32 v[4:5], s[40:41], v[156:157]
	v_fma_f64 v[6:7], s[40:41], v[154:155], v[6:7]
	s_delay_alu instid0(VALU_DEP_2) | instskip(SKIP_3) | instid1(VALU_DEP_2)
	v_fma_f64 v[4:5], s[38:39], v[154:155], -v[4:5]
	s_wait_loadcnt 0x0
	v_mul_f64_e32 v[8:9], s[8:9], v[42:43]
	v_mul_f64_e32 v[10:11], s[6:7], v[42:43]
	v_fma_f64 v[8:9], s[6:7], v[40:41], -v[8:9]
	s_delay_alu instid0(VALU_DEP_2) | instskip(NEXT) | instid1(VALU_DEP_2)
	v_fma_f64 v[10:11], s[8:9], v[40:41], v[10:11]
	v_add_f64_e32 v[36:37], v[4:5], v[8:9]
	s_delay_alu instid0(VALU_DEP_2)
	v_add_f64_e32 v[38:39], v[6:7], v[10:11]
	v_add_co_u32 v4, vcc_lo, v16, v0
	s_wait_alu 0xfffd
	v_add_co_ci_u32_e64 v5, null, v17, v1, vcc_lo
	v_mul_f64_e32 v[6:7], s[40:41], v[152:153]
	v_mul_f64_e32 v[8:9], s[38:39], v[152:153]
	global_store_b128 v[4:5], v[36:39], off
	global_load_b128 v[36:39], v[2:3], off offset:256
	v_fma_f64 v[6:7], s[38:39], v[18:19], -v[6:7]
	v_fma_f64 v[8:9], s[40:41], v[18:19], v[8:9]
	scratch_load_b64 v[18:19], off, off offset:8 th:TH_LOAD_LU ; 8-byte Folded Reload
	s_wait_loadcnt 0x1
	v_mul_f64_e32 v[10:11], s[8:9], v[38:39]
	v_mul_f64_e32 v[12:13], s[6:7], v[38:39]
	s_delay_alu instid0(VALU_DEP_2) | instskip(NEXT) | instid1(VALU_DEP_2)
	v_fma_f64 v[10:11], s[6:7], v[36:37], -v[10:11]
	v_fma_f64 v[12:13], s[8:9], v[36:37], v[12:13]
	s_delay_alu instid0(VALU_DEP_2) | instskip(NEXT) | instid1(VALU_DEP_2)
	v_add_f64_e32 v[32:33], v[6:7], v[10:11]
	v_add_f64_e32 v[34:35], v[8:9], v[12:13]
	v_mul_f64_e32 v[6:7], s[40:41], v[150:151]
	v_mul_f64_e32 v[8:9], s[38:39], v[150:151]
	global_store_b128 v[4:5], v[32:35], off offset:256
	global_load_b128 v[32:35], v[2:3], off offset:512
	v_fma_f64 v[6:7], s[38:39], v[22:23], -v[6:7]
	v_fma_f64 v[8:9], s[40:41], v[22:23], v[8:9]
	s_wait_loadcnt 0x0
	v_mul_f64_e32 v[10:11], s[8:9], v[34:35]
	v_mul_f64_e32 v[12:13], s[6:7], v[34:35]
	s_delay_alu instid0(VALU_DEP_2) | instskip(NEXT) | instid1(VALU_DEP_2)
	v_fma_f64 v[10:11], s[6:7], v[32:33], -v[10:11]
	v_fma_f64 v[12:13], s[8:9], v[32:33], v[12:13]
	s_delay_alu instid0(VALU_DEP_2) | instskip(NEXT) | instid1(VALU_DEP_2)
	v_add_f64_e32 v[28:29], v[6:7], v[10:11]
	v_add_f64_e32 v[30:31], v[8:9], v[12:13]
	scratch_load_b64 v[12:13], off, off th:TH_LOAD_LU ; 8-byte Folded Reload
	v_mul_f64_e32 v[6:7], s[38:39], v[148:149]
	global_store_b128 v[4:5], v[28:31], off offset:512
	global_load_b128 v[28:31], v[2:3], off offset:768
	v_mul_f64_e32 v[2:3], s[40:41], v[148:149]
	s_wait_loadcnt 0x1
	s_delay_alu instid0(VALU_DEP_1) | instskip(SKIP_4) | instid1(VALU_DEP_2)
	v_fma_f64 v[2:3], s[38:39], v[12:13], -v[2:3]
	v_fma_f64 v[6:7], s[40:41], v[12:13], v[6:7]
	s_wait_loadcnt 0x0
	v_mul_f64_e32 v[8:9], s[8:9], v[30:31]
	v_mul_f64_e32 v[10:11], s[6:7], v[30:31]
	v_fma_f64 v[8:9], s[6:7], v[28:29], -v[8:9]
	s_delay_alu instid0(VALU_DEP_2) | instskip(NEXT) | instid1(VALU_DEP_2)
	v_fma_f64 v[10:11], s[8:9], v[28:29], v[10:11]
	v_add_f64_e32 v[24:25], v[2:3], v[8:9]
	s_delay_alu instid0(VALU_DEP_2) | instskip(SKIP_4) | instid1(VALU_DEP_3)
	v_add_f64_e32 v[26:27], v[6:7], v[10:11]
	v_add_co_u32 v2, vcc_lo, v14, s22
	s_wait_alu 0xfffd
	v_add_co_ci_u32_e64 v3, null, s23, v15, vcc_lo
	v_mul_f64_e32 v[6:7], s[38:39], v[146:147]
	v_add_co_u32 v2, vcc_lo, v2, v0
	s_wait_alu 0xfffd
	s_delay_alu instid0(VALU_DEP_3) | instskip(SKIP_4) | instid1(VALU_DEP_2)
	v_add_co_ci_u32_e64 v3, null, v3, v1, vcc_lo
	global_store_b128 v[4:5], v[24:27], off offset:768
	global_load_b128 v[24:27], v[2:3], off
	v_mul_f64_e32 v[4:5], s[40:41], v[146:147]
	v_fma_f64 v[6:7], s[40:41], v[18:19], v[6:7]
	v_fma_f64 v[4:5], s[38:39], v[18:19], -v[4:5]
	s_wait_loadcnt 0x0
	v_mul_f64_e32 v[8:9], s[8:9], v[26:27]
	v_mul_f64_e32 v[10:11], s[6:7], v[26:27]
	s_delay_alu instid0(VALU_DEP_2) | instskip(NEXT) | instid1(VALU_DEP_2)
	v_fma_f64 v[8:9], s[6:7], v[24:25], -v[8:9]
	v_fma_f64 v[10:11], s[8:9], v[24:25], v[10:11]
	s_delay_alu instid0(VALU_DEP_2) | instskip(NEXT) | instid1(VALU_DEP_2)
	v_add_f64_e32 v[20:21], v[4:5], v[8:9]
	v_add_f64_e32 v[22:23], v[6:7], v[10:11]
	v_add_co_u32 v4, vcc_lo, v16, s24
	s_wait_alu 0xfffd
	v_add_co_ci_u32_e64 v5, null, s25, v17, vcc_lo
	v_mul_f64_e32 v[6:7], s[38:39], v[144:145]
	s_delay_alu instid0(VALU_DEP_3) | instskip(SKIP_1) | instid1(VALU_DEP_3)
	v_add_co_u32 v0, vcc_lo, v4, v0
	s_wait_alu 0xfffd
	v_add_co_ci_u32_e64 v1, null, v5, v1, vcc_lo
	v_mul_f64_e32 v[4:5], s[40:41], v[144:145]
	s_delay_alu instid0(VALU_DEP_3) | instskip(SKIP_1) | instid1(VALU_DEP_3)
	v_add_co_u32 v74, vcc_lo, 0x300, v0
	s_wait_alu 0xfffd
	v_add_co_ci_u32_e64 v75, null, 0, v1, vcc_lo
	global_store_b128 v[0:1], v[20:23], off
	global_load_b128 v[20:23], v[2:3], off offset:256
	v_fma_f64 v[6:7], s[40:41], v[206:207], v[6:7]
	v_fma_f64 v[4:5], s[38:39], v[206:207], -v[4:5]
	s_wait_loadcnt 0x0
	v_mul_f64_e32 v[8:9], s[8:9], v[22:23]
	v_mul_f64_e32 v[10:11], s[6:7], v[22:23]
	s_delay_alu instid0(VALU_DEP_2) | instskip(NEXT) | instid1(VALU_DEP_2)
	v_fma_f64 v[8:9], s[6:7], v[20:21], -v[8:9]
	v_fma_f64 v[10:11], s[8:9], v[20:21], v[10:11]
	s_delay_alu instid0(VALU_DEP_2) | instskip(NEXT) | instid1(VALU_DEP_2)
	v_add_f64_e32 v[16:17], v[4:5], v[8:9]
	v_add_f64_e32 v[18:19], v[6:7], v[10:11]
	v_mul_f64_e32 v[4:5], s[40:41], v[138:139]
	v_mul_f64_e32 v[6:7], s[38:39], v[138:139]
	global_store_b128 v[0:1], v[16:19], off offset:256
	global_load_b128 v[16:19], v[2:3], off offset:512
	v_fma_f64 v[4:5], s[38:39], v[176:177], -v[4:5]
	v_fma_f64 v[6:7], s[40:41], v[176:177], v[6:7]
	s_wait_loadcnt 0x0
	v_mul_f64_e32 v[8:9], s[8:9], v[18:19]
	v_mul_f64_e32 v[10:11], s[6:7], v[18:19]
	s_delay_alu instid0(VALU_DEP_2) | instskip(NEXT) | instid1(VALU_DEP_2)
	v_fma_f64 v[8:9], s[6:7], v[16:17], -v[8:9]
	v_fma_f64 v[10:11], s[8:9], v[16:17], v[10:11]
	s_delay_alu instid0(VALU_DEP_2) | instskip(NEXT) | instid1(VALU_DEP_2)
	v_add_f64_e32 v[12:13], v[4:5], v[8:9]
	v_add_f64_e32 v[14:15], v[6:7], v[10:11]
	v_mul_f64_e32 v[4:5], s[38:39], v[136:137]
	global_store_b128 v[0:1], v[12:15], off offset:512
	global_load_b128 v[12:15], v[2:3], off offset:768
	v_mul_f64_e32 v[2:3], s[40:41], v[136:137]
	v_fma_f64 v[4:5], s[40:41], v[140:141], v[4:5]
	s_delay_alu instid0(VALU_DEP_2) | instskip(SKIP_3) | instid1(VALU_DEP_2)
	v_fma_f64 v[2:3], s[38:39], v[140:141], -v[2:3]
	s_wait_loadcnt 0x0
	v_mul_f64_e32 v[6:7], s[8:9], v[14:15]
	v_mul_f64_e32 v[8:9], s[6:7], v[14:15]
	v_fma_f64 v[6:7], s[6:7], v[12:13], -v[6:7]
	s_delay_alu instid0(VALU_DEP_2) | instskip(NEXT) | instid1(VALU_DEP_2)
	v_fma_f64 v[8:9], s[8:9], v[12:13], v[8:9]
	v_add_f64_e32 v[2:3], v[2:3], v[6:7]
	s_delay_alu instid0(VALU_DEP_2)
	v_add_f64_e32 v[72:73], v[4:5], v[8:9]
	global_store_b64 v[0:1], v[2:3], off offset:768
	s_branch .LBB120_2
.LBB120_11:
	s_nop 0
	s_sendmsg sendmsg(MSG_DEALLOC_VGPRS)
	s_endpgm
	.section	.rodata,"a",@progbits
	.p2align	6, 0x0
	.amdhsa_kernel _ZN12_GLOBAL__N_127rocblas_gemm_batched_kernelI19rocblas_complex_numIdELi16ELi16ELi64ELi64ELi4ELi64ELi4ELi4ELi64ELc78ELc84EKS2_S3_S2_EEvlllT_PT11_llS6_llS4_PT12_llPT13_lli
		.amdhsa_group_segment_fixed_size 8192
		.amdhsa_private_segment_fixed_size 372
		.amdhsa_kernarg_size 156
		.amdhsa_user_sgpr_count 2
		.amdhsa_user_sgpr_dispatch_ptr 0
		.amdhsa_user_sgpr_queue_ptr 0
		.amdhsa_user_sgpr_kernarg_segment_ptr 1
		.amdhsa_user_sgpr_dispatch_id 0
		.amdhsa_user_sgpr_private_segment_size 0
		.amdhsa_wavefront_size32 1
		.amdhsa_uses_dynamic_stack 0
		.amdhsa_enable_private_segment 1
		.amdhsa_system_sgpr_workgroup_id_x 1
		.amdhsa_system_sgpr_workgroup_id_y 1
		.amdhsa_system_sgpr_workgroup_id_z 1
		.amdhsa_system_sgpr_workgroup_info 0
		.amdhsa_system_vgpr_workitem_id 1
		.amdhsa_next_free_vgpr 256
		.amdhsa_next_free_sgpr 52
		.amdhsa_reserve_vcc 1
		.amdhsa_float_round_mode_32 0
		.amdhsa_float_round_mode_16_64 0
		.amdhsa_float_denorm_mode_32 3
		.amdhsa_float_denorm_mode_16_64 3
		.amdhsa_fp16_overflow 0
		.amdhsa_workgroup_processor_mode 1
		.amdhsa_memory_ordered 1
		.amdhsa_forward_progress 1
		.amdhsa_inst_pref_size 67
		.amdhsa_round_robin_scheduling 0
		.amdhsa_exception_fp_ieee_invalid_op 0
		.amdhsa_exception_fp_denorm_src 0
		.amdhsa_exception_fp_ieee_div_zero 0
		.amdhsa_exception_fp_ieee_overflow 0
		.amdhsa_exception_fp_ieee_underflow 0
		.amdhsa_exception_fp_ieee_inexact 0
		.amdhsa_exception_int_div_zero 0
	.end_amdhsa_kernel
	.section	.text._ZN12_GLOBAL__N_127rocblas_gemm_batched_kernelI19rocblas_complex_numIdELi16ELi16ELi64ELi64ELi4ELi64ELi4ELi4ELi64ELc78ELc84EKS2_S3_S2_EEvlllT_PT11_llS6_llS4_PT12_llPT13_lli,"axG",@progbits,_ZN12_GLOBAL__N_127rocblas_gemm_batched_kernelI19rocblas_complex_numIdELi16ELi16ELi64ELi64ELi4ELi64ELi4ELi4ELi64ELc78ELc84EKS2_S3_S2_EEvlllT_PT11_llS6_llS4_PT12_llPT13_lli,comdat
.Lfunc_end120:
	.size	_ZN12_GLOBAL__N_127rocblas_gemm_batched_kernelI19rocblas_complex_numIdELi16ELi16ELi64ELi64ELi4ELi64ELi4ELi4ELi64ELc78ELc84EKS2_S3_S2_EEvlllT_PT11_llS6_llS4_PT12_llPT13_lli, .Lfunc_end120-_ZN12_GLOBAL__N_127rocblas_gemm_batched_kernelI19rocblas_complex_numIdELi16ELi16ELi64ELi64ELi4ELi64ELi4ELi4ELi64ELc78ELc84EKS2_S3_S2_EEvlllT_PT11_llS6_llS4_PT12_llPT13_lli
                                        ; -- End function
	.set _ZN12_GLOBAL__N_127rocblas_gemm_batched_kernelI19rocblas_complex_numIdELi16ELi16ELi64ELi64ELi4ELi64ELi4ELi4ELi64ELc78ELc84EKS2_S3_S2_EEvlllT_PT11_llS6_llS4_PT12_llPT13_lli.num_vgpr, 256
	.set _ZN12_GLOBAL__N_127rocblas_gemm_batched_kernelI19rocblas_complex_numIdELi16ELi16ELi64ELi64ELi4ELi64ELi4ELi4ELi64ELc78ELc84EKS2_S3_S2_EEvlllT_PT11_llS6_llS4_PT12_llPT13_lli.num_agpr, 0
	.set _ZN12_GLOBAL__N_127rocblas_gemm_batched_kernelI19rocblas_complex_numIdELi16ELi16ELi64ELi64ELi4ELi64ELi4ELi4ELi64ELc78ELc84EKS2_S3_S2_EEvlllT_PT11_llS6_llS4_PT12_llPT13_lli.numbered_sgpr, 52
	.set _ZN12_GLOBAL__N_127rocblas_gemm_batched_kernelI19rocblas_complex_numIdELi16ELi16ELi64ELi64ELi4ELi64ELi4ELi4ELi64ELc78ELc84EKS2_S3_S2_EEvlllT_PT11_llS6_llS4_PT12_llPT13_lli.num_named_barrier, 0
	.set _ZN12_GLOBAL__N_127rocblas_gemm_batched_kernelI19rocblas_complex_numIdELi16ELi16ELi64ELi64ELi4ELi64ELi4ELi4ELi64ELc78ELc84EKS2_S3_S2_EEvlllT_PT11_llS6_llS4_PT12_llPT13_lli.private_seg_size, 372
	.set _ZN12_GLOBAL__N_127rocblas_gemm_batched_kernelI19rocblas_complex_numIdELi16ELi16ELi64ELi64ELi4ELi64ELi4ELi4ELi64ELc78ELc84EKS2_S3_S2_EEvlllT_PT11_llS6_llS4_PT12_llPT13_lli.uses_vcc, 1
	.set _ZN12_GLOBAL__N_127rocblas_gemm_batched_kernelI19rocblas_complex_numIdELi16ELi16ELi64ELi64ELi4ELi64ELi4ELi4ELi64ELc78ELc84EKS2_S3_S2_EEvlllT_PT11_llS6_llS4_PT12_llPT13_lli.uses_flat_scratch, 1
	.set _ZN12_GLOBAL__N_127rocblas_gemm_batched_kernelI19rocblas_complex_numIdELi16ELi16ELi64ELi64ELi4ELi64ELi4ELi4ELi64ELc78ELc84EKS2_S3_S2_EEvlllT_PT11_llS6_llS4_PT12_llPT13_lli.has_dyn_sized_stack, 0
	.set _ZN12_GLOBAL__N_127rocblas_gemm_batched_kernelI19rocblas_complex_numIdELi16ELi16ELi64ELi64ELi4ELi64ELi4ELi4ELi64ELc78ELc84EKS2_S3_S2_EEvlllT_PT11_llS6_llS4_PT12_llPT13_lli.has_recursion, 0
	.set _ZN12_GLOBAL__N_127rocblas_gemm_batched_kernelI19rocblas_complex_numIdELi16ELi16ELi64ELi64ELi4ELi64ELi4ELi4ELi64ELc78ELc84EKS2_S3_S2_EEvlllT_PT11_llS6_llS4_PT12_llPT13_lli.has_indirect_call, 0
	.section	.AMDGPU.csdata,"",@progbits
; Kernel info:
; codeLenInByte = 8496
; TotalNumSgprs: 54
; NumVgprs: 256
; ScratchSize: 372
; MemoryBound: 0
; FloatMode: 240
; IeeeMode: 1
; LDSByteSize: 8192 bytes/workgroup (compile time only)
; SGPRBlocks: 0
; VGPRBlocks: 31
; NumSGPRsForWavesPerEU: 54
; NumVGPRsForWavesPerEU: 256
; Occupancy: 5
; WaveLimiterHint : 1
; COMPUTE_PGM_RSRC2:SCRATCH_EN: 1
; COMPUTE_PGM_RSRC2:USER_SGPR: 2
; COMPUTE_PGM_RSRC2:TRAP_HANDLER: 0
; COMPUTE_PGM_RSRC2:TGID_X_EN: 1
; COMPUTE_PGM_RSRC2:TGID_Y_EN: 1
; COMPUTE_PGM_RSRC2:TGID_Z_EN: 1
; COMPUTE_PGM_RSRC2:TIDIG_COMP_CNT: 1
	.section	.text._ZN12_GLOBAL__N_127rocblas_gemm_batched_kernelI19rocblas_complex_numIdELi16ELi16ELi64ELi64ELi4ELi64ELi4ELi4ELi64ELc84ELc84EKS2_S3_S2_EEvlllT_PT11_llS6_llS4_PT12_llPT13_lli,"axG",@progbits,_ZN12_GLOBAL__N_127rocblas_gemm_batched_kernelI19rocblas_complex_numIdELi16ELi16ELi64ELi64ELi4ELi64ELi4ELi4ELi64ELc84ELc84EKS2_S3_S2_EEvlllT_PT11_llS6_llS4_PT12_llPT13_lli,comdat
	.globl	_ZN12_GLOBAL__N_127rocblas_gemm_batched_kernelI19rocblas_complex_numIdELi16ELi16ELi64ELi64ELi4ELi64ELi4ELi4ELi64ELc84ELc84EKS2_S3_S2_EEvlllT_PT11_llS6_llS4_PT12_llPT13_lli ; -- Begin function _ZN12_GLOBAL__N_127rocblas_gemm_batched_kernelI19rocblas_complex_numIdELi16ELi16ELi64ELi64ELi4ELi64ELi4ELi4ELi64ELc84ELc84EKS2_S3_S2_EEvlllT_PT11_llS6_llS4_PT12_llPT13_lli
	.p2align	8
	.type	_ZN12_GLOBAL__N_127rocblas_gemm_batched_kernelI19rocblas_complex_numIdELi16ELi16ELi64ELi64ELi4ELi64ELi4ELi4ELi64ELc84ELc84EKS2_S3_S2_EEvlllT_PT11_llS6_llS4_PT12_llPT13_lli,@function
_ZN12_GLOBAL__N_127rocblas_gemm_batched_kernelI19rocblas_complex_numIdELi16ELi16ELi64ELi64ELi4ELi64ELi4ELi4ELi64ELc84ELc84EKS2_S3_S2_EEvlllT_PT11_llS6_llS4_PT12_llPT13_lli: ; @_ZN12_GLOBAL__N_127rocblas_gemm_batched_kernelI19rocblas_complex_numIdELi16ELi16ELi64ELi64ELi4ELi64ELi4ELi4ELi64ELc84ELc84EKS2_S3_S2_EEvlllT_PT11_llS6_llS4_PT12_llPT13_lli
; %bb.0:
	s_load_b32 s26, s[0:1], 0x98
	s_lshr_b32 s2, ttmp7, 16
	s_wait_kmcnt 0x0
	s_cmp_ge_i32 s2, s26
	s_cbranch_scc1 .LBB121_11
; %bb.1:
	s_clause 0x2
	s_load_b512 s[4:19], s[0:1], 0x50
	s_load_b512 s[36:51], s[0:1], 0x10
	s_load_b64 s[20:21], s[0:1], 0x90
	v_and_b32_e32 v13, 0x3ff, v0
	v_bfe_u32 v2, v0, 10, 10
	s_mov_b32 s22, ttmp9
	s_ashr_i32 s23, ttmp9, 31
	s_lshl_b32 s24, ttmp7, 6
	s_lshl_b64 s[0:1], s[22:23], 6
	v_lshl_add_u32 v3, v2, 4, v13
	s_and_b32 s22, s24, 0x3fffc0
	v_lshl_add_u32 v205, v2, 6, 0x1000
	v_add_nc_u32_e32 v12, s22, v2
	s_mov_b32 s3, 0
	v_lshrrev_b32_e32 v9, 2, v3
	v_and_b32_e32 v11, 63, v3
	v_lshrrev_b32_e32 v14, 6, v3
	s_delay_alu instid0(VALU_DEP_2) | instskip(SKIP_4) | instid1(VALU_DEP_1)
	v_or_b32_e32 v3, s0, v11
	s_wait_kmcnt 0x0
	v_mad_co_u64_u32 v[17:18], null, v12, s18, 0
	v_and_b32_e32 v10, 3, v0
	v_add_co_u32 v0, s25, v9, s22
	v_add_co_ci_u32_e64 v1, null, 0, 0, s25
	v_mad_co_u64_u32 v[6:7], null, v12, s12, 0
	v_mul_lo_u32 v16, s45, v3
	s_delay_alu instid0(VALU_DEP_3)
	v_mad_co_u64_u32 v[4:5], null, s50, v10, v[0:1]
	v_dual_mov_b32 v1, v18 :: v_dual_lshlrev_b32 v8, 4, v10
	v_lshlrev_b32_e32 v0, 4, v11
	v_cmp_eq_f64_e64 s23, s[6:7], 0
	v_cmp_eq_f64_e64 s24, s[8:9], 0
	s_lshl_b64 s[4:5], s[4:5], 4
	v_lshl_or_b32 v15, v9, 6, v8
	v_mov_b32_e32 v2, v5
	v_mad_co_u64_u32 v[8:9], null, s44, v3, 0
	v_mov_b32_e32 v3, v7
	v_lshl_or_b32 v134, v14, 10, v0
	v_lshlrev_b32_e32 v0, 4, v14
	v_add_nc_u32_e32 v135, 0x1000, v15
	s_delay_alu instid0(VALU_DEP_4) | instskip(NEXT) | instid1(VALU_DEP_1)
	v_mad_co_u64_u32 v[10:11], null, s51, v10, v[2:3]
	v_mov_b32_e32 v5, v10
	v_mad_co_u64_u32 v[1:2], null, v12, s19, v[1:2]
	v_mad_co_u64_u32 v[11:12], null, v12, s13, v[3:4]
	v_lshlrev_b32_e32 v204, 4, v13
	v_add_co_u32 v2, s0, s0, v13
	s_wait_alu 0xf1ff
	v_add_co_ci_u32_e64 v3, null, s1, 0, s0
	s_mul_i32 s0, s44, s1
	v_mov_b32_e32 v7, v11
	s_wait_alu 0xfffe
	v_add3_u32 v9, v9, s0, v16
	v_mov_b32_e32 v18, v1
	v_cmp_gt_i64_e64 s0, s[36:37], 0
	v_lshlrev_b64_e32 v[6:7], 4, v[6:7]
	s_delay_alu instid0(VALU_DEP_4)
	v_lshlrev_b64_e32 v[8:9], 4, v[8:9]
	scratch_store_b64 off, v[17:18], off offset:328 ; 8-byte Folded Spill
	s_and_b32 s27, s23, s24
	s_lshl_b64 s[22:23], s[18:19], 4
	s_lshl_b64 s[18:19], s[12:13], 4
	v_add_co_u32 v1, vcc_lo, s10, v6
	s_lshl_b64 s[12:13], s[50:51], 6
	s_wait_alu 0xfffe
	s_lshl_b64 s[18:19], s[18:19], 4
	s_lshl_b64 s[22:23], s[22:23], 4
	scratch_store_b32 off, v1, off offset:360 ; 4-byte Folded Spill
	v_add_co_ci_u32_e64 v1, null, s11, v7, vcc_lo
	v_add_co_u32 v0, vcc_lo, v8, v0
	v_lshlrev_b64_e32 v[6:7], 4, v[4:5]
	scratch_store_b32 off, v1, off offset:364 ; 4-byte Folded Spill
	s_wait_alu 0xfffd
	v_add_co_ci_u32_e64 v1, null, 0, v9, vcc_lo
	v_add_co_u32 v0, vcc_lo, s42, v0
	s_lshl_b64 s[10:11], s[46:47], 4
	s_wait_alu 0xfffd
	v_add_co_ci_u32_e64 v1, null, s43, v1, vcc_lo
	s_clause 0x1
	scratch_store_b64 off, v[2:3], off offset:336
	scratch_store_b64 off, v[0:1], off offset:344
	v_cndmask_b32_e64 v0, 0, 1, s0
	v_add_co_u32 v1, vcc_lo, s48, v6
	s_wait_alu 0xfffd
	v_add_co_ci_u32_e64 v2, null, s49, v7, vcc_lo
	s_delay_alu instid0(VALU_DEP_3)
	v_cmp_ne_u32_e64 s0, 1, v0
	s_clause 0x2
	scratch_store_b64 off, v[1:2], off offset:352
	scratch_store_b32 off, v134, off offset:320
	scratch_store_b32 off, v135, off offset:324
	s_branch .LBB121_3
.LBB121_2:                              ;   in Loop: Header=BB121_3 Depth=1
	s_add_co_i32 s2, s2, 0x10000
	global_store_b64 v[74:75], v[72:73], off offset:8
	s_wait_alu 0xfffe
	s_cmp_lt_i32 s2, s26
	s_cbranch_scc0 .LBB121_11
.LBB121_3:                              ; =>This Loop Header: Depth=1
                                        ;     Child Loop BB121_5 Depth 2
	s_and_b32 vcc_lo, exec_lo, s0
	s_wait_alu 0xfffe
	s_cbranch_vccnz .LBB121_6
; %bb.4:                                ;   in Loop: Header=BB121_3 Depth=1
	scratch_load_b64 v[0:1], off, off offset:344 ; 8-byte Folded Reload
	v_mov_b32_e32 v254, 0
	v_mov_b32_e32 v206, 0
	;; [unrolled: 1-line block ×3, first 2 shown]
	v_dual_mov_b32 v31, 0 :: v_dual_mov_b32 v26, 0
	v_mov_b32_e32 v140, 0
	v_dual_mov_b32 v141, 0 :: v_dual_mov_b32 v138, 0
	v_mov_b32_e32 v72, 0
	;; [unrolled: 2-line block ×3, first 2 shown]
	v_mov_b32_e32 v73, 0
	v_mov_b32_e32 v177, 0
	;; [unrolled: 1-line block ×3, first 2 shown]
	s_mov_b64 s[24:25], 0
	v_mov_b32_e32 v24, 0
	v_dual_mov_b32 v25, 0 :: v_dual_mov_b32 v22, 0
	v_dual_mov_b32 v23, 0 :: v_dual_mov_b32 v18, 0
	;; [unrolled: 1-line block ×18, first 2 shown]
	v_mov_b32_e32 v179, 0
	s_wait_loadcnt 0x0
	v_mad_co_u64_u32 v[32:33], null, s10, s2, v[0:1]
	scratch_load_b64 v[0:1], off, off offset:352 ; 8-byte Folded Reload
	v_dual_mov_b32 v255, 0 :: v_dual_mov_b32 v20, v33
	s_delay_alu instid0(VALU_DEP_1) | instskip(SKIP_2) | instid1(VALU_DEP_3)
	v_mad_co_u64_u32 v[28:29], null, s11, s2, v[20:21]
	v_mov_b32_e32 v20, 0
	v_mov_b32_e32 v21, 0
	;; [unrolled: 1-line block ×3, first 2 shown]
	s_wait_loadcnt 0x0
	v_mad_co_u64_u32 v[34:35], null, s4, s2, v[0:1]
	v_mov_b32_e32 v0, 0
	v_mov_b32_e32 v1, 0
	scratch_store_b64 off, v[0:1], off offset:8 ; 8-byte Folded Spill
	v_mov_b32_e32 v0, 0
	v_mov_b32_e32 v1, 0
	;; [unrolled: 1-line block ×3, first 2 shown]
	scratch_store_b64 off, v[0:1], off      ; 8-byte Folded Spill
	v_mov_b32_e32 v0, 0
	v_mad_co_u64_u32 v[75:76], null, s5, s2, v[29:30]
	v_mov_b32_e32 v1, 0
	s_delay_alu instid0(VALU_DEP_2)
	v_dual_mov_b32 v35, v75 :: v_dual_mov_b32 v74, 0
	v_mov_b32_e32 v75, 0
.LBB121_5:                              ;   Parent Loop BB121_3 Depth=1
                                        ; =>  This Inner Loop Header: Depth=2
	s_clause 0x2
	scratch_store_b64 off, v[138:139], off offset:32
	scratch_store_b64 off, v[140:141], off offset:24
	;; [unrolled: 1-line block ×3, first 2 shown]
	global_load_b128 v[76:79], v[32:33], off
	global_load_b128 v[80:83], v[34:35], off
	v_dual_mov_b32 v38, v170 :: v_dual_mov_b32 v39, v171
	v_dual_mov_b32 v36, v176 :: v_dual_mov_b32 v37, v177
	;; [unrolled: 1-line block ×3, first 2 shown]
	s_wait_alu 0xfffe
	s_add_nc_u64 s[24:25], s[24:25], 4
	s_wait_loadcnt 0x1
	ds_store_2addr_b64 v134, v[76:77], v[78:79] offset1:1
	s_wait_loadcnt 0x0
	ds_store_2addr_b64 v135, v[80:81], v[82:83] offset1:1
	s_wait_storecnt_dscnt 0x0
	s_barrier_signal -1
	s_barrier_wait -1
	global_inv scope:SCOPE_SE
	ds_load_b128 v[90:93], v205
	ds_load_b128 v[126:129], v204
	ds_load_b128 v[130:133], v204 offset:256
	ds_load_b128 v[154:157], v205 offset:16
	s_wait_dscnt 0x2
	v_mul_f64_e32 v[76:77], v[92:93], v[128:129]
	v_mul_f64_e32 v[78:79], v[90:91], v[128:129]
	s_wait_dscnt 0x1
	v_mul_f64_e32 v[80:81], v[92:93], v[132:133]
	v_mul_f64_e32 v[82:83], v[90:91], v[132:133]
	s_delay_alu instid0(VALU_DEP_4)
	v_fma_f64 v[28:29], v[90:91], v[126:127], -v[76:77]
	scratch_store_b64 off, v[28:29], off offset:40 ; 8-byte Folded Spill
	v_fma_f64 v[28:29], v[92:93], v[126:127], v[78:79]
	scratch_store_b64 off, v[28:29], off offset:48 ; 8-byte Folded Spill
	v_fma_f64 v[28:29], v[90:91], v[130:131], -v[80:81]
	scratch_store_b64 off, v[28:29], off offset:56 ; 8-byte Folded Spill
	v_fma_f64 v[28:29], v[92:93], v[130:131], v[82:83]
	scratch_store_b64 off, v[28:29], off offset:64 ; 8-byte Folded Spill
	ds_load_b128 v[134:137], v204 offset:512
	ds_load_b128 v[138:141], v204 offset:768
	;; [unrolled: 1-line block ×4, first 2 shown]
	s_wait_dscnt 0x3
	v_mul_f64_e32 v[84:85], v[92:93], v[136:137]
	v_mul_f64_e32 v[86:87], v[90:91], v[136:137]
	s_wait_dscnt 0x2
	v_mul_f64_e32 v[88:89], v[92:93], v[140:141]
	s_wait_dscnt 0x1
	v_mul_f64_e32 v[94:95], v[106:107], v[128:129]
	v_mul_f64_e32 v[96:97], v[108:109], v[132:133]
	;; [unrolled: 1-line block ×6, first 2 shown]
	v_fma_f64 v[28:29], v[90:91], v[134:135], -v[84:85]
	scratch_store_b64 off, v[28:29], off offset:72 ; 8-byte Folded Spill
	v_fma_f64 v[28:29], v[92:93], v[134:135], v[86:87]
	scratch_store_b64 off, v[28:29], off offset:80 ; 8-byte Folded Spill
	v_fma_f64 v[28:29], v[90:91], v[138:139], -v[88:89]
	v_mul_f64_e32 v[90:91], v[90:91], v[140:141]
	scratch_store_b64 off, v[28:29], off offset:88 ; 8-byte Folded Spill
	v_fma_f64 v[28:29], v[92:93], v[138:139], v[90:91]
	v_mul_f64_e32 v[92:93], v[108:109], v[128:129]
	scratch_store_b64 off, v[28:29], off offset:96 ; 8-byte Folded Spill
	v_fma_f64 v[28:29], v[106:107], v[126:127], -v[92:93]
	scratch_store_b64 off, v[28:29], off offset:104 ; 8-byte Folded Spill
	v_fma_f64 v[28:29], v[108:109], v[126:127], v[94:95]
	scratch_store_b64 off, v[28:29], off offset:112 ; 8-byte Folded Spill
	v_fma_f64 v[28:29], v[106:107], v[130:131], -v[96:97]
	scratch_store_b64 off, v[28:29], off offset:120 ; 8-byte Folded Spill
	v_fma_f64 v[28:29], v[108:109], v[130:131], v[98:99]
	;; [unrolled: 4-line block ×3, first 2 shown]
	scratch_store_b64 off, v[28:29], off offset:144 ; 8-byte Folded Spill
	v_fma_f64 v[28:29], v[106:107], v[138:139], -v[104:105]
	v_mul_f64_e32 v[106:107], v[106:107], v[140:141]
	scratch_store_b64 off, v[28:29], off offset:152 ; 8-byte Folded Spill
	v_fma_f64 v[28:29], v[108:109], v[138:139], v[106:107]
	scratch_store_b64 off, v[28:29], off offset:160 ; 8-byte Folded Spill
	ds_load_b128 v[122:125], v205 offset:2048
	ds_load_b128 v[186:189], v205 offset:2064
	s_wait_dscnt 0x1
	v_mul_f64_e32 v[108:109], v[124:125], v[128:129]
	v_mul_f64_e32 v[110:111], v[122:123], v[128:129]
	;; [unrolled: 1-line block ×7, first 2 shown]
	v_fma_f64 v[28:29], v[122:123], v[126:127], -v[108:109]
	scratch_store_b64 off, v[28:29], off offset:168 ; 8-byte Folded Spill
	v_fma_f64 v[28:29], v[124:125], v[126:127], v[110:111]
	v_dual_mov_b32 v111, v35 :: v_dual_mov_b32 v110, v34
	scratch_store_b64 off, v[28:29], off offset:176 ; 8-byte Folded Spill
	v_fma_f64 v[28:29], v[122:123], v[130:131], -v[112:113]
	scratch_store_b64 off, v[28:29], off offset:184 ; 8-byte Folded Spill
	v_fma_f64 v[28:29], v[124:125], v[130:131], v[114:115]
	scratch_store_b64 off, v[28:29], off offset:192 ; 8-byte Folded Spill
	v_fma_f64 v[28:29], v[122:123], v[134:135], -v[116:117]
	scratch_store_b64 off, v[28:29], off offset:200 ; 8-byte Folded Spill
	v_fma_f64 v[28:29], v[124:125], v[134:135], v[118:119]
	scratch_store_b64 off, v[28:29], off offset:208 ; 8-byte Folded Spill
	v_fma_f64 v[28:29], v[122:123], v[138:139], -v[120:121]
	v_mul_f64_e32 v[122:123], v[122:123], v[140:141]
	scratch_store_b64 off, v[28:29], off offset:216 ; 8-byte Folded Spill
	v_fma_f64 v[28:29], v[124:125], v[138:139], v[122:123]
	scratch_store_b64 off, v[28:29], off offset:224 ; 8-byte Folded Spill
	ds_load_b128 v[142:145], v205 offset:3072
	ds_load_b128 v[210:213], v205 offset:3088
	s_wait_dscnt 0x1
	v_mul_f64_e32 v[124:125], v[144:145], v[128:129]
	v_mul_f64_e32 v[128:129], v[142:143], v[128:129]
	s_delay_alu instid0(VALU_DEP_2)
	v_fma_f64 v[28:29], v[142:143], v[126:127], -v[124:125]
	scratch_store_b64 off, v[28:29], off offset:232 ; 8-byte Folded Spill
	v_fma_f64 v[28:29], v[144:145], v[126:127], v[128:129]
	v_mul_f64_e32 v[128:129], v[144:145], v[132:133]
	v_mul_f64_e32 v[132:133], v[142:143], v[132:133]
	scratch_store_b64 off, v[28:29], off offset:240 ; 8-byte Folded Spill
	v_fma_f64 v[28:29], v[142:143], v[130:131], -v[128:129]
	scratch_store_b64 off, v[28:29], off offset:248 ; 8-byte Folded Spill
	v_fma_f64 v[28:29], v[144:145], v[130:131], v[132:133]
	v_mul_f64_e32 v[132:133], v[144:145], v[136:137]
	v_mul_f64_e32 v[136:137], v[142:143], v[136:137]
	scratch_store_b64 off, v[28:29], off offset:256 ; 8-byte Folded Spill
	;; [unrolled: 6-line block ×3, first 2 shown]
	v_fma_f64 v[28:29], v[142:143], v[138:139], -v[136:137]
	scratch_store_b64 off, v[28:29], off offset:280 ; 8-byte Folded Spill
	v_fma_f64 v[28:29], v[144:145], v[138:139], v[140:141]
	scratch_store_b64 off, v[28:29], off offset:288 ; 8-byte Folded Spill
	ds_load_b128 v[190:193], v204 offset:1024
	ds_load_b128 v[194:197], v204 offset:1280
	s_wait_dscnt 0x1
	v_mul_f64_e32 v[140:141], v[156:157], v[192:193]
	s_wait_dscnt 0x0
	v_mul_f64_e32 v[144:145], v[156:157], v[196:197]
	v_mul_f64_e32 v[142:143], v[154:155], v[192:193]
	v_mul_f64_e32 v[146:147], v[154:155], v[196:197]
	v_mul_f64_e32 v[160:161], v[172:173], v[196:197]
	v_mul_f64_e32 v[158:159], v[170:171], v[192:193]
	v_mul_f64_e32 v[162:163], v[170:171], v[196:197]
	v_mul_f64_e32 v[176:177], v[188:189], v[196:197]
	v_mul_f64_e32 v[174:175], v[186:187], v[192:193]
	v_fma_f64 v[28:29], v[154:155], v[190:191], -v[140:141]
	v_fma_f64 v[144:145], v[154:155], v[194:195], -v[144:145]
	v_fma_f64 v[142:143], v[156:157], v[190:191], v[142:143]
	v_fma_f64 v[146:147], v[156:157], v[194:195], v[146:147]
	v_fma_f64 v[160:161], v[170:171], v[194:195], -v[160:161]
	v_fma_f64 v[176:177], v[186:187], v[194:195], -v[176:177]
	v_fma_f64 v[174:175], v[188:189], v[190:191], v[174:175]
	scratch_store_b64 off, v[28:29], off offset:296 ; 8-byte Folded Spill
	ds_load_b128 v[198:201], v204 offset:1536
	ds_load_b128 v[214:217], v204 offset:1792
	s_wait_dscnt 0x1
	v_mul_f64_e32 v[148:149], v[156:157], v[200:201]
	s_wait_dscnt 0x0
	v_mul_f64_e32 v[152:153], v[156:157], v[216:217]
	v_mul_f64_e32 v[150:151], v[154:155], v[200:201]
	;; [unrolled: 1-line block ×9, first 2 shown]
	v_fma_f64 v[148:149], v[154:155], v[198:199], -v[148:149]
	v_fma_f64 v[152:153], v[154:155], v[214:215], -v[152:153]
	v_mul_f64_e32 v[154:155], v[154:155], v[216:217]
	v_fma_f64 v[150:151], v[156:157], v[198:199], v[150:151]
	v_fma_f64 v[168:169], v[170:171], v[214:215], -v[168:169]
	v_fma_f64 v[166:167], v[172:173], v[198:199], v[166:167]
	v_fma_f64 v[180:181], v[186:187], v[198:199], -v[180:181]
	v_fma_f64 v[184:185], v[186:187], v[214:215], -v[184:185]
	v_fma_f64 v[182:183], v[188:189], v[198:199], v[182:183]
	v_fma_f64 v[202:203], v[212:213], v[214:215], v[202:203]
	;; [unrolled: 1-line block ×3, first 2 shown]
	v_mul_f64_e32 v[156:157], v[172:173], v[192:193]
	s_delay_alu instid0(VALU_DEP_1)
	v_fma_f64 v[28:29], v[170:171], v[190:191], -v[156:157]
	v_fma_f64 v[156:157], v[170:171], v[198:199], -v[164:165]
	v_mul_f64_e32 v[170:171], v[170:171], v[216:217]
	scratch_store_b64 off, v[28:29], off offset:304 ; 8-byte Folded Spill
	v_fma_f64 v[28:29], v[172:173], v[190:191], v[158:159]
	v_fma_f64 v[158:159], v[172:173], v[194:195], v[162:163]
	;; [unrolled: 1-line block ×3, first 2 shown]
	v_mul_f64_e32 v[172:173], v[188:189], v[192:193]
	scratch_store_b64 off, v[28:29], off offset:312 ; 8-byte Folded Spill
	v_dual_mov_b32 v28, v178 :: v_dual_mov_b32 v29, v179
	v_fma_f64 v[172:173], v[186:187], v[190:191], -v[172:173]
	v_mul_f64_e32 v[178:179], v[186:187], v[196:197]
	v_mul_f64_e32 v[186:187], v[186:187], v[216:217]
	s_delay_alu instid0(VALU_DEP_2) | instskip(NEXT) | instid1(VALU_DEP_2)
	v_fma_f64 v[178:179], v[188:189], v[194:195], v[178:179]
	v_fma_f64 v[186:187], v[188:189], v[214:215], v[186:187]
	v_mul_f64_e32 v[188:189], v[212:213], v[192:193]
	v_mul_f64_e32 v[192:193], v[210:211], v[192:193]
	s_delay_alu instid0(VALU_DEP_2) | instskip(NEXT) | instid1(VALU_DEP_2)
	v_fma_f64 v[188:189], v[210:211], v[190:191], -v[188:189]
	v_fma_f64 v[190:191], v[212:213], v[190:191], v[192:193]
	v_mul_f64_e32 v[192:193], v[212:213], v[196:197]
	v_mul_f64_e32 v[196:197], v[210:211], v[196:197]
	s_delay_alu instid0(VALU_DEP_2) | instskip(NEXT) | instid1(VALU_DEP_2)
	v_fma_f64 v[192:193], v[210:211], v[194:195], -v[192:193]
	;; [unrolled: 5-line block ×3, first 2 shown]
	v_fma_f64 v[198:199], v[212:213], v[198:199], v[200:201]
	v_mul_f64_e32 v[200:201], v[212:213], v[216:217]
	s_delay_alu instid0(VALU_DEP_1)
	v_fma_f64 v[200:201], v[210:211], v[214:215], -v[200:201]
	ds_load_b128 v[210:213], v205 offset:32
	ds_load_b128 v[214:217], v204 offset:2048
	ds_load_b128 v[218:221], v204 offset:2304
	ds_load_b128 v[222:225], v205 offset:48
	s_wait_dscnt 0x2
	v_mul_f64_e32 v[226:227], v[212:213], v[216:217]
	s_delay_alu instid0(VALU_DEP_1) | instskip(SKIP_1) | instid1(VALU_DEP_1)
	v_fma_f64 v[138:139], v[210:211], v[214:215], -v[226:227]
	v_mul_f64_e32 v[226:227], v[210:211], v[216:217]
	v_fma_f64 v[136:137], v[212:213], v[214:215], v[226:227]
	s_wait_dscnt 0x1
	v_mul_f64_e32 v[226:227], v[212:213], v[220:221]
	s_delay_alu instid0(VALU_DEP_1) | instskip(SKIP_1) | instid1(VALU_DEP_1)
	v_fma_f64 v[134:135], v[210:211], v[218:219], -v[226:227]
	v_mul_f64_e32 v[226:227], v[210:211], v[220:221]
	v_fma_f64 v[132:133], v[212:213], v[218:219], v[226:227]
	ds_load_b128 v[226:229], v204 offset:2560
	ds_load_b128 v[230:233], v204 offset:2816
	s_wait_dscnt 0x1
	v_mul_f64_e32 v[234:235], v[212:213], v[228:229]
	s_delay_alu instid0(VALU_DEP_1) | instskip(SKIP_1) | instid1(VALU_DEP_1)
	v_fma_f64 v[130:131], v[210:211], v[226:227], -v[234:235]
	v_mul_f64_e32 v[234:235], v[210:211], v[228:229]
	v_fma_f64 v[128:129], v[212:213], v[226:227], v[234:235]
	s_wait_dscnt 0x0
	v_mul_f64_e32 v[234:235], v[212:213], v[232:233]
	s_delay_alu instid0(VALU_DEP_1) | instskip(SKIP_1) | instid1(VALU_DEP_1)
	v_fma_f64 v[126:127], v[210:211], v[230:231], -v[234:235]
	v_mul_f64_e32 v[210:211], v[210:211], v[232:233]
	v_fma_f64 v[124:125], v[212:213], v[230:231], v[210:211]
	ds_load_b128 v[210:213], v205 offset:1056
	ds_load_b128 v[234:237], v205 offset:1072
	s_wait_dscnt 0x1
	v_mul_f64_e32 v[238:239], v[212:213], v[216:217]
	s_delay_alu instid0(VALU_DEP_1) | instskip(SKIP_1) | instid1(VALU_DEP_1)
	v_fma_f64 v[164:165], v[210:211], v[214:215], -v[238:239]
	v_mul_f64_e32 v[238:239], v[210:211], v[216:217]
	v_fma_f64 v[162:163], v[212:213], v[214:215], v[238:239]
	v_mul_f64_e32 v[238:239], v[212:213], v[220:221]
	s_delay_alu instid0(VALU_DEP_1) | instskip(SKIP_1) | instid1(VALU_DEP_1)
	v_fma_f64 v[122:123], v[210:211], v[218:219], -v[238:239]
	v_mul_f64_e32 v[238:239], v[210:211], v[220:221]
	v_fma_f64 v[120:121], v[212:213], v[218:219], v[238:239]
	;; [unrolled: 5-line block ×4, first 2 shown]
	ds_load_b128 v[210:213], v205 offset:2080
	ds_load_b128 v[238:241], v205 offset:2096
	s_wait_dscnt 0x1
	v_mul_f64_e32 v[242:243], v[212:213], v[216:217]
	s_delay_alu instid0(VALU_DEP_1) | instskip(SKIP_1) | instid1(VALU_DEP_1)
	v_fma_f64 v[108:109], v[210:211], v[214:215], -v[242:243]
	v_mul_f64_e32 v[242:243], v[210:211], v[216:217]
	v_fma_f64 v[106:107], v[212:213], v[214:215], v[242:243]
	v_mul_f64_e32 v[242:243], v[212:213], v[220:221]
	s_delay_alu instid0(VALU_DEP_1) | instskip(SKIP_1) | instid1(VALU_DEP_1)
	v_fma_f64 v[104:105], v[210:211], v[218:219], -v[242:243]
	v_mul_f64_e32 v[242:243], v[210:211], v[220:221]
	v_fma_f64 v[102:103], v[212:213], v[218:219], v[242:243]
	;; [unrolled: 5-line block ×4, first 2 shown]
	ds_load_b128 v[210:213], v205 offset:3104
	ds_load_b128 v[242:245], v205 offset:3120
	s_wait_dscnt 0x1
	v_mul_f64_e32 v[34:35], v[212:213], v[216:217]
	v_mul_f64_e32 v[216:217], v[210:211], v[216:217]
	s_delay_alu instid0(VALU_DEP_2) | instskip(NEXT) | instid1(VALU_DEP_2)
	v_fma_f64 v[92:93], v[210:211], v[214:215], -v[34:35]
	v_fma_f64 v[90:91], v[212:213], v[214:215], v[216:217]
	v_mul_f64_e32 v[214:215], v[212:213], v[220:221]
	s_delay_alu instid0(VALU_DEP_1) | instskip(SKIP_1) | instid1(VALU_DEP_1)
	v_fma_f64 v[88:89], v[210:211], v[218:219], -v[214:215]
	v_mul_f64_e32 v[214:215], v[210:211], v[220:221]
	v_fma_f64 v[40:41], v[212:213], v[218:219], v[214:215]
	v_mul_f64_e32 v[214:215], v[212:213], v[228:229]
	s_delay_alu instid0(VALU_DEP_1) | instskip(SKIP_1) | instid1(VALU_DEP_1)
	v_fma_f64 v[42:43], v[210:211], v[226:227], -v[214:215]
	v_mul_f64_e32 v[214:215], v[210:211], v[228:229]
	;; [unrolled: 5-line block ×3, first 2 shown]
	v_fma_f64 v[230:231], v[212:213], v[230:231], v[210:211]
	ds_load_b128 v[210:213], v204 offset:3072
	ds_load_b128 v[214:217], v204 offset:3328
	s_wait_dscnt 0x1
	v_mul_f64_e32 v[218:219], v[224:225], v[212:213]
	s_wait_dscnt 0x0
	v_mul_f64_e32 v[62:63], v[236:237], v[216:217]
	v_mul_f64_e32 v[60:61], v[234:235], v[212:213]
	;; [unrolled: 1-line block ×6, first 2 shown]
	v_fma_f64 v[232:233], v[222:223], v[210:211], -v[218:219]
	v_mul_f64_e32 v[218:219], v[222:223], v[212:213]
	v_fma_f64 v[62:63], v[234:235], v[214:215], -v[62:63]
	v_fma_f64 v[60:61], v[236:237], v[210:211], v[60:61]
	v_fma_f64 v[64:65], v[236:237], v[214:215], v[64:65]
	v_fma_f64 v[78:79], v[238:239], v[214:215], -v[78:79]
	v_fma_f64 v[76:77], v[240:241], v[210:211], v[76:77]
	v_fma_f64 v[80:81], v[240:241], v[214:215], v[80:81]
	v_fma_f64 v[48:49], v[224:225], v[210:211], v[218:219]
	v_mul_f64_e32 v[218:219], v[224:225], v[216:217]
	s_delay_alu instid0(VALU_DEP_1) | instskip(SKIP_1) | instid1(VALU_DEP_1)
	v_fma_f64 v[50:51], v[222:223], v[214:215], -v[218:219]
	v_mul_f64_e32 v[218:219], v[222:223], v[216:217]
	v_fma_f64 v[52:53], v[224:225], v[214:215], v[218:219]
	ds_load_b128 v[218:221], v204 offset:3584
	ds_load_b128 v[226:229], v204 offset:3840
	scratch_load_b64 v[34:35], off, off offset:40 th:TH_LOAD_LU ; 8-byte Folded Reload
	s_wait_dscnt 0x1
	v_mul_f64_e32 v[54:55], v[224:225], v[220:221]
	s_wait_dscnt 0x0
	v_mul_f64_e32 v[58:59], v[224:225], v[228:229]
	v_mul_f64_e32 v[56:57], v[222:223], v[220:221]
	;; [unrolled: 1-line block ×8, first 2 shown]
	v_fma_f64 v[54:55], v[222:223], v[218:219], -v[54:55]
	v_fma_f64 v[58:59], v[222:223], v[226:227], -v[58:59]
	v_mul_f64_e32 v[222:223], v[222:223], v[228:229]
	v_fma_f64 v[56:57], v[224:225], v[218:219], v[56:57]
	v_fma_f64 v[66:67], v[234:235], v[218:219], -v[66:67]
	v_fma_f64 v[70:71], v[234:235], v[226:227], -v[70:71]
	v_fma_f64 v[68:69], v[236:237], v[218:219], v[68:69]
	v_fma_f64 v[82:83], v[238:239], v[218:219], -v[82:83]
	v_fma_f64 v[86:87], v[238:239], v[226:227], -v[86:87]
	v_fma_f64 v[84:85], v[240:241], v[218:219], v[84:85]
	v_fma_f64 v[222:223], v[224:225], v[226:227], v[222:223]
	v_mul_f64_e32 v[224:225], v[236:237], v[212:213]
	s_delay_alu instid0(VALU_DEP_1) | instskip(SKIP_1) | instid1(VALU_DEP_1)
	v_fma_f64 v[224:225], v[234:235], v[210:211], -v[224:225]
	v_mul_f64_e32 v[234:235], v[234:235], v[228:229]
	v_fma_f64 v[234:235], v[236:237], v[226:227], v[234:235]
	v_mul_f64_e32 v[236:237], v[240:241], v[212:213]
	s_delay_alu instid0(VALU_DEP_1) | instskip(SKIP_1) | instid1(VALU_DEP_1)
	v_fma_f64 v[236:237], v[238:239], v[210:211], -v[236:237]
	v_mul_f64_e32 v[238:239], v[238:239], v[228:229]
	v_fma_f64 v[238:239], v[240:241], v[226:227], v[238:239]
	v_mul_f64_e32 v[240:241], v[244:245], v[212:213]
	v_mul_f64_e32 v[212:213], v[242:243], v[212:213]
	s_delay_alu instid0(VALU_DEP_2) | instskip(NEXT) | instid1(VALU_DEP_2)
	v_fma_f64 v[240:241], v[242:243], v[210:211], -v[240:241]
	v_fma_f64 v[210:211], v[244:245], v[210:211], v[212:213]
	v_mul_f64_e32 v[212:213], v[244:245], v[216:217]
	v_mul_f64_e32 v[216:217], v[242:243], v[216:217]
	s_delay_alu instid0(VALU_DEP_2) | instskip(NEXT) | instid1(VALU_DEP_2)
	v_fma_f64 v[212:213], v[242:243], v[214:215], -v[212:213]
	v_fma_f64 v[214:215], v[244:245], v[214:215], v[216:217]
	v_mul_f64_e32 v[216:217], v[244:245], v[220:221]
	v_mul_f64_e32 v[220:221], v[242:243], v[220:221]
	s_delay_alu instid0(VALU_DEP_2) | instskip(NEXT) | instid1(VALU_DEP_2)
	v_fma_f64 v[216:217], v[242:243], v[218:219], -v[216:217]
	v_fma_f64 v[218:219], v[244:245], v[218:219], v[220:221]
	v_mul_f64_e32 v[220:221], v[244:245], v[228:229]
	v_mul_f64_e32 v[228:229], v[242:243], v[228:229]
	s_delay_alu instid0(VALU_DEP_2) | instskip(NEXT) | instid1(VALU_DEP_2)
	v_fma_f64 v[220:221], v[242:243], v[226:227], -v[220:221]
	v_fma_f64 v[226:227], v[244:245], v[226:227], v[228:229]
	s_wait_loadcnt 0x0
	v_add_f64_e32 v[228:229], v[28:29], v[34:35]
	scratch_load_b64 v[28:29], off, off offset:48 th:TH_LOAD_LU ; 8-byte Folded Reload
	s_wait_loadcnt 0x0
	v_add_f64_e32 v[242:243], v[28:29], v[32:33]
	scratch_load_b64 v[28:29], off, off offset:56 th:TH_LOAD_LU ; 8-byte Folded Reload
	v_add_f64_e32 v[142:143], v[142:143], v[242:243]
	s_delay_alu instid0(VALU_DEP_1)
	v_add_f64_e32 v[136:137], v[136:137], v[142:143]
	s_wait_loadcnt 0x0
	v_add_f64_e32 v[244:245], v[38:39], v[28:29]
	scratch_load_b64 v[28:29], off, off offset:64 th:TH_LOAD_LU ; 8-byte Folded Reload
	v_dual_mov_b32 v38, v204 :: v_dual_mov_b32 v39, v205
	v_add_f64_e32 v[144:145], v[244:245], v[144:145]
	s_delay_alu instid0(VALU_DEP_1)
	v_add_f64_e32 v[134:135], v[144:145], v[134:135]
	s_wait_loadcnt 0x0
	v_add_f64_e32 v[204:205], v[28:29], v[208:209]
	scratch_load_b64 v[28:29], off, off offset:72 th:TH_LOAD_LU ; 8-byte Folded Reload
	v_add_f64_e32 v[146:147], v[146:147], v[204:205]
	v_dual_mov_b32 v205, v39 :: v_dual_mov_b32 v204, v38
	s_delay_alu instid0(VALU_DEP_2) | instskip(SKIP_4) | instid1(VALU_DEP_1)
	v_add_f64_e32 v[132:133], v[132:133], v[146:147]
	s_wait_loadcnt 0x0
	v_add_f64_e32 v[246:247], v[246:247], v[28:29]
	scratch_load_b64 v[28:29], off, off offset:80 th:TH_LOAD_LU ; 8-byte Folded Reload
	v_add_f64_e32 v[148:149], v[246:247], v[148:149]
	v_add_f64_e32 v[130:131], v[148:149], v[130:131]
	s_delay_alu instid0(VALU_DEP_1) | instskip(SKIP_4) | instid1(VALU_DEP_1)
	v_add_f64_e32 v[246:247], v[130:131], v[54:55]
	s_wait_loadcnt 0x0
	v_add_f64_e32 v[248:249], v[28:29], v[248:249]
	scratch_load_b64 v[28:29], off, off offset:88 th:TH_LOAD_LU ; 8-byte Folded Reload
	v_add_f64_e32 v[150:151], v[150:151], v[248:249]
	v_add_f64_e32 v[128:129], v[128:129], v[150:151]
	s_delay_alu instid0(VALU_DEP_1) | instskip(SKIP_4) | instid1(VALU_DEP_1)
	;; [unrolled: 7-line block ×3, first 2 shown]
	v_add_f64_e32 v[250:251], v[126:127], v[58:59]
	s_wait_loadcnt 0x0
	v_add_f64_e32 v[252:253], v[28:29], v[252:253]
	scratch_load_b64 v[28:29], off, off offset:104 th:TH_LOAD_LU ; 8-byte Folded Reload
	v_add_f64_e32 v[154:155], v[154:155], v[252:253]
	v_add_f64_e32 v[124:125], v[124:125], v[154:155]
	s_delay_alu instid0(VALU_DEP_1)
	v_add_f64_e32 v[252:253], v[222:223], v[124:125]
	s_wait_loadcnt 0x0
	v_add_f64_e32 v[0:1], v[0:1], v[28:29]
	scratch_load_b64 v[28:29], off, off offset:112 th:TH_LOAD_LU ; 8-byte Folded Reload
	s_wait_loadcnt 0x0
	v_add_f64_e32 v[2:3], v[28:29], v[2:3]
	scratch_load_b64 v[28:29], off, off offset:120 th:TH_LOAD_LU ; 8-byte Folded Reload
	;; [unrolled: 3-line block ×3, first 2 shown]
	v_add_f64_e32 v[4:5], v[4:5], v[160:161]
	s_delay_alu instid0(VALU_DEP_1) | instskip(NEXT) | instid1(VALU_DEP_1)
	v_add_f64_e32 v[4:5], v[4:5], v[122:123]
	v_add_f64_e32 v[4:5], v[4:5], v[62:63]
	s_wait_loadcnt 0x0
	v_add_f64_e32 v[6:7], v[28:29], v[6:7]
	scratch_load_b64 v[28:29], off, off offset:136 th:TH_LOAD_LU ; 8-byte Folded Reload
	v_add_f64_e32 v[6:7], v[158:159], v[6:7]
	s_delay_alu instid0(VALU_DEP_1) | instskip(NEXT) | instid1(VALU_DEP_1)
	v_add_f64_e32 v[6:7], v[120:121], v[6:7]
	v_add_f64_e32 v[6:7], v[64:65], v[6:7]
	s_wait_loadcnt 0x0
	v_add_f64_e32 v[8:9], v[8:9], v[28:29]
	scratch_load_b64 v[28:29], off, off offset:144 th:TH_LOAD_LU ; 8-byte Folded Reload
	;; [unrolled: 7-line block ×5, first 2 shown]
	v_add_f64_e32 v[14:15], v[170:171], v[14:15]
	v_add_f64_e32 v[170:171], v[134:135], v[50:51]
	s_delay_alu instid0(VALU_DEP_2) | instskip(NEXT) | instid1(VALU_DEP_1)
	v_add_f64_e32 v[14:15], v[112:113], v[14:15]
	v_add_f64_e32 v[14:15], v[234:235], v[14:15]
	s_wait_loadcnt 0x0
	v_add_f64_e32 v[16:17], v[16:17], v[28:29]
	scratch_load_b64 v[28:29], off, off offset:176 th:TH_LOAD_LU ; 8-byte Folded Reload
	v_add_f64_e32 v[16:17], v[16:17], v[172:173]
	s_delay_alu instid0(VALU_DEP_1) | instskip(NEXT) | instid1(VALU_DEP_1)
	v_add_f64_e32 v[16:17], v[16:17], v[108:109]
	v_add_f64_e32 v[16:17], v[16:17], v[236:237]
	s_wait_loadcnt 0x0
	v_add_f64_e32 v[18:19], v[28:29], v[18:19]
	scratch_load_b64 v[28:29], off, off offset:184 th:TH_LOAD_LU ; 8-byte Folded Reload
	v_add_f64_e32 v[18:19], v[174:175], v[18:19]
	s_delay_alu instid0(VALU_DEP_1) | instskip(NEXT) | instid1(VALU_DEP_1)
	;; [unrolled: 7-line block ×4, first 2 shown]
	v_add_f64_e32 v[22:23], v[102:103], v[22:23]
	v_add_f64_e32 v[22:23], v[80:81], v[22:23]
	s_wait_loadcnt 0x0
	v_add_f64_e32 v[24:25], v[24:25], v[28:29]
	scratch_load_b64 v[28:29], off, off offset:208 th:TH_LOAD_LU ; 8-byte Folded Reload
	v_add_f64_e32 v[24:25], v[24:25], v[180:181]
	v_add_f64_e32 v[180:181], v[48:49], v[136:137]
	s_delay_alu instid0(VALU_DEP_2) | instskip(NEXT) | instid1(VALU_DEP_1)
	v_add_f64_e32 v[24:25], v[24:25], v[100:101]
	v_add_f64_e32 v[24:25], v[24:25], v[82:83]
	s_wait_loadcnt 0x0
	v_add_f64_e32 v[26:27], v[28:29], v[26:27]
	s_clause 0x1
	scratch_load_b64 v[28:29], off, off th:TH_LOAD_LU
	scratch_load_b64 v[32:33], off, off offset:216 th:TH_LOAD_LU
	v_add_f64_e32 v[26:27], v[182:183], v[26:27]
	s_delay_alu instid0(VALU_DEP_1) | instskip(NEXT) | instid1(VALU_DEP_1)
	v_add_f64_e32 v[26:27], v[98:99], v[26:27]
	v_add_f64_e32 v[26:27], v[84:85], v[26:27]
	s_wait_loadcnt 0x0
	v_add_f64_e32 v[28:29], v[28:29], v[32:33]
	scratch_load_b64 v[32:33], off, off offset:224 th:TH_LOAD_LU ; 8-byte Folded Reload
	v_add_f64_e32 v[28:29], v[28:29], v[184:185]
	s_delay_alu instid0(VALU_DEP_1) | instskip(NEXT) | instid1(VALU_DEP_1)
	v_add_f64_e32 v[28:29], v[28:29], v[96:97]
	v_add_f64_e32 v[28:29], v[28:29], v[86:87]
	s_wait_loadcnt 0x0
	v_add_f64_e32 v[30:31], v[32:33], v[30:31]
	s_clause 0x1
	scratch_load_b64 v[32:33], off, off offset:8 th:TH_LOAD_LU
	scratch_load_b64 v[34:35], off, off offset:232 th:TH_LOAD_LU
	v_add_f64_e32 v[30:31], v[186:187], v[30:31]
	s_delay_alu instid0(VALU_DEP_1) | instskip(NEXT) | instid1(VALU_DEP_1)
	v_add_f64_e32 v[30:31], v[94:95], v[30:31]
	v_add_f64_e32 v[30:31], v[238:239], v[30:31]
	s_wait_loadcnt 0x0
	v_add_f64_e32 v[32:33], v[32:33], v[34:35]
	scratch_load_b64 v[34:35], off, off offset:240 th:TH_LOAD_LU ; 8-byte Folded Reload
	v_add_f64_e32 v[32:33], v[32:33], v[188:189]
	s_delay_alu instid0(VALU_DEP_1) | instskip(SKIP_4) | instid1(VALU_DEP_1)
	v_add_f64_e32 v[32:33], v[32:33], v[92:93]
	s_wait_loadcnt 0x0
	v_add_f64_e32 v[34:35], v[34:35], v[206:207]
	scratch_load_b64 v[206:207], off, off offset:248 th:TH_LOAD_LU ; 8-byte Folded Reload
	v_add_f64_e32 v[34:35], v[190:191], v[34:35]
	v_add_f64_e32 v[34:35], v[90:91], v[34:35]
	s_wait_loadcnt 0x0
	v_add_f64_e32 v[36:37], v[36:37], v[206:207]
	scratch_load_b64 v[206:207], off, off offset:256 th:TH_LOAD_LU ; 8-byte Folded Reload
	v_add_f64_e32 v[36:37], v[36:37], v[192:193]
	s_delay_alu instid0(VALU_DEP_1) | instskip(NEXT) | instid1(VALU_DEP_1)
	v_add_f64_e32 v[36:37], v[36:37], v[88:89]
	v_add_f64_e32 v[176:177], v[36:37], v[212:213]
	s_wait_loadcnt 0x0
	v_add_f64_e32 v[72:73], v[206:207], v[72:73]
	scratch_load_b64 v[206:207], off, off offset:264 th:TH_LOAD_LU ; 8-byte Folded Reload
	v_add_f64_e32 v[72:73], v[194:195], v[72:73]
	s_wait_loadcnt 0x0
	v_add_f64_e32 v[254:255], v[254:255], v[206:207]
	s_clause 0x1
	scratch_load_b64 v[206:207], off, off offset:32 th:TH_LOAD_LU
	scratch_load_b64 v[208:209], off, off offset:272 th:TH_LOAD_LU
	v_add_f64_e32 v[156:157], v[254:255], v[196:197]
	s_wait_loadcnt 0x0
	v_add_f64_e32 v[208:209], v[208:209], v[206:207]
	s_clause 0x2
	scratch_load_b64 v[206:207], off, off offset:24 th:TH_LOAD_LU
	scratch_load_b64 v[140:141], off, off offset:280 th:TH_LOAD_LU
	;; [unrolled: 1-line block ×3, first 2 shown]
	v_add_f64_e32 v[158:159], v[198:199], v[208:209]
	v_add_f64_e32 v[208:209], v[52:53], v[132:133]
	s_wait_loadcnt 0x1
	v_add_f64_e32 v[206:207], v[206:207], v[140:141]
	scratch_load_b64 v[140:141], off, off offset:288 th:TH_LOAD_LU ; 8-byte Folded Reload
	s_wait_loadcnt 0x1
	v_add_f64_e32 v[0:1], v[0:1], v[38:39]
	scratch_load_b64 v[38:39], off, off offset:312 th:TH_LOAD_LU ; 8-byte Folded Reload
	v_add_f64_e32 v[160:161], v[206:207], v[200:201]
	v_add_f64_e32 v[206:207], v[210:211], v[34:35]
	v_dual_mov_b32 v34, v110 :: v_dual_mov_b32 v35, v111
	v_add_f64_e32 v[0:1], v[0:1], v[164:165]
	s_delay_alu instid0(VALU_DEP_2) | instskip(SKIP_1) | instid1(VALU_DEP_3)
	v_add_co_u32 v34, vcc_lo, v34, s12
	s_wait_alu 0xfffd
	v_add_co_ci_u32_e64 v35, null, s13, v35, vcc_lo
	s_delay_alu instid0(VALU_DEP_3)
	v_add_f64_e32 v[0:1], v[0:1], v[224:225]
	s_wait_loadcnt 0x1
	v_add_f64_e32 v[74:75], v[140:141], v[74:75]
	s_clause 0x2
	scratch_load_b64 v[140:141], off, off offset:296 th:TH_LOAD_LU
	scratch_load_b32 v135, off, off offset:324
	scratch_load_b32 v134, off, off offset:320
	scratch_store_b64 off, v[28:29], off    ; 8-byte Folded Spill
	v_add_f64_e32 v[28:29], v[32:33], v[240:241]
	scratch_load_b64 v[32:33], off, off offset:16 th:TH_LOAD_LU ; 8-byte Folded Reload
	s_wait_loadcnt 0x4
	v_add_f64_e32 v[2:3], v[38:39], v[2:3]
	v_add_f64_e32 v[38:39], v[40:41], v[72:73]
	;; [unrolled: 1-line block ×6, first 2 shown]
	scratch_store_b64 off, v[28:29], off offset:8 ; 8-byte Folded Spill
	s_wait_loadcnt 0x0
	s_wait_storecnt 0x0
	s_barrier_signal -1
	s_barrier_wait -1
	global_inv scope:SCOPE_SE
	v_add_f64_e32 v[2:3], v[162:163], v[2:3]
	v_add_f64_e32 v[72:73], v[214:215], v[38:39]
	;; [unrolled: 1-line block ×4, first 2 shown]
	s_delay_alu instid0(VALU_DEP_4) | instskip(NEXT) | instid1(VALU_DEP_2)
	v_add_f64_e32 v[2:3], v[60:61], v[2:3]
	v_add_f64_e32 v[74:75], v[226:227], v[46:47]
	;; [unrolled: 1-line block ×3, first 2 shown]
	v_add_co_u32 v32, s1, v32, 64
	s_wait_alu 0xf1ff
	v_add_co_ci_u32_e64 v33, null, 0, v33, s1
	s_wait_alu 0xfffe
	v_cmp_lt_i64_e64 s1, s[24:25], s[36:37]
	s_and_b32 vcc_lo, exec_lo, s1
	v_add_f64_e32 v[138:139], v[140:141], v[138:139]
	v_add_f64_e32 v[140:141], v[44:45], v[220:221]
	s_delay_alu instid0(VALU_DEP_2)
	v_add_f64_e32 v[178:179], v[138:139], v[232:233]
	v_add_f64_e32 v[138:139], v[218:219], v[42:43]
	s_wait_alu 0xfffe
	s_cbranch_vccnz .LBB121_5
	s_branch .LBB121_7
.LBB121_6:                              ;   in Loop: Header=BB121_3 Depth=1
	v_mov_b32_e32 v28, 0
	v_dual_mov_b32 v29, 0 :: v_dual_mov_b32 v30, 0
	v_mov_b32_e32 v178, 0
	v_mov_b32_e32 v170, 0
	;; [unrolled: 1-line block ×3, first 2 shown]
	scratch_store_b64 off, v[28:29], off    ; 8-byte Folded Spill
	v_mov_b32_e32 v28, 0
	v_dual_mov_b32 v29, 0 :: v_dual_mov_b32 v206, 0
	v_mov_b32_e32 v250, 0
	v_mov_b32_e32 v0, 0
	;; [unrolled: 1-line block ×10, first 2 shown]
	v_dual_mov_b32 v140, 0 :: v_dual_mov_b32 v179, 0
	v_dual_mov_b32 v180, 0 :: v_dual_mov_b32 v171, 0
	;; [unrolled: 1-line block ×15, first 2 shown]
	v_mov_b32_e32 v209, 0
	v_mov_b32_e32 v249, 0
	;; [unrolled: 1-line block ×11, first 2 shown]
	scratch_store_b64 off, v[28:29], off offset:8 ; 8-byte Folded Spill
	v_mov_b32_e32 v207, 0
	v_mov_b32_e32 v73, 0
	v_mov_b32_e32 v139, 0
	v_mov_b32_e32 v75, 0
.LBB121_7:                              ;   in Loop: Header=BB121_3 Depth=1
	s_mul_u64 s[24:25], s[20:21], s[2:3]
	v_dual_mov_b32 v151, v23 :: v_dual_mov_b32 v150, v22
	v_dual_mov_b32 v149, v27 :: v_dual_mov_b32 v148, v26
	;; [unrolled: 1-line block ×14, first 2 shown]
	s_wait_alu 0xfffe
	s_lshl_b64 s[24:25], s[24:25], 4
	s_and_not1_b32 vcc_lo, exec_lo, s27
	s_wait_alu 0xfffe
	s_add_nc_u64 s[24:25], s[16:17], s[24:25]
	s_mov_b32 s1, -1
                                        ; implicit-def: $vgpr72_vgpr73
                                        ; implicit-def: $vgpr74_vgpr75
	s_cbranch_vccz .LBB121_9
; %bb.8:                                ;   in Loop: Header=BB121_3 Depth=1
	s_wait_alu 0xfffe
	s_and_not1_b32 vcc_lo, exec_lo, s1
	s_wait_alu 0xfffe
	s_cbranch_vccnz .LBB121_2
	s_branch .LBB121_10
.LBB121_9:                              ;   in Loop: Header=BB121_3 Depth=1
	v_mul_f64_e32 v[10:11], s[38:39], v[248:249]
	v_dual_mov_b32 v18, v168 :: v_dual_mov_b32 v19, v169
	v_mul_f64_e32 v[12:13], s[40:41], v[252:253]
	v_dual_mov_b32 v69, v17 :: v_dual_mov_b32 v68, v16
	s_clause 0x1
	scratch_load_b64 v[32:33], off, off offset:328
	scratch_load_b64 v[34:35], off, off offset:336
	v_mul_f64_e32 v[16:17], s[40:41], v[18:19]
	v_mul_f64_e32 v[18:19], s[38:39], v[18:19]
	;; [unrolled: 1-line block ×7, first 2 shown]
	v_dual_mov_b32 v22, v164 :: v_dual_mov_b32 v23, v165
	v_dual_mov_b32 v67, v21 :: v_dual_mov_b32 v66, v20
	v_dual_mov_b32 v26, v160 :: v_dual_mov_b32 v27, v161
	s_delay_alu instid0(VALU_DEP_3) | instskip(SKIP_2) | instid1(VALU_DEP_4)
	v_mul_f64_e32 v[20:21], s[40:41], v[22:23]
	v_mul_f64_e32 v[22:23], s[38:39], v[22:23]
	v_dual_mov_b32 v65, v25 :: v_dual_mov_b32 v64, v24
	v_mul_f64_e32 v[24:25], s[40:41], v[26:27]
	v_dual_mov_b32 v38, v152 :: v_dual_mov_b32 v39, v153
	v_dual_mov_b32 v46, v148 :: v_dual_mov_b32 v47, v149
	v_mul_f64_e32 v[14:15], s[38:39], v[252:253]
	v_mul_f64_e32 v[26:27], s[38:39], v[26:27]
	v_dual_mov_b32 v30, v156 :: v_dual_mov_b32 v31, v157
	v_dual_mov_b32 v42, v150 :: v_dual_mov_b32 v43, v151
	v_dual_mov_b32 v50, v146 :: v_dual_mov_b32 v51, v147
	v_fma_f64 v[84:85], s[40:41], v[246:247], v[10:11]
	v_dual_mov_b32 v10, v166 :: v_dual_mov_b32 v11, v167
	v_fma_f64 v[86:87], s[38:39], v[250:251], -v[12:13]
	scratch_load_b64 v[12:13], off, off     ; 8-byte Folded Reload
	v_dual_mov_b32 v58, v142 :: v_dual_mov_b32 v59, v143
	v_mul_f64_e32 v[36:37], s[40:41], v[38:39]
	v_mul_f64_e32 v[38:39], s[38:39], v[38:39]
	v_fma_f64 v[92:93], s[40:41], v[10:11], v[18:19]
	scratch_load_b64 v[18:19], off, off offset:8 ; 8-byte Folded Reload
	v_fma_f64 v[82:83], s[38:39], v[246:247], -v[8:9]
	v_dual_mov_b32 v8, v136 :: v_dual_mov_b32 v9, v137
	v_mul_f64_e32 v[44:45], s[40:41], v[46:47]
	v_mul_f64_e32 v[46:47], s[38:39], v[46:47]
	v_mul_f64_e32 v[52:53], s[40:41], v[206:207]
	v_mul_f64_e32 v[54:55], s[38:39], v[206:207]
	v_fma_f64 v[76:77], s[40:41], v[178:179], v[2:3]
	v_fma_f64 v[78:79], s[38:39], v[170:171], -v[4:5]
	v_fma_f64 v[80:81], s[40:41], v[170:171], v[6:7]
	v_mul_f64_e32 v[2:3], s[40:41], v[138:139]
	v_mul_f64_e32 v[4:5], s[38:39], v[138:139]
	;; [unrolled: 1-line block ×11, first 2 shown]
	v_fma_f64 v[74:75], s[38:39], v[178:179], -v[0:1]
	v_mul_f64_e32 v[0:1], s[38:39], v[58:59]
	v_fma_f64 v[90:91], s[38:39], v[10:11], -v[16:17]
	v_dual_mov_b32 v10, v162 :: v_dual_mov_b32 v11, v163
	v_dual_mov_b32 v16, v68 :: v_dual_mov_b32 v17, v69
	v_fma_f64 v[88:89], s[40:41], v[250:251], v[14:15]
	s_delay_alu instid0(VALU_DEP_3)
	v_fma_f64 v[94:95], s[38:39], v[10:11], -v[20:21]
	v_fma_f64 v[96:97], s[40:41], v[10:11], v[22:23]
	v_dual_mov_b32 v10, v158 :: v_dual_mov_b32 v11, v159
	v_dual_mov_b32 v20, v66 :: v_dual_mov_b32 v21, v67
	v_fma_f64 v[106:107], s[38:39], v[16:17], -v[36:37]
	v_fma_f64 v[108:109], s[40:41], v[16:17], v[38:39]
	s_delay_alu instid0(VALU_DEP_4) | instskip(SKIP_3) | instid1(VALU_DEP_3)
	v_fma_f64 v[98:99], s[38:39], v[10:11], -v[24:25]
	v_dual_mov_b32 v24, v64 :: v_dual_mov_b32 v25, v65
	v_fma_f64 v[100:101], s[40:41], v[10:11], v[26:27]
	v_dual_mov_b32 v10, v154 :: v_dual_mov_b32 v11, v155
	v_fma_f64 v[114:115], s[38:39], v[24:25], -v[44:45]
	v_fma_f64 v[116:117], s[40:41], v[24:25], v[46:47]
	v_fma_f64 v[130:131], s[38:39], v[254:255], -v[2:3]
	v_fma_f64 v[132:133], s[40:41], v[254:255], v[4:5]
	v_fma_f64 v[72:73], s[40:41], v[140:141], v[8:9]
	v_fma_f64 v[102:103], s[38:39], v[10:11], -v[28:29]
	v_fma_f64 v[104:105], s[40:41], v[10:11], v[30:31]
	v_fma_f64 v[110:111], s[38:39], v[20:21], -v[40:41]
	;; [unrolled: 2-line block ×4, first 2 shown]
	s_wait_loadcnt 0x3
	v_lshlrev_b64_e32 v[32:33], 4, v[32:33]
	s_wait_loadcnt 0x2
	v_lshlrev_b64_e32 v[34:35], 4, v[34:35]
	s_wait_alu 0xfffe
	s_delay_alu instid0(VALU_DEP_2) | instskip(SKIP_2) | instid1(VALU_DEP_2)
	v_add_co_u32 v32, vcc_lo, s24, v32
	s_wait_alu 0xfffd
	v_add_co_ci_u32_e64 v33, null, s25, v33, vcc_lo
	v_add_co_u32 v10, vcc_lo, v32, v34
	s_wait_alu 0xfffd
	s_delay_alu instid0(VALU_DEP_2)
	v_add_co_ci_u32_e64 v11, null, v33, v35, vcc_lo
	v_add_co_u32 v14, vcc_lo, v32, s22
	s_wait_alu 0xfffd
	v_add_co_ci_u32_e64 v15, null, s23, v33, vcc_lo
	s_wait_loadcnt 0x1
	v_fma_f64 v[118:119], s[38:39], v[12:13], -v[48:49]
	v_fma_f64 v[120:121], s[40:41], v[12:13], v[50:51]
	v_add_co_u32 v12, vcc_lo, v14, v34
	s_wait_alu 0xfffd
	v_add_co_ci_u32_e64 v13, null, v15, v35, vcc_lo
	s_wait_loadcnt 0x0
	v_fma_f64 v[122:123], s[38:39], v[18:19], -v[52:53]
	v_fma_f64 v[124:125], s[40:41], v[18:19], v[54:55]
	v_add_co_u32 v4, vcc_lo, v14, s22
	s_wait_alu 0xfffd
	v_add_co_ci_u32_e64 v5, null, s23, v15, vcc_lo
	s_clause 0x5
	global_store_b128 v[10:11], v[74:77], off
	global_store_b128 v[10:11], v[78:81], off offset:256
	global_store_b128 v[10:11], v[82:85], off offset:512
	;; [unrolled: 1-line block ×3, first 2 shown]
	global_store_b128 v[12:13], v[90:93], off
	global_store_b128 v[12:13], v[94:97], off offset:256
	v_add_co_u32 v2, vcc_lo, v4, v34
	s_wait_alu 0xfffd
	v_add_co_ci_u32_e64 v3, null, v5, v35, vcc_lo
	v_add_co_u32 v4, vcc_lo, v4, s22
	s_wait_alu 0xfffd
	v_add_co_ci_u32_e64 v5, null, s23, v5, vcc_lo
	s_clause 0x1
	global_store_b128 v[12:13], v[98:101], off offset:512
	global_store_b128 v[12:13], v[102:105], off offset:768
	v_add_co_u32 v4, vcc_lo, v4, v34
	s_wait_alu 0xfffd
	v_add_co_ci_u32_e64 v5, null, v5, v35, vcc_lo
	s_clause 0x1
	global_store_b128 v[2:3], v[106:109], off
	global_store_b128 v[2:3], v[110:113], off offset:256
	v_add_co_u32 v74, vcc_lo, 0x300, v4
	s_wait_alu 0xfffd
	v_add_co_ci_u32_e64 v75, null, 0, v5, vcc_lo
	s_clause 0x5
	global_store_b128 v[2:3], v[114:117], off offset:512
	global_store_b128 v[2:3], v[118:121], off offset:768
	global_store_b128 v[4:5], v[122:125], off
	global_store_b128 v[4:5], v[126:129], off offset:256
	global_store_b128 v[4:5], v[130:133], off offset:512
	global_store_b64 v[4:5], v[0:1], off offset:768
	s_cbranch_execnz .LBB121_2
.LBB121_10:                             ;   in Loop: Header=BB121_3 Depth=1
	s_clause 0x1
	scratch_load_b64 v[0:1], off, off offset:336
	scratch_load_b32 v2, off, off offset:360
	s_mul_u64 s[28:29], s[14:15], s[2:3]
	v_mul_f64_e32 v[4:5], s[40:41], v[180:181]
	s_wait_alu 0xfffe
	s_lshl_b64 s[28:29], s[28:29], 4
	v_mul_f64_e32 v[6:7], s[38:39], v[180:181]
	v_dual_mov_b32 v19, v17 :: v_dual_mov_b32 v18, v16
	s_delay_alu instid0(VALU_DEP_3) | instskip(NEXT) | instid1(VALU_DEP_3)
	v_fma_f64 v[4:5], s[38:39], v[178:179], -v[4:5]
	v_fma_f64 v[6:7], s[40:41], v[178:179], v[6:7]
	s_wait_loadcnt 0x1
	v_lshlrev_b64_e32 v[0:1], 4, v[0:1]
	s_wait_loadcnt 0x0
	s_wait_alu 0xfffe
	v_add_co_u32 v14, vcc_lo, v2, s28
	scratch_load_b32 v2, off, off offset:364 ; 4-byte Folded Reload
	s_wait_loadcnt 0x0
	s_wait_alu 0xfffd
	v_add_co_ci_u32_e64 v15, null, s29, v2, vcc_lo
	v_add_co_u32 v2, vcc_lo, v14, v0
	s_wait_alu 0xfffd
	s_delay_alu instid0(VALU_DEP_2) | instskip(SKIP_4) | instid1(VALU_DEP_2)
	v_add_co_ci_u32_e64 v3, null, v15, v1, vcc_lo
	global_load_b128 v[72:75], v[2:3], off
	s_wait_loadcnt 0x0
	v_mul_f64_e32 v[8:9], s[8:9], v[74:75]
	v_mul_f64_e32 v[10:11], s[6:7], v[74:75]
	v_fma_f64 v[8:9], s[6:7], v[72:73], -v[8:9]
	s_delay_alu instid0(VALU_DEP_2) | instskip(NEXT) | instid1(VALU_DEP_2)
	v_fma_f64 v[10:11], s[8:9], v[72:73], v[10:11]
	v_add_f64_e32 v[68:69], v[4:5], v[8:9]
	scratch_load_b64 v[4:5], off, off offset:328 ; 8-byte Folded Reload
	v_add_f64_e32 v[70:71], v[6:7], v[10:11]
	v_mul_f64_e32 v[6:7], s[40:41], v[208:209]
	v_mul_f64_e32 v[8:9], s[38:39], v[208:209]
	s_delay_alu instid0(VALU_DEP_2) | instskip(NEXT) | instid1(VALU_DEP_2)
	v_fma_f64 v[6:7], s[38:39], v[170:171], -v[6:7]
	v_fma_f64 v[8:9], s[40:41], v[170:171], v[8:9]
	s_wait_loadcnt 0x0
	v_lshlrev_b64_e32 v[4:5], 4, v[4:5]
	s_delay_alu instid0(VALU_DEP_1) | instskip(SKIP_1) | instid1(VALU_DEP_2)
	v_add_co_u32 v16, vcc_lo, s24, v4
	s_wait_alu 0xfffd
	v_add_co_ci_u32_e64 v17, null, s25, v5, vcc_lo
	s_delay_alu instid0(VALU_DEP_2) | instskip(SKIP_1) | instid1(VALU_DEP_2)
	v_add_co_u32 v4, vcc_lo, v16, v0
	s_wait_alu 0xfffd
	v_add_co_ci_u32_e64 v5, null, v17, v1, vcc_lo
	v_add_co_u32 v14, vcc_lo, v14, s18
	s_wait_alu 0xfffd
	v_add_co_ci_u32_e64 v15, null, s19, v15, vcc_lo
	global_store_b128 v[4:5], v[68:71], off
	global_load_b128 v[68:71], v[2:3], off offset:256
	s_wait_loadcnt 0x0
	v_mul_f64_e32 v[10:11], s[8:9], v[70:71]
	v_mul_f64_e32 v[12:13], s[6:7], v[70:71]
	s_delay_alu instid0(VALU_DEP_2) | instskip(NEXT) | instid1(VALU_DEP_2)
	v_fma_f64 v[10:11], s[6:7], v[68:69], -v[10:11]
	v_fma_f64 v[12:13], s[8:9], v[68:69], v[12:13]
	s_delay_alu instid0(VALU_DEP_2) | instskip(NEXT) | instid1(VALU_DEP_2)
	v_add_f64_e32 v[64:65], v[6:7], v[10:11]
	v_add_f64_e32 v[66:67], v[8:9], v[12:13]
	v_mul_f64_e32 v[6:7], s[40:41], v[248:249]
	v_mul_f64_e32 v[8:9], s[38:39], v[248:249]
	global_store_b128 v[4:5], v[64:67], off offset:256
	global_load_b128 v[64:67], v[2:3], off offset:512
	v_fma_f64 v[6:7], s[38:39], v[246:247], -v[6:7]
	v_fma_f64 v[8:9], s[40:41], v[246:247], v[8:9]
	s_wait_loadcnt 0x0
	v_mul_f64_e32 v[10:11], s[8:9], v[66:67]
	v_mul_f64_e32 v[12:13], s[6:7], v[66:67]
	s_delay_alu instid0(VALU_DEP_2) | instskip(NEXT) | instid1(VALU_DEP_2)
	v_fma_f64 v[10:11], s[6:7], v[64:65], -v[10:11]
	v_fma_f64 v[12:13], s[8:9], v[64:65], v[12:13]
	s_delay_alu instid0(VALU_DEP_2) | instskip(NEXT) | instid1(VALU_DEP_2)
	v_add_f64_e32 v[60:61], v[6:7], v[10:11]
	v_add_f64_e32 v[62:63], v[8:9], v[12:13]
	v_mul_f64_e32 v[6:7], s[38:39], v[252:253]
	global_store_b128 v[4:5], v[60:63], off offset:512
	global_load_b128 v[60:63], v[2:3], off offset:768
	v_mul_f64_e32 v[2:3], s[40:41], v[252:253]
	v_fma_f64 v[6:7], s[40:41], v[250:251], v[6:7]
	s_delay_alu instid0(VALU_DEP_2) | instskip(SKIP_3) | instid1(VALU_DEP_2)
	v_fma_f64 v[2:3], s[38:39], v[250:251], -v[2:3]
	s_wait_loadcnt 0x0
	v_mul_f64_e32 v[8:9], s[8:9], v[62:63]
	v_mul_f64_e32 v[10:11], s[6:7], v[62:63]
	v_fma_f64 v[8:9], s[6:7], v[60:61], -v[8:9]
	s_delay_alu instid0(VALU_DEP_2) | instskip(NEXT) | instid1(VALU_DEP_2)
	v_fma_f64 v[10:11], s[8:9], v[60:61], v[10:11]
	v_add_f64_e32 v[56:57], v[2:3], v[8:9]
	s_delay_alu instid0(VALU_DEP_2)
	v_add_f64_e32 v[58:59], v[6:7], v[10:11]
	v_add_co_u32 v2, vcc_lo, v14, v0
	s_wait_alu 0xfffd
	v_add_co_ci_u32_e64 v3, null, v15, v1, vcc_lo
	v_mul_f64_e32 v[6:7], s[38:39], v[168:169]
	v_add_co_u32 v16, vcc_lo, v16, s22
	s_wait_alu 0xfffd
	v_add_co_ci_u32_e64 v17, null, s23, v17, vcc_lo
	global_store_b128 v[4:5], v[56:59], off offset:768
	global_load_b128 v[56:59], v[2:3], off
	v_mul_f64_e32 v[4:5], s[40:41], v[168:169]
	v_fma_f64 v[6:7], s[40:41], v[166:167], v[6:7]
	s_delay_alu instid0(VALU_DEP_2) | instskip(SKIP_3) | instid1(VALU_DEP_2)
	v_fma_f64 v[4:5], s[38:39], v[166:167], -v[4:5]
	s_wait_loadcnt 0x0
	v_mul_f64_e32 v[8:9], s[8:9], v[58:59]
	v_mul_f64_e32 v[10:11], s[6:7], v[58:59]
	v_fma_f64 v[8:9], s[6:7], v[56:57], -v[8:9]
	s_delay_alu instid0(VALU_DEP_2) | instskip(NEXT) | instid1(VALU_DEP_2)
	v_fma_f64 v[10:11], s[8:9], v[56:57], v[10:11]
	v_add_f64_e32 v[52:53], v[4:5], v[8:9]
	s_delay_alu instid0(VALU_DEP_2)
	v_add_f64_e32 v[54:55], v[6:7], v[10:11]
	v_add_co_u32 v4, vcc_lo, v16, v0
	s_wait_alu 0xfffd
	v_add_co_ci_u32_e64 v5, null, v17, v1, vcc_lo
	v_mul_f64_e32 v[6:7], s[40:41], v[164:165]
	v_mul_f64_e32 v[8:9], s[38:39], v[164:165]
	v_add_co_u32 v14, vcc_lo, v14, s18
	s_wait_alu 0xfffd
	v_add_co_ci_u32_e64 v15, null, s19, v15, vcc_lo
	global_store_b128 v[4:5], v[52:55], off
	global_load_b128 v[52:55], v[2:3], off offset:256
	v_fma_f64 v[6:7], s[38:39], v[162:163], -v[6:7]
	v_fma_f64 v[8:9], s[40:41], v[162:163], v[8:9]
	s_wait_loadcnt 0x0
	v_mul_f64_e32 v[10:11], s[8:9], v[54:55]
	v_mul_f64_e32 v[12:13], s[6:7], v[54:55]
	s_delay_alu instid0(VALU_DEP_2) | instskip(NEXT) | instid1(VALU_DEP_2)
	v_fma_f64 v[10:11], s[6:7], v[52:53], -v[10:11]
	v_fma_f64 v[12:13], s[8:9], v[52:53], v[12:13]
	s_delay_alu instid0(VALU_DEP_2) | instskip(NEXT) | instid1(VALU_DEP_2)
	v_add_f64_e32 v[48:49], v[6:7], v[10:11]
	v_add_f64_e32 v[50:51], v[8:9], v[12:13]
	v_mul_f64_e32 v[6:7], s[40:41], v[160:161]
	v_mul_f64_e32 v[8:9], s[38:39], v[160:161]
	global_store_b128 v[4:5], v[48:51], off offset:256
	global_load_b128 v[48:51], v[2:3], off offset:512
	v_fma_f64 v[6:7], s[38:39], v[158:159], -v[6:7]
	v_fma_f64 v[8:9], s[40:41], v[158:159], v[8:9]
	s_wait_loadcnt 0x0
	v_mul_f64_e32 v[10:11], s[8:9], v[50:51]
	v_mul_f64_e32 v[12:13], s[6:7], v[50:51]
	s_delay_alu instid0(VALU_DEP_2) | instskip(NEXT) | instid1(VALU_DEP_2)
	v_fma_f64 v[10:11], s[6:7], v[48:49], -v[10:11]
	v_fma_f64 v[12:13], s[8:9], v[48:49], v[12:13]
	s_delay_alu instid0(VALU_DEP_2) | instskip(NEXT) | instid1(VALU_DEP_2)
	v_add_f64_e32 v[44:45], v[6:7], v[10:11]
	v_add_f64_e32 v[46:47], v[8:9], v[12:13]
	v_mul_f64_e32 v[6:7], s[38:39], v[156:157]
	global_store_b128 v[4:5], v[44:47], off offset:512
	global_load_b128 v[44:47], v[2:3], off offset:768
	v_mul_f64_e32 v[2:3], s[40:41], v[156:157]
	v_fma_f64 v[6:7], s[40:41], v[154:155], v[6:7]
	s_delay_alu instid0(VALU_DEP_2) | instskip(SKIP_3) | instid1(VALU_DEP_2)
	v_fma_f64 v[2:3], s[38:39], v[154:155], -v[2:3]
	s_wait_loadcnt 0x0
	v_mul_f64_e32 v[8:9], s[8:9], v[46:47]
	v_mul_f64_e32 v[10:11], s[6:7], v[46:47]
	v_fma_f64 v[8:9], s[6:7], v[44:45], -v[8:9]
	s_delay_alu instid0(VALU_DEP_2) | instskip(NEXT) | instid1(VALU_DEP_2)
	v_fma_f64 v[10:11], s[8:9], v[44:45], v[10:11]
	v_add_f64_e32 v[40:41], v[2:3], v[8:9]
	s_delay_alu instid0(VALU_DEP_2)
	v_add_f64_e32 v[42:43], v[6:7], v[10:11]
	v_add_co_u32 v2, vcc_lo, v14, v0
	s_wait_alu 0xfffd
	v_add_co_ci_u32_e64 v3, null, v15, v1, vcc_lo
	v_mul_f64_e32 v[6:7], s[38:39], v[152:153]
	v_add_co_u32 v16, vcc_lo, v16, s22
	s_wait_alu 0xfffd
	v_add_co_ci_u32_e64 v17, null, s23, v17, vcc_lo
	global_store_b128 v[4:5], v[40:43], off offset:768
	global_load_b128 v[40:43], v[2:3], off
	v_mul_f64_e32 v[4:5], s[40:41], v[152:153]
	v_fma_f64 v[6:7], s[40:41], v[18:19], v[6:7]
	s_delay_alu instid0(VALU_DEP_2) | instskip(SKIP_4) | instid1(VALU_DEP_2)
	v_fma_f64 v[4:5], s[38:39], v[18:19], -v[4:5]
	scratch_load_b64 v[18:19], off, off offset:8 th:TH_LOAD_LU ; 8-byte Folded Reload
	s_wait_loadcnt 0x1
	v_mul_f64_e32 v[8:9], s[8:9], v[42:43]
	v_mul_f64_e32 v[10:11], s[6:7], v[42:43]
	v_fma_f64 v[8:9], s[6:7], v[40:41], -v[8:9]
	s_delay_alu instid0(VALU_DEP_2) | instskip(NEXT) | instid1(VALU_DEP_2)
	v_fma_f64 v[10:11], s[8:9], v[40:41], v[10:11]
	v_add_f64_e32 v[36:37], v[4:5], v[8:9]
	s_delay_alu instid0(VALU_DEP_2)
	v_add_f64_e32 v[38:39], v[6:7], v[10:11]
	v_add_co_u32 v4, vcc_lo, v16, v0
	s_wait_alu 0xfffd
	v_add_co_ci_u32_e64 v5, null, v17, v1, vcc_lo
	v_mul_f64_e32 v[6:7], s[40:41], v[150:151]
	v_mul_f64_e32 v[8:9], s[38:39], v[150:151]
	global_store_b128 v[4:5], v[36:39], off
	global_load_b128 v[36:39], v[2:3], off offset:256
	v_fma_f64 v[6:7], s[38:39], v[20:21], -v[6:7]
	v_fma_f64 v[8:9], s[40:41], v[20:21], v[8:9]
	scratch_load_b64 v[20:21], off, off th:TH_LOAD_LU ; 8-byte Folded Reload
	s_wait_loadcnt 0x1
	v_mul_f64_e32 v[10:11], s[8:9], v[38:39]
	v_mul_f64_e32 v[12:13], s[6:7], v[38:39]
	s_delay_alu instid0(VALU_DEP_2) | instskip(NEXT) | instid1(VALU_DEP_2)
	v_fma_f64 v[10:11], s[6:7], v[36:37], -v[10:11]
	v_fma_f64 v[12:13], s[8:9], v[36:37], v[12:13]
	s_delay_alu instid0(VALU_DEP_2) | instskip(NEXT) | instid1(VALU_DEP_2)
	v_add_f64_e32 v[32:33], v[6:7], v[10:11]
	v_add_f64_e32 v[34:35], v[8:9], v[12:13]
	v_mul_f64_e32 v[6:7], s[40:41], v[148:149]
	v_mul_f64_e32 v[8:9], s[38:39], v[148:149]
	global_store_b128 v[4:5], v[32:35], off offset:256
	global_load_b128 v[32:35], v[2:3], off offset:512
	v_fma_f64 v[6:7], s[38:39], v[24:25], -v[6:7]
	v_fma_f64 v[8:9], s[40:41], v[24:25], v[8:9]
	s_wait_loadcnt 0x0
	v_mul_f64_e32 v[10:11], s[8:9], v[34:35]
	v_mul_f64_e32 v[12:13], s[6:7], v[34:35]
	s_delay_alu instid0(VALU_DEP_2) | instskip(NEXT) | instid1(VALU_DEP_2)
	v_fma_f64 v[10:11], s[6:7], v[32:33], -v[10:11]
	v_fma_f64 v[12:13], s[8:9], v[32:33], v[12:13]
	s_delay_alu instid0(VALU_DEP_2) | instskip(NEXT) | instid1(VALU_DEP_2)
	v_add_f64_e32 v[28:29], v[6:7], v[10:11]
	v_add_f64_e32 v[30:31], v[8:9], v[12:13]
	v_mul_f64_e32 v[6:7], s[38:39], v[146:147]
	global_store_b128 v[4:5], v[28:31], off offset:512
	global_load_b128 v[28:31], v[2:3], off offset:768
	v_mul_f64_e32 v[2:3], s[40:41], v[146:147]
	v_fma_f64 v[6:7], s[40:41], v[20:21], v[6:7]
	s_delay_alu instid0(VALU_DEP_2) | instskip(SKIP_3) | instid1(VALU_DEP_2)
	v_fma_f64 v[2:3], s[38:39], v[20:21], -v[2:3]
	s_wait_loadcnt 0x0
	v_mul_f64_e32 v[8:9], s[8:9], v[30:31]
	v_mul_f64_e32 v[10:11], s[6:7], v[30:31]
	v_fma_f64 v[8:9], s[6:7], v[28:29], -v[8:9]
	s_delay_alu instid0(VALU_DEP_2) | instskip(NEXT) | instid1(VALU_DEP_2)
	v_fma_f64 v[10:11], s[8:9], v[28:29], v[10:11]
	v_add_f64_e32 v[24:25], v[2:3], v[8:9]
	s_delay_alu instid0(VALU_DEP_2) | instskip(SKIP_4) | instid1(VALU_DEP_3)
	v_add_f64_e32 v[26:27], v[6:7], v[10:11]
	v_add_co_u32 v2, vcc_lo, v14, s18
	s_wait_alu 0xfffd
	v_add_co_ci_u32_e64 v3, null, s19, v15, vcc_lo
	v_mul_f64_e32 v[6:7], s[38:39], v[206:207]
	v_add_co_u32 v2, vcc_lo, v2, v0
	s_wait_alu 0xfffd
	s_delay_alu instid0(VALU_DEP_3) | instskip(SKIP_4) | instid1(VALU_DEP_2)
	v_add_co_ci_u32_e64 v3, null, v3, v1, vcc_lo
	global_store_b128 v[4:5], v[24:27], off offset:768
	global_load_b128 v[24:27], v[2:3], off
	v_mul_f64_e32 v[4:5], s[40:41], v[206:207]
	v_fma_f64 v[6:7], s[40:41], v[18:19], v[6:7]
	v_fma_f64 v[4:5], s[38:39], v[18:19], -v[4:5]
	s_wait_loadcnt 0x0
	v_mul_f64_e32 v[8:9], s[8:9], v[26:27]
	v_mul_f64_e32 v[10:11], s[6:7], v[26:27]
	s_delay_alu instid0(VALU_DEP_2) | instskip(NEXT) | instid1(VALU_DEP_2)
	v_fma_f64 v[8:9], s[6:7], v[24:25], -v[8:9]
	v_fma_f64 v[10:11], s[8:9], v[24:25], v[10:11]
	s_delay_alu instid0(VALU_DEP_2) | instskip(NEXT) | instid1(VALU_DEP_2)
	v_add_f64_e32 v[20:21], v[4:5], v[8:9]
	v_add_f64_e32 v[22:23], v[6:7], v[10:11]
	v_add_co_u32 v4, vcc_lo, v16, s22
	s_wait_alu 0xfffd
	v_add_co_ci_u32_e64 v5, null, s23, v17, vcc_lo
	v_mul_f64_e32 v[6:7], s[38:39], v[142:143]
	s_delay_alu instid0(VALU_DEP_3) | instskip(SKIP_1) | instid1(VALU_DEP_3)
	v_add_co_u32 v0, vcc_lo, v4, v0
	s_wait_alu 0xfffd
	v_add_co_ci_u32_e64 v1, null, v5, v1, vcc_lo
	v_mul_f64_e32 v[4:5], s[40:41], v[142:143]
	s_delay_alu instid0(VALU_DEP_3) | instskip(SKIP_1) | instid1(VALU_DEP_3)
	v_add_co_u32 v74, vcc_lo, 0x300, v0
	s_wait_alu 0xfffd
	v_add_co_ci_u32_e64 v75, null, 0, v1, vcc_lo
	global_store_b128 v[0:1], v[20:23], off
	global_load_b128 v[20:23], v[2:3], off offset:256
	v_fma_f64 v[6:7], s[40:41], v[176:177], v[6:7]
	v_fma_f64 v[4:5], s[38:39], v[176:177], -v[4:5]
	s_wait_loadcnt 0x0
	v_mul_f64_e32 v[8:9], s[8:9], v[22:23]
	v_mul_f64_e32 v[10:11], s[6:7], v[22:23]
	s_delay_alu instid0(VALU_DEP_2) | instskip(NEXT) | instid1(VALU_DEP_2)
	v_fma_f64 v[8:9], s[6:7], v[20:21], -v[8:9]
	v_fma_f64 v[10:11], s[8:9], v[20:21], v[10:11]
	s_delay_alu instid0(VALU_DEP_2) | instskip(NEXT) | instid1(VALU_DEP_2)
	v_add_f64_e32 v[16:17], v[4:5], v[8:9]
	v_add_f64_e32 v[18:19], v[6:7], v[10:11]
	v_mul_f64_e32 v[4:5], s[40:41], v[138:139]
	v_mul_f64_e32 v[6:7], s[38:39], v[138:139]
	global_store_b128 v[0:1], v[16:19], off offset:256
	global_load_b128 v[16:19], v[2:3], off offset:512
	v_fma_f64 v[4:5], s[38:39], v[254:255], -v[4:5]
	v_fma_f64 v[6:7], s[40:41], v[254:255], v[6:7]
	s_wait_loadcnt 0x0
	v_mul_f64_e32 v[8:9], s[8:9], v[18:19]
	v_mul_f64_e32 v[10:11], s[6:7], v[18:19]
	s_delay_alu instid0(VALU_DEP_2) | instskip(NEXT) | instid1(VALU_DEP_2)
	v_fma_f64 v[8:9], s[6:7], v[16:17], -v[8:9]
	v_fma_f64 v[10:11], s[8:9], v[16:17], v[10:11]
	s_delay_alu instid0(VALU_DEP_2) | instskip(NEXT) | instid1(VALU_DEP_2)
	v_add_f64_e32 v[12:13], v[4:5], v[8:9]
	v_add_f64_e32 v[14:15], v[6:7], v[10:11]
	v_mul_f64_e32 v[4:5], s[38:39], v[136:137]
	global_store_b128 v[0:1], v[12:15], off offset:512
	global_load_b128 v[12:15], v[2:3], off offset:768
	v_mul_f64_e32 v[2:3], s[40:41], v[136:137]
	v_fma_f64 v[4:5], s[40:41], v[140:141], v[4:5]
	s_delay_alu instid0(VALU_DEP_2) | instskip(SKIP_3) | instid1(VALU_DEP_2)
	v_fma_f64 v[2:3], s[38:39], v[140:141], -v[2:3]
	s_wait_loadcnt 0x0
	v_mul_f64_e32 v[6:7], s[8:9], v[14:15]
	v_mul_f64_e32 v[8:9], s[6:7], v[14:15]
	v_fma_f64 v[6:7], s[6:7], v[12:13], -v[6:7]
	s_delay_alu instid0(VALU_DEP_2) | instskip(NEXT) | instid1(VALU_DEP_2)
	v_fma_f64 v[8:9], s[8:9], v[12:13], v[8:9]
	v_add_f64_e32 v[2:3], v[2:3], v[6:7]
	s_delay_alu instid0(VALU_DEP_2)
	v_add_f64_e32 v[72:73], v[4:5], v[8:9]
	global_store_b64 v[0:1], v[2:3], off offset:768
	s_branch .LBB121_2
.LBB121_11:
	s_nop 0
	s_sendmsg sendmsg(MSG_DEALLOC_VGPRS)
	s_endpgm
	.section	.rodata,"a",@progbits
	.p2align	6, 0x0
	.amdhsa_kernel _ZN12_GLOBAL__N_127rocblas_gemm_batched_kernelI19rocblas_complex_numIdELi16ELi16ELi64ELi64ELi4ELi64ELi4ELi4ELi64ELc84ELc84EKS2_S3_S2_EEvlllT_PT11_llS6_llS4_PT12_llPT13_lli
		.amdhsa_group_segment_fixed_size 8192
		.amdhsa_private_segment_fixed_size 372
		.amdhsa_kernarg_size 156
		.amdhsa_user_sgpr_count 2
		.amdhsa_user_sgpr_dispatch_ptr 0
		.amdhsa_user_sgpr_queue_ptr 0
		.amdhsa_user_sgpr_kernarg_segment_ptr 1
		.amdhsa_user_sgpr_dispatch_id 0
		.amdhsa_user_sgpr_private_segment_size 0
		.amdhsa_wavefront_size32 1
		.amdhsa_uses_dynamic_stack 0
		.amdhsa_enable_private_segment 1
		.amdhsa_system_sgpr_workgroup_id_x 1
		.amdhsa_system_sgpr_workgroup_id_y 1
		.amdhsa_system_sgpr_workgroup_id_z 1
		.amdhsa_system_sgpr_workgroup_info 0
		.amdhsa_system_vgpr_workitem_id 1
		.amdhsa_next_free_vgpr 256
		.amdhsa_next_free_sgpr 52
		.amdhsa_reserve_vcc 1
		.amdhsa_float_round_mode_32 0
		.amdhsa_float_round_mode_16_64 0
		.amdhsa_float_denorm_mode_32 3
		.amdhsa_float_denorm_mode_16_64 3
		.amdhsa_fp16_overflow 0
		.amdhsa_workgroup_processor_mode 1
		.amdhsa_memory_ordered 1
		.amdhsa_forward_progress 1
		.amdhsa_inst_pref_size 67
		.amdhsa_round_robin_scheduling 0
		.amdhsa_exception_fp_ieee_invalid_op 0
		.amdhsa_exception_fp_denorm_src 0
		.amdhsa_exception_fp_ieee_div_zero 0
		.amdhsa_exception_fp_ieee_overflow 0
		.amdhsa_exception_fp_ieee_underflow 0
		.amdhsa_exception_fp_ieee_inexact 0
		.amdhsa_exception_int_div_zero 0
	.end_amdhsa_kernel
	.section	.text._ZN12_GLOBAL__N_127rocblas_gemm_batched_kernelI19rocblas_complex_numIdELi16ELi16ELi64ELi64ELi4ELi64ELi4ELi4ELi64ELc84ELc84EKS2_S3_S2_EEvlllT_PT11_llS6_llS4_PT12_llPT13_lli,"axG",@progbits,_ZN12_GLOBAL__N_127rocblas_gemm_batched_kernelI19rocblas_complex_numIdELi16ELi16ELi64ELi64ELi4ELi64ELi4ELi4ELi64ELc84ELc84EKS2_S3_S2_EEvlllT_PT11_llS6_llS4_PT12_llPT13_lli,comdat
.Lfunc_end121:
	.size	_ZN12_GLOBAL__N_127rocblas_gemm_batched_kernelI19rocblas_complex_numIdELi16ELi16ELi64ELi64ELi4ELi64ELi4ELi4ELi64ELc84ELc84EKS2_S3_S2_EEvlllT_PT11_llS6_llS4_PT12_llPT13_lli, .Lfunc_end121-_ZN12_GLOBAL__N_127rocblas_gemm_batched_kernelI19rocblas_complex_numIdELi16ELi16ELi64ELi64ELi4ELi64ELi4ELi4ELi64ELc84ELc84EKS2_S3_S2_EEvlllT_PT11_llS6_llS4_PT12_llPT13_lli
                                        ; -- End function
	.set _ZN12_GLOBAL__N_127rocblas_gemm_batched_kernelI19rocblas_complex_numIdELi16ELi16ELi64ELi64ELi4ELi64ELi4ELi4ELi64ELc84ELc84EKS2_S3_S2_EEvlllT_PT11_llS6_llS4_PT12_llPT13_lli.num_vgpr, 256
	.set _ZN12_GLOBAL__N_127rocblas_gemm_batched_kernelI19rocblas_complex_numIdELi16ELi16ELi64ELi64ELi4ELi64ELi4ELi4ELi64ELc84ELc84EKS2_S3_S2_EEvlllT_PT11_llS6_llS4_PT12_llPT13_lli.num_agpr, 0
	.set _ZN12_GLOBAL__N_127rocblas_gemm_batched_kernelI19rocblas_complex_numIdELi16ELi16ELi64ELi64ELi4ELi64ELi4ELi4ELi64ELc84ELc84EKS2_S3_S2_EEvlllT_PT11_llS6_llS4_PT12_llPT13_lli.numbered_sgpr, 52
	.set _ZN12_GLOBAL__N_127rocblas_gemm_batched_kernelI19rocblas_complex_numIdELi16ELi16ELi64ELi64ELi4ELi64ELi4ELi4ELi64ELc84ELc84EKS2_S3_S2_EEvlllT_PT11_llS6_llS4_PT12_llPT13_lli.num_named_barrier, 0
	.set _ZN12_GLOBAL__N_127rocblas_gemm_batched_kernelI19rocblas_complex_numIdELi16ELi16ELi64ELi64ELi4ELi64ELi4ELi4ELi64ELc84ELc84EKS2_S3_S2_EEvlllT_PT11_llS6_llS4_PT12_llPT13_lli.private_seg_size, 372
	.set _ZN12_GLOBAL__N_127rocblas_gemm_batched_kernelI19rocblas_complex_numIdELi16ELi16ELi64ELi64ELi4ELi64ELi4ELi4ELi64ELc84ELc84EKS2_S3_S2_EEvlllT_PT11_llS6_llS4_PT12_llPT13_lli.uses_vcc, 1
	.set _ZN12_GLOBAL__N_127rocblas_gemm_batched_kernelI19rocblas_complex_numIdELi16ELi16ELi64ELi64ELi4ELi64ELi4ELi4ELi64ELc84ELc84EKS2_S3_S2_EEvlllT_PT11_llS6_llS4_PT12_llPT13_lli.uses_flat_scratch, 1
	.set _ZN12_GLOBAL__N_127rocblas_gemm_batched_kernelI19rocblas_complex_numIdELi16ELi16ELi64ELi64ELi4ELi64ELi4ELi4ELi64ELc84ELc84EKS2_S3_S2_EEvlllT_PT11_llS6_llS4_PT12_llPT13_lli.has_dyn_sized_stack, 0
	.set _ZN12_GLOBAL__N_127rocblas_gemm_batched_kernelI19rocblas_complex_numIdELi16ELi16ELi64ELi64ELi4ELi64ELi4ELi4ELi64ELc84ELc84EKS2_S3_S2_EEvlllT_PT11_llS6_llS4_PT12_llPT13_lli.has_recursion, 0
	.set _ZN12_GLOBAL__N_127rocblas_gemm_batched_kernelI19rocblas_complex_numIdELi16ELi16ELi64ELi64ELi4ELi64ELi4ELi4ELi64ELc84ELc84EKS2_S3_S2_EEvlllT_PT11_llS6_llS4_PT12_llPT13_lli.has_indirect_call, 0
	.section	.AMDGPU.csdata,"",@progbits
; Kernel info:
; codeLenInByte = 8532
; TotalNumSgprs: 54
; NumVgprs: 256
; ScratchSize: 372
; MemoryBound: 0
; FloatMode: 240
; IeeeMode: 1
; LDSByteSize: 8192 bytes/workgroup (compile time only)
; SGPRBlocks: 0
; VGPRBlocks: 31
; NumSGPRsForWavesPerEU: 54
; NumVGPRsForWavesPerEU: 256
; Occupancy: 5
; WaveLimiterHint : 1
; COMPUTE_PGM_RSRC2:SCRATCH_EN: 1
; COMPUTE_PGM_RSRC2:USER_SGPR: 2
; COMPUTE_PGM_RSRC2:TRAP_HANDLER: 0
; COMPUTE_PGM_RSRC2:TGID_X_EN: 1
; COMPUTE_PGM_RSRC2:TGID_Y_EN: 1
; COMPUTE_PGM_RSRC2:TGID_Z_EN: 1
; COMPUTE_PGM_RSRC2:TIDIG_COMP_CNT: 1
	.section	.text._ZN12_GLOBAL__N_127rocblas_gemm_batched_kernelI19rocblas_complex_numIdELi16ELi16ELi64ELi64ELi4ELi64ELi4ELi4ELi64ELc67ELc67EKS2_S3_S2_EEvlllT_PT11_llS6_llS4_PT12_llPT13_lli,"axG",@progbits,_ZN12_GLOBAL__N_127rocblas_gemm_batched_kernelI19rocblas_complex_numIdELi16ELi16ELi64ELi64ELi4ELi64ELi4ELi4ELi64ELc67ELc67EKS2_S3_S2_EEvlllT_PT11_llS6_llS4_PT12_llPT13_lli,comdat
	.globl	_ZN12_GLOBAL__N_127rocblas_gemm_batched_kernelI19rocblas_complex_numIdELi16ELi16ELi64ELi64ELi4ELi64ELi4ELi4ELi64ELc67ELc67EKS2_S3_S2_EEvlllT_PT11_llS6_llS4_PT12_llPT13_lli ; -- Begin function _ZN12_GLOBAL__N_127rocblas_gemm_batched_kernelI19rocblas_complex_numIdELi16ELi16ELi64ELi64ELi4ELi64ELi4ELi4ELi64ELc67ELc67EKS2_S3_S2_EEvlllT_PT11_llS6_llS4_PT12_llPT13_lli
	.p2align	8
	.type	_ZN12_GLOBAL__N_127rocblas_gemm_batched_kernelI19rocblas_complex_numIdELi16ELi16ELi64ELi64ELi4ELi64ELi4ELi4ELi64ELc67ELc67EKS2_S3_S2_EEvlllT_PT11_llS6_llS4_PT12_llPT13_lli,@function
_ZN12_GLOBAL__N_127rocblas_gemm_batched_kernelI19rocblas_complex_numIdELi16ELi16ELi64ELi64ELi4ELi64ELi4ELi4ELi64ELc67ELc67EKS2_S3_S2_EEvlllT_PT11_llS6_llS4_PT12_llPT13_lli: ; @_ZN12_GLOBAL__N_127rocblas_gemm_batched_kernelI19rocblas_complex_numIdELi16ELi16ELi64ELi64ELi4ELi64ELi4ELi4ELi64ELc67ELc67EKS2_S3_S2_EEvlllT_PT11_llS6_llS4_PT12_llPT13_lli
; %bb.0:
	s_load_b32 s26, s[0:1], 0x98
	s_lshr_b32 s2, ttmp7, 16
	s_wait_kmcnt 0x0
	s_cmp_ge_i32 s2, s26
	s_cbranch_scc1 .LBB122_11
; %bb.1:
	s_clause 0x2
	s_load_b512 s[4:19], s[0:1], 0x50
	s_load_b512 s[36:51], s[0:1], 0x10
	s_load_b64 s[20:21], s[0:1], 0x90
	v_and_b32_e32 v13, 0x3ff, v0
	v_bfe_u32 v2, v0, 10, 10
	s_mov_b32 s22, ttmp9
	s_ashr_i32 s23, ttmp9, 31
	s_lshl_b32 s24, ttmp7, 6
	s_lshl_b64 s[0:1], s[22:23], 6
	v_lshl_add_u32 v3, v2, 4, v13
	s_and_b32 s22, s24, 0x3fffc0
	v_lshl_add_u32 v205, v2, 6, 0x1000
	v_add_nc_u32_e32 v12, s22, v2
	s_mov_b32 s3, 0
	v_lshrrev_b32_e32 v9, 2, v3
	v_and_b32_e32 v11, 63, v3
	v_lshrrev_b32_e32 v14, 6, v3
	s_delay_alu instid0(VALU_DEP_2) | instskip(SKIP_4) | instid1(VALU_DEP_1)
	v_or_b32_e32 v3, s0, v11
	s_wait_kmcnt 0x0
	v_mad_co_u64_u32 v[17:18], null, v12, s18, 0
	v_and_b32_e32 v10, 3, v0
	v_add_co_u32 v0, s25, v9, s22
	v_add_co_ci_u32_e64 v1, null, 0, 0, s25
	v_mad_co_u64_u32 v[6:7], null, v12, s12, 0
	v_mul_lo_u32 v16, s45, v3
	s_delay_alu instid0(VALU_DEP_3)
	v_mad_co_u64_u32 v[4:5], null, s50, v10, v[0:1]
	v_dual_mov_b32 v1, v18 :: v_dual_lshlrev_b32 v8, 4, v10
	v_lshlrev_b32_e32 v0, 4, v11
	v_cmp_eq_f64_e64 s23, s[6:7], 0
	v_cmp_eq_f64_e64 s24, s[8:9], 0
	s_lshl_b64 s[4:5], s[4:5], 4
	v_lshl_or_b32 v15, v9, 6, v8
	v_mov_b32_e32 v2, v5
	v_mad_co_u64_u32 v[8:9], null, s44, v3, 0
	v_mov_b32_e32 v3, v7
	v_lshl_or_b32 v134, v14, 10, v0
	v_lshlrev_b32_e32 v0, 4, v14
	v_add_nc_u32_e32 v135, 0x1000, v15
	s_delay_alu instid0(VALU_DEP_4)
	v_mad_co_u64_u32 v[10:11], null, s51, v10, v[2:3]
	v_mad_co_u64_u32 v[1:2], null, v12, s19, v[1:2]
	;; [unrolled: 1-line block ×3, first 2 shown]
	v_add_co_u32 v2, s0, s0, v13
	s_wait_alu 0xf1ff
	v_add_co_ci_u32_e64 v3, null, s1, 0, s0
	s_mul_i32 s0, s44, s1
	v_mov_b32_e32 v18, v1
	s_wait_alu 0xfffe
	v_add3_u32 v9, v9, s0, v16
	v_mov_b32_e32 v7, v11
	scratch_store_b64 off, v[2:3], off offset:344 ; 8-byte Folded Spill
	v_dual_mov_b32 v5, v10 :: v_dual_lshlrev_b32 v204, 4, v13
	v_lshlrev_b64_e32 v[8:9], 4, v[8:9]
	v_lshlrev_b64_e32 v[6:7], 4, v[6:7]
	v_cmp_gt_i64_e64 s0, s[36:37], 0
	scratch_store_b64 off, v[17:18], off offset:336 ; 8-byte Folded Spill
	v_add_co_u32 v0, vcc_lo, v8, v0
	s_delay_alu instid0(VALU_DEP_1)
	v_add_co_ci_u32_e64 v1, null, 0, v9, vcc_lo
	v_add_co_u32 v2, vcc_lo, s10, v6
	s_and_b32 s27, s23, s24
	s_lshl_b64 s[22:23], s[18:19], 4
	s_lshl_b64 s[18:19], s[12:13], 4
	scratch_store_b32 off, v2, off offset:368 ; 4-byte Folded Spill
	s_wait_alu 0xfffd
	v_add_co_ci_u32_e64 v2, null, s11, v7, vcc_lo
	v_add_co_u32 v0, vcc_lo, s42, v0
	s_wait_alu 0xfffd
	v_add_co_ci_u32_e64 v1, null, s43, v1, vcc_lo
	v_lshlrev_b64_e32 v[6:7], 4, v[4:5]
	s_delay_alu instid0(VALU_DEP_3) | instskip(SKIP_1) | instid1(VALU_DEP_3)
	v_add_co_u32 v0, vcc_lo, v0, 8
	s_wait_alu 0xfffd
	v_add_co_ci_u32_e64 v1, null, 0, v1, vcc_lo
	scratch_store_b32 off, v2, off offset:372 ; 4-byte Folded Spill
	v_cndmask_b32_e64 v2, 0, 1, s0
	s_lshl_b64 s[10:11], s[46:47], 4
	scratch_store_b64 off, v[0:1], off offset:352 ; 8-byte Folded Spill
	v_add_co_u32 v0, vcc_lo, s48, v6
	s_wait_alu 0xfffd
	v_add_co_ci_u32_e64 v1, null, s49, v7, vcc_lo
	v_cmp_ne_u32_e64 s0, 1, v2
	s_delay_alu instid0(VALU_DEP_3) | instskip(SKIP_1) | instid1(VALU_DEP_3)
	v_add_co_u32 v0, vcc_lo, v0, 8
	s_wait_alu 0xfffd
	v_add_co_ci_u32_e64 v1, null, 0, v1, vcc_lo
	s_lshl_b64 s[12:13], s[50:51], 6
	s_wait_alu 0xfffe
	s_lshl_b64 s[18:19], s[18:19], 4
	s_lshl_b64 s[22:23], s[22:23], 4
	s_clause 0x2
	scratch_store_b64 off, v[0:1], off offset:360
	scratch_store_b32 off, v134, off offset:328
	scratch_store_b32 off, v135, off offset:332
	s_branch .LBB122_3
.LBB122_2:                              ;   in Loop: Header=BB122_3 Depth=1
	s_add_co_i32 s2, s2, 0x10000
	global_store_b64 v[74:75], v[72:73], off offset:8
	s_wait_alu 0xfffe
	s_cmp_lt_i32 s2, s26
	s_cbranch_scc0 .LBB122_11
.LBB122_3:                              ; =>This Loop Header: Depth=1
                                        ;     Child Loop BB122_5 Depth 2
	s_and_b32 vcc_lo, exec_lo, s0
	s_wait_alu 0xfffe
	s_cbranch_vccnz .LBB122_6
; %bb.4:                                ;   in Loop: Header=BB122_3 Depth=1
	scratch_load_b64 v[0:1], off, off offset:352 ; 8-byte Folded Reload
	v_mov_b32_e32 v144, 0
	v_mov_b32_e32 v30, 0
	v_dual_mov_b32 v31, 0 :: v_dual_mov_b32 v26, 0
	v_mov_b32_e32 v138, 0
	v_dual_mov_b32 v139, 0 :: v_dual_mov_b32 v140, 0
	v_mov_b32_e32 v206, 0
	v_mov_b32_e32 v254, 0
	v_dual_mov_b32 v72, 0 :: v_dual_mov_b32 v141, 0
	v_mov_b32_e32 v207, 0
	v_mov_b32_e32 v255, 0
	v_mov_b32_e32 v73, 0
	v_mov_b32_e32 v27, 0
	s_mov_b64 s[24:25], 0
	v_mov_b32_e32 v22, 0
	v_dual_mov_b32 v23, 0 :: v_dual_mov_b32 v18, 0
	v_dual_mov_b32 v19, 0 :: v_dual_mov_b32 v16, 0
	;; [unrolled: 1-line block ×17, first 2 shown]
	v_mov_b32_e32 v181, 0
	s_wait_loadcnt 0x0
	v_mad_co_u64_u32 v[24:25], null, s10, s2, v[0:1]
	scratch_load_b64 v[0:1], off, off offset:360 ; 8-byte Folded Reload
	v_dual_mov_b32 v145, 0 :: v_dual_mov_b32 v20, v25
	s_delay_alu instid0(VALU_DEP_1) | instskip(SKIP_2) | instid1(VALU_DEP_3)
	v_mad_co_u64_u32 v[28:29], null, s11, s2, v[20:21]
	v_mov_b32_e32 v20, 0
	v_mov_b32_e32 v21, 0
	;; [unrolled: 1-line block ×3, first 2 shown]
	s_wait_loadcnt 0x0
	v_mad_co_u64_u32 v[32:33], null, s4, s2, v[0:1]
	v_mov_b32_e32 v0, 0
	v_dual_mov_b32 v1, 0 :: v_dual_mov_b32 v178, 0
	v_mov_b32_e32 v179, 0
	scratch_store_b64 off, v[0:1], off      ; 8-byte Folded Spill
	v_mov_b32_e32 v0, 0
	v_mov_b32_e32 v1, 0
	;; [unrolled: 1-line block ×3, first 2 shown]
	scratch_store_b64 off, v[0:1], off offset:8 ; 8-byte Folded Spill
	v_mov_b32_e32 v0, 0
	v_mad_co_u64_u32 v[75:76], null, s5, s2, v[29:30]
	v_mov_b32_e32 v1, 0
	s_delay_alu instid0(VALU_DEP_2)
	v_dual_mov_b32 v33, v75 :: v_dual_mov_b32 v74, 0
	v_mov_b32_e32 v75, 0
.LBB122_5:                              ;   Parent Loop BB122_3 Depth=1
                                        ; =>  This Inner Loop Header: Depth=2
	s_clause 0x4
	scratch_store_b64 off, v[144:145], off offset:200
	scratch_store_b64 off, v[140:141], off offset:40
	;; [unrolled: 1-line block ×5, first 2 shown]
	global_load_b128 v[76:79], v[24:25], off offset:-8
	global_load_b128 v[80:83], v[32:33], off offset:-8
	v_dual_mov_b32 v36, v172 :: v_dual_mov_b32 v37, v173
	v_dual_mov_b32 v28, v180 :: v_dual_mov_b32 v29, v181
	;; [unrolled: 1-line block ×3, first 2 shown]
	s_wait_alu 0xfffe
	s_add_nc_u64 s[24:25], s[24:25], 4
	s_wait_loadcnt 0x1
	v_xor_b32_e32 v79, 0x80000000, v79
	s_wait_loadcnt 0x0
	v_xor_b32_e32 v83, 0x80000000, v83
	ds_store_b128 v134, v[76:79]
	ds_store_b128 v135, v[80:83]
	s_wait_storecnt_dscnt 0x0
	s_barrier_signal -1
	s_barrier_wait -1
	global_inv scope:SCOPE_SE
	ds_load_b128 v[90:93], v205
	ds_load_b128 v[126:129], v204
	ds_load_b128 v[130:133], v204 offset:256
	ds_load_b128 v[154:157], v205 offset:16
	s_wait_dscnt 0x2
	v_mul_f64_e32 v[76:77], v[92:93], v[128:129]
	v_mul_f64_e32 v[78:79], v[90:91], v[128:129]
	s_wait_dscnt 0x1
	v_mul_f64_e32 v[80:81], v[92:93], v[132:133]
	v_mul_f64_e32 v[82:83], v[90:91], v[132:133]
	s_delay_alu instid0(VALU_DEP_4)
	v_fma_f64 v[24:25], v[90:91], v[126:127], -v[76:77]
	scratch_store_b64 off, v[24:25], off offset:48 ; 8-byte Folded Spill
	v_fma_f64 v[24:25], v[92:93], v[126:127], v[78:79]
	scratch_store_b64 off, v[24:25], off offset:56 ; 8-byte Folded Spill
	v_fma_f64 v[24:25], v[90:91], v[130:131], -v[80:81]
	scratch_store_b64 off, v[24:25], off offset:64 ; 8-byte Folded Spill
	v_fma_f64 v[24:25], v[92:93], v[130:131], v[82:83]
	scratch_store_b64 off, v[24:25], off offset:72 ; 8-byte Folded Spill
	ds_load_b128 v[134:137], v204 offset:512
	ds_load_b128 v[138:141], v204 offset:768
	;; [unrolled: 1-line block ×4, first 2 shown]
	s_wait_dscnt 0x3
	v_mul_f64_e32 v[84:85], v[92:93], v[136:137]
	v_mul_f64_e32 v[86:87], v[90:91], v[136:137]
	s_wait_dscnt 0x2
	v_mul_f64_e32 v[88:89], v[92:93], v[140:141]
	s_wait_dscnt 0x1
	v_mul_f64_e32 v[94:95], v[106:107], v[128:129]
	v_mul_f64_e32 v[96:97], v[108:109], v[132:133]
	;; [unrolled: 1-line block ×6, first 2 shown]
	v_fma_f64 v[24:25], v[90:91], v[134:135], -v[84:85]
	scratch_store_b64 off, v[24:25], off offset:80 ; 8-byte Folded Spill
	v_fma_f64 v[24:25], v[92:93], v[134:135], v[86:87]
	scratch_store_b64 off, v[24:25], off offset:88 ; 8-byte Folded Spill
	v_fma_f64 v[24:25], v[90:91], v[138:139], -v[88:89]
	v_mul_f64_e32 v[90:91], v[90:91], v[140:141]
	scratch_store_b64 off, v[24:25], off offset:96 ; 8-byte Folded Spill
	v_fma_f64 v[24:25], v[92:93], v[138:139], v[90:91]
	v_mul_f64_e32 v[92:93], v[108:109], v[128:129]
	scratch_store_b64 off, v[24:25], off offset:104 ; 8-byte Folded Spill
	v_fma_f64 v[24:25], v[106:107], v[126:127], -v[92:93]
	scratch_store_b64 off, v[24:25], off offset:112 ; 8-byte Folded Spill
	v_fma_f64 v[24:25], v[108:109], v[126:127], v[94:95]
	scratch_store_b64 off, v[24:25], off offset:120 ; 8-byte Folded Spill
	v_fma_f64 v[24:25], v[106:107], v[130:131], -v[96:97]
	scratch_store_b64 off, v[24:25], off offset:128 ; 8-byte Folded Spill
	v_fma_f64 v[24:25], v[108:109], v[130:131], v[98:99]
	;; [unrolled: 4-line block ×3, first 2 shown]
	scratch_store_b64 off, v[24:25], off offset:152 ; 8-byte Folded Spill
	v_fma_f64 v[24:25], v[106:107], v[138:139], -v[104:105]
	v_mul_f64_e32 v[106:107], v[106:107], v[140:141]
	scratch_store_b64 off, v[24:25], off offset:160 ; 8-byte Folded Spill
	v_fma_f64 v[24:25], v[108:109], v[138:139], v[106:107]
	scratch_store_b64 off, v[24:25], off offset:168 ; 8-byte Folded Spill
	ds_load_b128 v[122:125], v205 offset:2048
	ds_load_b128 v[186:189], v205 offset:2064
	s_wait_dscnt 0x1
	v_mul_f64_e32 v[108:109], v[124:125], v[128:129]
	v_mul_f64_e32 v[110:111], v[122:123], v[128:129]
	;; [unrolled: 1-line block ×7, first 2 shown]
	v_fma_f64 v[24:25], v[122:123], v[126:127], -v[108:109]
	scratch_store_b64 off, v[24:25], off offset:176 ; 8-byte Folded Spill
	v_fma_f64 v[24:25], v[124:125], v[126:127], v[110:111]
	scratch_store_b64 off, v[24:25], off offset:184 ; 8-byte Folded Spill
	v_fma_f64 v[24:25], v[122:123], v[130:131], -v[112:113]
	scratch_store_b64 off, v[24:25], off offset:192 ; 8-byte Folded Spill
	v_fma_f64 v[24:25], v[124:125], v[130:131], v[114:115]
	scratch_store_b64 off, v[24:25], off offset:208 ; 8-byte Folded Spill
	;; [unrolled: 4-line block ×3, first 2 shown]
	v_fma_f64 v[24:25], v[122:123], v[138:139], -v[120:121]
	v_mul_f64_e32 v[122:123], v[122:123], v[140:141]
	scratch_store_b64 off, v[24:25], off offset:232 ; 8-byte Folded Spill
	v_fma_f64 v[24:25], v[124:125], v[138:139], v[122:123]
	scratch_store_b64 off, v[24:25], off offset:240 ; 8-byte Folded Spill
	ds_load_b128 v[142:145], v205 offset:3072
	ds_load_b128 v[210:213], v205 offset:3088
	s_wait_dscnt 0x1
	v_mul_f64_e32 v[124:125], v[144:145], v[128:129]
	v_mul_f64_e32 v[128:129], v[142:143], v[128:129]
	s_delay_alu instid0(VALU_DEP_2)
	v_fma_f64 v[24:25], v[142:143], v[126:127], -v[124:125]
	scratch_store_b64 off, v[24:25], off offset:248 ; 8-byte Folded Spill
	v_fma_f64 v[24:25], v[144:145], v[126:127], v[128:129]
	v_mul_f64_e32 v[128:129], v[144:145], v[132:133]
	v_mul_f64_e32 v[132:133], v[142:143], v[132:133]
	scratch_store_b64 off, v[24:25], off offset:256 ; 8-byte Folded Spill
	v_fma_f64 v[24:25], v[142:143], v[130:131], -v[128:129]
	scratch_store_b64 off, v[24:25], off offset:264 ; 8-byte Folded Spill
	v_fma_f64 v[24:25], v[144:145], v[130:131], v[132:133]
	v_mul_f64_e32 v[132:133], v[144:145], v[136:137]
	v_mul_f64_e32 v[136:137], v[142:143], v[136:137]
	scratch_store_b64 off, v[24:25], off offset:272 ; 8-byte Folded Spill
	;; [unrolled: 6-line block ×3, first 2 shown]
	v_fma_f64 v[24:25], v[142:143], v[138:139], -v[136:137]
	scratch_store_b64 off, v[24:25], off offset:296 ; 8-byte Folded Spill
	v_fma_f64 v[24:25], v[144:145], v[138:139], v[140:141]
	scratch_store_b64 off, v[24:25], off offset:304 ; 8-byte Folded Spill
	ds_load_b128 v[190:193], v204 offset:1024
	ds_load_b128 v[194:197], v204 offset:1280
	s_wait_dscnt 0x1
	v_mul_f64_e32 v[140:141], v[156:157], v[192:193]
	s_wait_dscnt 0x0
	v_mul_f64_e32 v[144:145], v[156:157], v[196:197]
	v_mul_f64_e32 v[142:143], v[154:155], v[192:193]
	v_mul_f64_e32 v[146:147], v[154:155], v[196:197]
	v_mul_f64_e32 v[160:161], v[172:173], v[196:197]
	v_mul_f64_e32 v[158:159], v[170:171], v[192:193]
	v_mul_f64_e32 v[162:163], v[170:171], v[196:197]
	v_mul_f64_e32 v[176:177], v[188:189], v[196:197]
	v_mul_f64_e32 v[174:175], v[186:187], v[192:193]
	v_mul_f64_e32 v[178:179], v[186:187], v[196:197]
	v_fma_f64 v[24:25], v[154:155], v[190:191], -v[140:141]
	v_fma_f64 v[144:145], v[154:155], v[194:195], -v[144:145]
	v_fma_f64 v[142:143], v[156:157], v[190:191], v[142:143]
	v_fma_f64 v[146:147], v[156:157], v[194:195], v[146:147]
	v_fma_f64 v[160:161], v[170:171], v[194:195], -v[160:161]
	v_fma_f64 v[158:159], v[172:173], v[190:191], v[158:159]
	v_fma_f64 v[176:177], v[186:187], v[194:195], -v[176:177]
	v_fma_f64 v[174:175], v[188:189], v[190:191], v[174:175]
	v_fma_f64 v[178:179], v[188:189], v[194:195], v[178:179]
	scratch_store_b64 off, v[24:25], off offset:312 ; 8-byte Folded Spill
	ds_load_b128 v[198:201], v204 offset:1536
	ds_load_b128 v[214:217], v204 offset:1792
	s_wait_dscnt 0x1
	v_mul_f64_e32 v[148:149], v[156:157], v[200:201]
	s_wait_dscnt 0x0
	v_mul_f64_e32 v[152:153], v[156:157], v[216:217]
	v_mul_f64_e32 v[150:151], v[154:155], v[200:201]
	;; [unrolled: 1-line block ×8, first 2 shown]
	v_fma_f64 v[148:149], v[154:155], v[198:199], -v[148:149]
	v_fma_f64 v[152:153], v[154:155], v[214:215], -v[152:153]
	v_mul_f64_e32 v[154:155], v[154:155], v[216:217]
	v_fma_f64 v[150:151], v[156:157], v[198:199], v[150:151]
	v_fma_f64 v[164:165], v[170:171], v[198:199], -v[164:165]
	v_fma_f64 v[168:169], v[170:171], v[214:215], -v[168:169]
	v_fma_f64 v[166:167], v[172:173], v[198:199], v[166:167]
	v_fma_f64 v[180:181], v[186:187], v[198:199], -v[180:181]
	v_fma_f64 v[184:185], v[186:187], v[214:215], -v[184:185]
	v_fma_f64 v[202:203], v[212:213], v[214:215], v[202:203]
	v_fma_f64 v[154:155], v[156:157], v[214:215], v[154:155]
	v_mul_f64_e32 v[156:157], v[172:173], v[192:193]
	s_delay_alu instid0(VALU_DEP_1)
	v_fma_f64 v[24:25], v[170:171], v[190:191], -v[156:157]
	v_mul_f64_e32 v[170:171], v[170:171], v[216:217]
	v_fma_f64 v[156:157], v[172:173], v[194:195], v[162:163]
	scratch_store_b64 off, v[24:25], off offset:320 ; 8-byte Folded Spill
	v_fma_f64 v[170:171], v[172:173], v[214:215], v[170:171]
	v_mul_f64_e32 v[172:173], v[188:189], v[192:193]
	v_dual_mov_b32 v24, v182 :: v_dual_mov_b32 v25, v183
	v_mul_f64_e32 v[182:183], v[186:187], v[200:201]
	s_delay_alu instid0(VALU_DEP_3) | instskip(SKIP_1) | instid1(VALU_DEP_3)
	v_fma_f64 v[172:173], v[186:187], v[190:191], -v[172:173]
	v_mul_f64_e32 v[186:187], v[186:187], v[216:217]
	v_fma_f64 v[182:183], v[188:189], v[198:199], v[182:183]
	s_delay_alu instid0(VALU_DEP_2) | instskip(SKIP_2) | instid1(VALU_DEP_2)
	v_fma_f64 v[186:187], v[188:189], v[214:215], v[186:187]
	v_mul_f64_e32 v[188:189], v[212:213], v[192:193]
	v_mul_f64_e32 v[192:193], v[210:211], v[192:193]
	v_fma_f64 v[188:189], v[210:211], v[190:191], -v[188:189]
	s_delay_alu instid0(VALU_DEP_2) | instskip(SKIP_2) | instid1(VALU_DEP_2)
	v_fma_f64 v[190:191], v[212:213], v[190:191], v[192:193]
	v_mul_f64_e32 v[192:193], v[212:213], v[196:197]
	v_mul_f64_e32 v[196:197], v[210:211], v[196:197]
	v_fma_f64 v[192:193], v[210:211], v[194:195], -v[192:193]
	s_delay_alu instid0(VALU_DEP_2) | instskip(SKIP_2) | instid1(VALU_DEP_2)
	v_fma_f64 v[194:195], v[212:213], v[194:195], v[196:197]
	v_mul_f64_e32 v[196:197], v[212:213], v[200:201]
	v_mul_f64_e32 v[200:201], v[210:211], v[200:201]
	v_fma_f64 v[196:197], v[210:211], v[198:199], -v[196:197]
	s_delay_alu instid0(VALU_DEP_2) | instskip(SKIP_1) | instid1(VALU_DEP_1)
	v_fma_f64 v[198:199], v[212:213], v[198:199], v[200:201]
	v_mul_f64_e32 v[200:201], v[212:213], v[216:217]
	v_fma_f64 v[200:201], v[210:211], v[214:215], -v[200:201]
	ds_load_b128 v[210:213], v205 offset:32
	ds_load_b128 v[214:217], v204 offset:2048
	;; [unrolled: 1-line block ×4, first 2 shown]
	s_wait_dscnt 0x2
	v_mul_f64_e32 v[226:227], v[212:213], v[216:217]
	s_delay_alu instid0(VALU_DEP_1) | instskip(SKIP_1) | instid1(VALU_DEP_1)
	v_fma_f64 v[136:137], v[210:211], v[214:215], -v[226:227]
	v_mul_f64_e32 v[226:227], v[210:211], v[216:217]
	v_fma_f64 v[134:135], v[212:213], v[214:215], v[226:227]
	s_wait_dscnt 0x1
	v_mul_f64_e32 v[226:227], v[212:213], v[220:221]
	s_delay_alu instid0(VALU_DEP_1) | instskip(SKIP_1) | instid1(VALU_DEP_1)
	v_fma_f64 v[132:133], v[210:211], v[218:219], -v[226:227]
	v_mul_f64_e32 v[226:227], v[210:211], v[220:221]
	v_fma_f64 v[130:131], v[212:213], v[218:219], v[226:227]
	ds_load_b128 v[226:229], v204 offset:2560
	ds_load_b128 v[230:233], v204 offset:2816
	s_wait_dscnt 0x1
	v_mul_f64_e32 v[234:235], v[212:213], v[228:229]
	s_delay_alu instid0(VALU_DEP_1) | instskip(SKIP_1) | instid1(VALU_DEP_1)
	v_fma_f64 v[128:129], v[210:211], v[226:227], -v[234:235]
	v_mul_f64_e32 v[234:235], v[210:211], v[228:229]
	v_fma_f64 v[126:127], v[212:213], v[226:227], v[234:235]
	s_wait_dscnt 0x0
	v_mul_f64_e32 v[234:235], v[212:213], v[232:233]
	s_delay_alu instid0(VALU_DEP_1) | instskip(SKIP_1) | instid1(VALU_DEP_1)
	v_fma_f64 v[124:125], v[210:211], v[230:231], -v[234:235]
	v_mul_f64_e32 v[210:211], v[210:211], v[232:233]
	v_fma_f64 v[122:123], v[212:213], v[230:231], v[210:211]
	ds_load_b128 v[210:213], v205 offset:1056
	ds_load_b128 v[234:237], v205 offset:1072
	s_wait_dscnt 0x1
	v_mul_f64_e32 v[238:239], v[212:213], v[216:217]
	s_delay_alu instid0(VALU_DEP_1) | instskip(SKIP_1) | instid1(VALU_DEP_1)
	v_fma_f64 v[162:163], v[210:211], v[214:215], -v[238:239]
	v_mul_f64_e32 v[238:239], v[210:211], v[216:217]
	v_fma_f64 v[120:121], v[212:213], v[214:215], v[238:239]
	v_mul_f64_e32 v[238:239], v[212:213], v[220:221]
	s_delay_alu instid0(VALU_DEP_1) | instskip(SKIP_1) | instid1(VALU_DEP_1)
	v_fma_f64 v[118:119], v[210:211], v[218:219], -v[238:239]
	v_mul_f64_e32 v[238:239], v[210:211], v[220:221]
	v_fma_f64 v[116:117], v[212:213], v[218:219], v[238:239]
	;; [unrolled: 5-line block ×4, first 2 shown]
	ds_load_b128 v[210:213], v205 offset:2080
	ds_load_b128 v[238:241], v205 offset:2096
	s_wait_dscnt 0x1
	v_mul_f64_e32 v[242:243], v[212:213], v[216:217]
	s_delay_alu instid0(VALU_DEP_1) | instskip(SKIP_1) | instid1(VALU_DEP_1)
	v_fma_f64 v[106:107], v[210:211], v[214:215], -v[242:243]
	v_mul_f64_e32 v[242:243], v[210:211], v[216:217]
	v_fma_f64 v[104:105], v[212:213], v[214:215], v[242:243]
	v_mul_f64_e32 v[242:243], v[212:213], v[220:221]
	s_delay_alu instid0(VALU_DEP_1) | instskip(SKIP_1) | instid1(VALU_DEP_1)
	v_fma_f64 v[102:103], v[210:211], v[218:219], -v[242:243]
	v_mul_f64_e32 v[242:243], v[210:211], v[220:221]
	v_fma_f64 v[100:101], v[212:213], v[218:219], v[242:243]
	;; [unrolled: 5-line block ×4, first 2 shown]
	ds_load_b128 v[210:213], v205 offset:3104
	ds_load_b128 v[242:245], v205 offset:3120
	s_wait_dscnt 0x1
	v_mul_f64_e32 v[34:35], v[212:213], v[216:217]
	v_mul_f64_e32 v[216:217], v[210:211], v[216:217]
	s_delay_alu instid0(VALU_DEP_2) | instskip(NEXT) | instid1(VALU_DEP_2)
	v_fma_f64 v[90:91], v[210:211], v[214:215], -v[34:35]
	v_fma_f64 v[88:89], v[212:213], v[214:215], v[216:217]
	v_mul_f64_e32 v[214:215], v[212:213], v[220:221]
	s_delay_alu instid0(VALU_DEP_1) | instskip(SKIP_1) | instid1(VALU_DEP_1)
	v_fma_f64 v[38:39], v[210:211], v[218:219], -v[214:215]
	v_mul_f64_e32 v[214:215], v[210:211], v[220:221]
	v_fma_f64 v[40:41], v[212:213], v[218:219], v[214:215]
	v_mul_f64_e32 v[214:215], v[212:213], v[228:229]
	s_delay_alu instid0(VALU_DEP_1) | instskip(SKIP_1) | instid1(VALU_DEP_1)
	v_fma_f64 v[42:43], v[210:211], v[226:227], -v[214:215]
	v_mul_f64_e32 v[214:215], v[210:211], v[228:229]
	;; [unrolled: 5-line block ×3, first 2 shown]
	v_fma_f64 v[230:231], v[212:213], v[230:231], v[210:211]
	ds_load_b128 v[210:213], v204 offset:3072
	ds_load_b128 v[214:217], v204 offset:3328
	s_wait_dscnt 0x1
	v_mul_f64_e32 v[218:219], v[224:225], v[212:213]
	s_wait_dscnt 0x0
	v_mul_f64_e32 v[62:63], v[236:237], v[216:217]
	v_mul_f64_e32 v[60:61], v[234:235], v[212:213]
	;; [unrolled: 1-line block ×6, first 2 shown]
	v_fma_f64 v[232:233], v[222:223], v[210:211], -v[218:219]
	v_mul_f64_e32 v[218:219], v[222:223], v[212:213]
	v_fma_f64 v[62:63], v[234:235], v[214:215], -v[62:63]
	v_fma_f64 v[60:61], v[236:237], v[210:211], v[60:61]
	v_fma_f64 v[64:65], v[236:237], v[214:215], v[64:65]
	v_fma_f64 v[78:79], v[238:239], v[214:215], -v[78:79]
	v_fma_f64 v[76:77], v[240:241], v[210:211], v[76:77]
	v_fma_f64 v[80:81], v[240:241], v[214:215], v[80:81]
	;; [unrolled: 1-line block ×3, first 2 shown]
	v_mul_f64_e32 v[218:219], v[224:225], v[216:217]
	s_delay_alu instid0(VALU_DEP_1) | instskip(SKIP_1) | instid1(VALU_DEP_1)
	v_fma_f64 v[50:51], v[222:223], v[214:215], -v[218:219]
	v_mul_f64_e32 v[218:219], v[222:223], v[216:217]
	v_fma_f64 v[52:53], v[224:225], v[214:215], v[218:219]
	ds_load_b128 v[218:221], v204 offset:3584
	ds_load_b128 v[226:229], v204 offset:3840
	scratch_load_b64 v[34:35], off, off offset:48 th:TH_LOAD_LU ; 8-byte Folded Reload
	s_wait_dscnt 0x1
	v_mul_f64_e32 v[54:55], v[224:225], v[220:221]
	s_wait_dscnt 0x0
	v_mul_f64_e32 v[58:59], v[224:225], v[228:229]
	v_mul_f64_e32 v[56:57], v[222:223], v[220:221]
	;; [unrolled: 1-line block ×8, first 2 shown]
	v_fma_f64 v[54:55], v[222:223], v[218:219], -v[54:55]
	v_fma_f64 v[58:59], v[222:223], v[226:227], -v[58:59]
	v_mul_f64_e32 v[222:223], v[222:223], v[228:229]
	v_fma_f64 v[56:57], v[224:225], v[218:219], v[56:57]
	v_fma_f64 v[66:67], v[234:235], v[218:219], -v[66:67]
	v_fma_f64 v[70:71], v[234:235], v[226:227], -v[70:71]
	v_fma_f64 v[68:69], v[236:237], v[218:219], v[68:69]
	v_fma_f64 v[82:83], v[238:239], v[218:219], -v[82:83]
	v_fma_f64 v[86:87], v[238:239], v[226:227], -v[86:87]
	v_fma_f64 v[84:85], v[240:241], v[218:219], v[84:85]
	v_fma_f64 v[222:223], v[224:225], v[226:227], v[222:223]
	v_mul_f64_e32 v[224:225], v[236:237], v[212:213]
	s_delay_alu instid0(VALU_DEP_1) | instskip(SKIP_1) | instid1(VALU_DEP_1)
	v_fma_f64 v[224:225], v[234:235], v[210:211], -v[224:225]
	v_mul_f64_e32 v[234:235], v[234:235], v[228:229]
	v_fma_f64 v[234:235], v[236:237], v[226:227], v[234:235]
	v_mul_f64_e32 v[236:237], v[240:241], v[212:213]
	s_delay_alu instid0(VALU_DEP_1) | instskip(SKIP_1) | instid1(VALU_DEP_1)
	v_fma_f64 v[236:237], v[238:239], v[210:211], -v[236:237]
	v_mul_f64_e32 v[238:239], v[238:239], v[228:229]
	v_fma_f64 v[238:239], v[240:241], v[226:227], v[238:239]
	v_mul_f64_e32 v[240:241], v[244:245], v[212:213]
	v_mul_f64_e32 v[212:213], v[242:243], v[212:213]
	s_delay_alu instid0(VALU_DEP_2) | instskip(NEXT) | instid1(VALU_DEP_2)
	v_fma_f64 v[240:241], v[242:243], v[210:211], -v[240:241]
	v_fma_f64 v[210:211], v[244:245], v[210:211], v[212:213]
	v_mul_f64_e32 v[212:213], v[244:245], v[216:217]
	v_mul_f64_e32 v[216:217], v[242:243], v[216:217]
	s_delay_alu instid0(VALU_DEP_2) | instskip(NEXT) | instid1(VALU_DEP_2)
	v_fma_f64 v[212:213], v[242:243], v[214:215], -v[212:213]
	;; [unrolled: 5-line block ×4, first 2 shown]
	v_fma_f64 v[226:227], v[244:245], v[226:227], v[228:229]
	s_wait_loadcnt 0x0
	v_add_f64_e32 v[228:229], v[28:29], v[34:35]
	scratch_load_b64 v[28:29], off, off offset:56 th:TH_LOAD_LU ; 8-byte Folded Reload
	s_wait_loadcnt 0x0
	v_add_f64_e32 v[242:243], v[28:29], v[24:25]
	scratch_load_b64 v[24:25], off, off offset:64 th:TH_LOAD_LU ; 8-byte Folded Reload
	v_add_f64_e32 v[142:143], v[142:143], v[242:243]
	s_delay_alu instid0(VALU_DEP_1)
	v_add_f64_e32 v[134:135], v[134:135], v[142:143]
	s_wait_loadcnt 0x0
	v_add_f64_e32 v[244:245], v[36:37], v[24:25]
	scratch_load_b64 v[24:25], off, off offset:72 th:TH_LOAD_LU ; 8-byte Folded Reload
	v_dual_mov_b32 v36, v204 :: v_dual_mov_b32 v37, v205
	v_add_f64_e32 v[144:145], v[244:245], v[144:145]
	s_delay_alu instid0(VALU_DEP_1)
	v_add_f64_e32 v[132:133], v[144:145], v[132:133]
	s_wait_loadcnt 0x0
	v_add_f64_e32 v[204:205], v[24:25], v[208:209]
	scratch_load_b64 v[24:25], off, off offset:80 th:TH_LOAD_LU ; 8-byte Folded Reload
	v_add_f64_e32 v[146:147], v[146:147], v[204:205]
	v_dual_mov_b32 v205, v37 :: v_dual_mov_b32 v204, v36
	s_delay_alu instid0(VALU_DEP_2) | instskip(SKIP_4) | instid1(VALU_DEP_1)
	v_add_f64_e32 v[130:131], v[130:131], v[146:147]
	s_wait_loadcnt 0x0
	v_add_f64_e32 v[246:247], v[246:247], v[24:25]
	scratch_load_b64 v[24:25], off, off offset:88 th:TH_LOAD_LU ; 8-byte Folded Reload
	v_add_f64_e32 v[148:149], v[246:247], v[148:149]
	v_add_f64_e32 v[128:129], v[148:149], v[128:129]
	s_delay_alu instid0(VALU_DEP_1) | instskip(SKIP_4) | instid1(VALU_DEP_1)
	v_add_f64_e32 v[246:247], v[128:129], v[54:55]
	s_wait_loadcnt 0x0
	v_add_f64_e32 v[248:249], v[24:25], v[248:249]
	scratch_load_b64 v[24:25], off, off offset:96 th:TH_LOAD_LU ; 8-byte Folded Reload
	v_add_f64_e32 v[150:151], v[150:151], v[248:249]
	v_add_f64_e32 v[126:127], v[126:127], v[150:151]
	s_delay_alu instid0(VALU_DEP_1) | instskip(SKIP_4) | instid1(VALU_DEP_1)
	;; [unrolled: 7-line block ×3, first 2 shown]
	v_add_f64_e32 v[250:251], v[124:125], v[58:59]
	s_wait_loadcnt 0x0
	v_add_f64_e32 v[252:253], v[24:25], v[252:253]
	scratch_load_b64 v[24:25], off, off offset:112 th:TH_LOAD_LU ; 8-byte Folded Reload
	v_add_f64_e32 v[154:155], v[154:155], v[252:253]
	v_add_f64_e32 v[122:123], v[122:123], v[154:155]
	s_delay_alu instid0(VALU_DEP_1)
	v_add_f64_e32 v[252:253], v[222:223], v[122:123]
	s_wait_loadcnt 0x0
	v_add_f64_e32 v[0:1], v[0:1], v[24:25]
	scratch_load_b64 v[24:25], off, off offset:120 th:TH_LOAD_LU ; 8-byte Folded Reload
	s_wait_loadcnt 0x0
	v_add_f64_e32 v[2:3], v[24:25], v[2:3]
	scratch_load_b64 v[24:25], off, off offset:128 th:TH_LOAD_LU ; 8-byte Folded Reload
	v_add_f64_e32 v[2:3], v[158:159], v[2:3]
	s_delay_alu instid0(VALU_DEP_1) | instskip(NEXT) | instid1(VALU_DEP_1)
	v_add_f64_e32 v[2:3], v[120:121], v[2:3]
	v_add_f64_e32 v[2:3], v[60:61], v[2:3]
	s_wait_loadcnt 0x0
	v_add_f64_e32 v[4:5], v[4:5], v[24:25]
	scratch_load_b64 v[24:25], off, off offset:136 th:TH_LOAD_LU ; 8-byte Folded Reload
	v_add_f64_e32 v[4:5], v[4:5], v[160:161]
	s_delay_alu instid0(VALU_DEP_1) | instskip(NEXT) | instid1(VALU_DEP_1)
	v_add_f64_e32 v[4:5], v[4:5], v[118:119]
	v_add_f64_e32 v[4:5], v[4:5], v[62:63]
	;; [unrolled: 7-line block ×7, first 2 shown]
	s_wait_loadcnt 0x0
	v_add_f64_e32 v[16:17], v[16:17], v[24:25]
	scratch_load_b64 v[24:25], off, off offset:184 th:TH_LOAD_LU ; 8-byte Folded Reload
	v_add_f64_e32 v[16:17], v[16:17], v[172:173]
	v_add_f64_e32 v[172:173], v[132:133], v[50:51]
	s_delay_alu instid0(VALU_DEP_2) | instskip(NEXT) | instid1(VALU_DEP_1)
	v_add_f64_e32 v[16:17], v[16:17], v[106:107]
	v_add_f64_e32 v[16:17], v[16:17], v[236:237]
	s_wait_loadcnt 0x0
	v_add_f64_e32 v[18:19], v[24:25], v[18:19]
	scratch_load_b64 v[24:25], off, off offset:192 th:TH_LOAD_LU ; 8-byte Folded Reload
	v_add_f64_e32 v[18:19], v[174:175], v[18:19]
	s_delay_alu instid0(VALU_DEP_1) | instskip(NEXT) | instid1(VALU_DEP_1)
	v_add_f64_e32 v[18:19], v[104:105], v[18:19]
	v_add_f64_e32 v[18:19], v[76:77], v[18:19]
	s_wait_loadcnt 0x0
	v_add_f64_e32 v[20:21], v[20:21], v[24:25]
	scratch_load_b64 v[24:25], off, off offset:208 th:TH_LOAD_LU ; 8-byte Folded Reload
	v_add_f64_e32 v[20:21], v[20:21], v[176:177]
	s_delay_alu instid0(VALU_DEP_1) | instskip(NEXT) | instid1(VALU_DEP_1)
	v_add_f64_e32 v[20:21], v[20:21], v[102:103]
	v_add_f64_e32 v[20:21], v[20:21], v[78:79]
	s_wait_loadcnt 0x0
	v_add_f64_e32 v[22:23], v[24:25], v[22:23]
	s_clause 0x1
	scratch_load_b64 v[24:25], off, off offset:8 th:TH_LOAD_LU
	scratch_load_b64 v[28:29], off, off offset:216 th:TH_LOAD_LU
	v_add_f64_e32 v[22:23], v[178:179], v[22:23]
	s_delay_alu instid0(VALU_DEP_1) | instskip(NEXT) | instid1(VALU_DEP_1)
	v_add_f64_e32 v[22:23], v[100:101], v[22:23]
	v_add_f64_e32 v[22:23], v[80:81], v[22:23]
	s_wait_loadcnt 0x0
	v_add_f64_e32 v[24:25], v[24:25], v[28:29]
	scratch_load_b64 v[28:29], off, off offset:224 th:TH_LOAD_LU ; 8-byte Folded Reload
	v_add_f64_e32 v[24:25], v[24:25], v[180:181]
	s_delay_alu instid0(VALU_DEP_1) | instskip(NEXT) | instid1(VALU_DEP_1)
	v_add_f64_e32 v[24:25], v[24:25], v[98:99]
	v_add_f64_e32 v[24:25], v[24:25], v[82:83]
	s_wait_loadcnt 0x0
	v_add_f64_e32 v[26:27], v[28:29], v[26:27]
	s_clause 0x1
	scratch_load_b64 v[28:29], off, off th:TH_LOAD_LU
	scratch_load_b64 v[34:35], off, off offset:232 th:TH_LOAD_LU
	v_add_f64_e32 v[26:27], v[182:183], v[26:27]
	v_add_f64_e32 v[182:183], v[48:49], v[134:135]
	s_delay_alu instid0(VALU_DEP_2) | instskip(NEXT) | instid1(VALU_DEP_1)
	v_add_f64_e32 v[26:27], v[96:97], v[26:27]
	v_add_f64_e32 v[26:27], v[84:85], v[26:27]
	s_wait_loadcnt 0x0
	v_add_f64_e32 v[28:29], v[28:29], v[34:35]
	scratch_load_b64 v[34:35], off, off offset:240 th:TH_LOAD_LU ; 8-byte Folded Reload
	v_add_f64_e32 v[28:29], v[28:29], v[184:185]
	s_delay_alu instid0(VALU_DEP_1) | instskip(NEXT) | instid1(VALU_DEP_1)
	v_add_f64_e32 v[28:29], v[28:29], v[94:95]
	v_add_f64_e32 v[28:29], v[28:29], v[86:87]
	s_wait_loadcnt 0x0
	v_add_f64_e32 v[30:31], v[34:35], v[30:31]
	scratch_load_b64 v[34:35], off, off offset:248 th:TH_LOAD_LU ; 8-byte Folded Reload
	v_add_f64_e32 v[30:31], v[186:187], v[30:31]
	s_delay_alu instid0(VALU_DEP_1) | instskip(NEXT) | instid1(VALU_DEP_1)
	v_add_f64_e32 v[30:31], v[92:93], v[30:31]
	v_add_f64_e32 v[30:31], v[238:239], v[30:31]
	s_wait_loadcnt 0x0
	v_add_f64_e32 v[32:33], v[32:33], v[34:35]
	scratch_load_b64 v[34:35], off, off offset:256 th:TH_LOAD_LU ; 8-byte Folded Reload
	v_add_f64_e32 v[32:33], v[32:33], v[188:189]
	s_delay_alu instid0(VALU_DEP_1) | instskip(NEXT) | instid1(VALU_DEP_1)
	v_add_f64_e32 v[32:33], v[32:33], v[90:91]
	v_add_f64_e32 v[178:179], v[32:33], v[240:241]
	s_wait_loadcnt 0x0
	v_add_f64_e32 v[72:73], v[34:35], v[72:73]
	scratch_load_b64 v[34:35], off, off offset:264 th:TH_LOAD_LU ; 8-byte Folded Reload
	v_add_f64_e32 v[72:73], v[190:191], v[72:73]
	s_wait_loadcnt 0x0
	v_add_f64_e32 v[254:255], v[254:255], v[34:35]
	scratch_load_b64 v[34:35], off, off offset:272 th:TH_LOAD_LU ; 8-byte Folded Reload
	v_add_f64_e32 v[156:157], v[254:255], v[192:193]
	s_delay_alu instid0(VALU_DEP_1) | instskip(NEXT) | instid1(VALU_DEP_1)
	v_add_f64_e32 v[38:39], v[156:157], v[38:39]
	v_add_f64_e32 v[254:255], v[38:39], v[212:213]
	s_wait_loadcnt 0x0
	v_add_f64_e32 v[208:209], v[34:35], v[206:207]
	s_clause 0x1
	scratch_load_b64 v[34:35], off, off offset:200 th:TH_LOAD_LU
	scratch_load_b64 v[138:139], off, off offset:280 th:TH_LOAD_LU
	v_add_f64_e32 v[158:159], v[194:195], v[208:209]
	v_add_f64_e32 v[208:209], v[52:53], v[130:131]
	s_delay_alu instid0(VALU_DEP_2)
	v_add_f64_e32 v[40:41], v[40:41], v[158:159]
	s_wait_loadcnt 0x0
	v_add_f64_e32 v[206:207], v[34:35], v[138:139]
	s_clause 0x1
	scratch_load_b64 v[34:35], off, off offset:40 th:TH_LOAD_LU
	scratch_load_b64 v[138:139], off, off offset:288 th:TH_LOAD_LU
	v_add_f64_e32 v[160:161], v[206:207], v[196:197]
	v_add_f64_e32 v[206:207], v[214:215], v[40:41]
	s_delay_alu instid0(VALU_DEP_2) | instskip(NEXT) | instid1(VALU_DEP_1)
	v_add_f64_e32 v[42:43], v[160:161], v[42:43]
	v_add_f64_e32 v[144:145], v[42:43], v[216:217]
	s_wait_loadcnt 0x0
	v_add_f64_e32 v[34:35], v[138:139], v[34:35]
	scratch_load_b64 v[138:139], off, off offset:296 th:TH_LOAD_LU ; 8-byte Folded Reload
	v_add_f64_e32 v[34:35], v[198:199], v[34:35]
	s_delay_alu instid0(VALU_DEP_1)
	v_add_f64_e32 v[34:35], v[44:45], v[34:35]
	s_wait_loadcnt 0x0
	v_add_f64_e32 v[74:75], v[74:75], v[138:139]
	s_clause 0x2
	scratch_load_b64 v[138:139], off, off offset:32 th:TH_LOAD_LU
	scratch_load_b64 v[140:141], off, off offset:304 th:TH_LOAD_LU
	;; [unrolled: 1-line block ×3, first 2 shown]
	v_add_f64_e32 v[74:75], v[74:75], v[200:201]
	s_delay_alu instid0(VALU_DEP_1) | instskip(NEXT) | instid1(VALU_DEP_1)
	v_add_f64_e32 v[44:45], v[74:75], v[46:47]
	v_add_f64_e32 v[74:75], v[44:45], v[220:221]
	s_wait_loadcnt 0x1
	v_add_f64_e32 v[138:139], v[140:141], v[138:139]
	s_clause 0x2
	scratch_load_b64 v[140:141], off, off offset:312 th:TH_LOAD_LU
	scratch_load_b32 v135, off, off offset:332
	scratch_load_b32 v134, off, off offset:328
	s_clause 0x1
	scratch_store_b64 off, v[24:25], off offset:8
	scratch_store_b64 off, v[28:29], off
	s_clause 0x1
	scratch_load_b64 v[24:25], off, off offset:16 th:TH_LOAD_LU
	scratch_load_b64 v[32:33], off, off offset:24 th:TH_LOAD_LU
	s_wait_loadcnt 0x0
	s_wait_storecnt 0x0
	s_barrier_signal -1
	s_barrier_wait -1
	global_inv scope:SCOPE_SE
	v_add_f64_e32 v[0:1], v[0:1], v[36:37]
	v_add_f64_e32 v[36:37], v[88:89], v[72:73]
	;; [unrolled: 1-line block ×3, first 2 shown]
	s_delay_alu instid0(VALU_DEP_3) | instskip(NEXT) | instid1(VALU_DEP_3)
	v_add_f64_e32 v[0:1], v[0:1], v[162:163]
	v_add_f64_e32 v[72:73], v[210:211], v[36:37]
	s_delay_alu instid0(VALU_DEP_3) | instskip(NEXT) | instid1(VALU_DEP_3)
	v_add_f64_e32 v[46:47], v[230:231], v[138:139]
	v_add_f64_e32 v[0:1], v[0:1], v[224:225]
	s_delay_alu instid0(VALU_DEP_2)
	v_add_f64_e32 v[138:139], v[226:227], v[46:47]
	v_add_f64_e32 v[140:141], v[228:229], v[140:141]
	v_add_co_u32 v24, s1, v24, 64
	s_wait_alu 0xf1ff
	v_add_co_ci_u32_e64 v25, null, 0, v25, s1
	s_wait_alu 0xfffe
	v_cmp_lt_i64_e64 s1, s[24:25], s[36:37]
	v_add_co_u32 v32, vcc_lo, v32, s12
	s_wait_alu 0xfffd
	v_add_co_ci_u32_e64 v33, null, s13, v33, vcc_lo
	s_and_b32 vcc_lo, exec_lo, s1
	v_add_f64_e32 v[136:137], v[140:141], v[136:137]
	v_add_f64_e32 v[140:141], v[218:219], v[34:35]
	s_delay_alu instid0(VALU_DEP_2)
	v_add_f64_e32 v[180:181], v[136:137], v[232:233]
	s_wait_alu 0xfffe
	s_cbranch_vccnz .LBB122_5
	s_branch .LBB122_7
.LBB122_6:                              ;   in Loop: Header=BB122_3 Depth=1
	v_mov_b32_e32 v24, 0
	v_dual_mov_b32 v28, 0 :: v_dual_mov_b32 v25, 0
	v_dual_mov_b32 v26, 0 :: v_dual_mov_b32 v29, 0
	v_mov_b32_e32 v30, 0
	v_mov_b32_e32 v180, 0
	v_mov_b32_e32 v172, 0
	v_mov_b32_e32 v246, 0
	v_mov_b32_e32 v250, 0
	v_mov_b32_e32 v0, 0
	v_mov_b32_e32 v4, 0
	v_mov_b32_e32 v8, 0
	v_mov_b32_e32 v12, 0
	v_mov_b32_e32 v16, 0
	v_mov_b32_e32 v20, 0
	v_mov_b32_e32 v178, 0
	v_mov_b32_e32 v254, 0
	v_mov_b32_e32 v144, 0
	v_dual_mov_b32 v74, 0 :: v_dual_mov_b32 v181, 0
	v_dual_mov_b32 v182, 0 :: v_dual_mov_b32 v173, 0
	;; [unrolled: 1-line block ×15, first 2 shown]
	v_mov_b32_e32 v209, 0
	v_mov_b32_e32 v249, 0
	;; [unrolled: 1-line block ×9, first 2 shown]
	s_clause 0x1
	scratch_store_b64 off, v[24:25], off offset:8
	scratch_store_b64 off, v[28:29], off
	v_mov_b32_e32 v27, 0
	v_mov_b32_e32 v31, 0
	;; [unrolled: 1-line block ×6, first 2 shown]
.LBB122_7:                              ;   in Loop: Header=BB122_3 Depth=1
	s_mul_u64 s[24:25], s[20:21], s[2:3]
	v_dual_mov_b32 v153, v23 :: v_dual_mov_b32 v152, v22
	v_dual_mov_b32 v151, v27 :: v_dual_mov_b32 v150, v26
	;; [unrolled: 1-line block ×14, first 2 shown]
	s_wait_alu 0xfffe
	s_lshl_b64 s[24:25], s[24:25], 4
	s_and_not1_b32 vcc_lo, exec_lo, s27
	s_wait_alu 0xfffe
	s_add_nc_u64 s[24:25], s[16:17], s[24:25]
	s_mov_b32 s1, -1
                                        ; implicit-def: $vgpr72_vgpr73
                                        ; implicit-def: $vgpr74_vgpr75
	s_cbranch_vccz .LBB122_9
; %bb.8:                                ;   in Loop: Header=BB122_3 Depth=1
	s_wait_alu 0xfffe
	s_and_not1_b32 vcc_lo, exec_lo, s1
	s_wait_alu 0xfffe
	s_cbranch_vccnz .LBB122_2
	s_branch .LBB122_10
.LBB122_9:                              ;   in Loop: Header=BB122_3 Depth=1
	v_mul_f64_e32 v[10:11], s[38:39], v[248:249]
	v_dual_mov_b32 v18, v170 :: v_dual_mov_b32 v19, v171
	v_dual_mov_b32 v65, v17 :: v_dual_mov_b32 v64, v16
	v_mul_f64_e32 v[12:13], s[40:41], v[252:253]
	s_clause 0x1
	scratch_load_b64 v[32:33], off, off offset:336
	scratch_load_b64 v[34:35], off, off offset:344
	v_mul_f64_e32 v[16:17], s[40:41], v[18:19]
	v_mul_f64_e32 v[18:19], s[38:39], v[18:19]
	;; [unrolled: 1-line block ×7, first 2 shown]
	v_dual_mov_b32 v22, v166 :: v_dual_mov_b32 v23, v167
	v_dual_mov_b32 v63, v21 :: v_dual_mov_b32 v62, v20
	;; [unrolled: 1-line block ×3, first 2 shown]
	s_delay_alu instid0(VALU_DEP_3)
	v_mul_f64_e32 v[20:21], s[40:41], v[22:23]
	v_mul_f64_e32 v[22:23], s[38:39], v[22:23]
	v_dual_mov_b32 v38, v154 :: v_dual_mov_b32 v39, v155
	v_dual_mov_b32 v46, v150 :: v_dual_mov_b32 v47, v151
	;; [unrolled: 1-line block ×3, first 2 shown]
	v_mul_f64_e32 v[14:15], s[38:39], v[252:253]
	v_mul_f64_e32 v[24:25], s[40:41], v[26:27]
	;; [unrolled: 1-line block ×3, first 2 shown]
	v_dual_mov_b32 v30, v158 :: v_dual_mov_b32 v31, v159
	v_dual_mov_b32 v42, v152 :: v_dual_mov_b32 v43, v153
	;; [unrolled: 1-line block ×3, first 2 shown]
	v_fma_f64 v[84:85], s[40:41], v[246:247], v[10:11]
	v_dual_mov_b32 v10, v168 :: v_dual_mov_b32 v11, v169
	v_mul_f64_e32 v[36:37], s[40:41], v[38:39]
	v_mul_f64_e32 v[38:39], s[38:39], v[38:39]
	v_fma_f64 v[86:87], s[38:39], v[250:251], -v[12:13]
	scratch_load_b64 v[12:13], off, off     ; 8-byte Folded Reload
	v_mul_f64_e32 v[44:45], s[40:41], v[46:47]
	v_mul_f64_e32 v[46:47], s[38:39], v[46:47]
	v_fma_f64 v[92:93], s[40:41], v[10:11], v[18:19]
	scratch_load_b64 v[18:19], off, off offset:8 ; 8-byte Folded Reload
	v_fma_f64 v[76:77], s[40:41], v[180:181], v[2:3]
	v_mul_f64_e32 v[2:3], s[40:41], v[140:141]
	v_mul_f64_e32 v[52:53], s[40:41], v[54:55]
	;; [unrolled: 1-line block ×3, first 2 shown]
	v_fma_f64 v[78:79], s[38:39], v[172:173], -v[4:5]
	v_fma_f64 v[82:83], s[38:39], v[246:247], -v[8:9]
	v_mul_f64_e32 v[4:5], s[38:39], v[140:141]
	v_mul_f64_e32 v[8:9], s[38:39], v[138:139]
	;; [unrolled: 1-line block ×9, first 2 shown]
	v_fma_f64 v[74:75], s[38:39], v[180:181], -v[0:1]
	v_fma_f64 v[80:81], s[40:41], v[172:173], v[6:7]
	v_mul_f64_e32 v[0:1], s[38:39], v[206:207]
	v_mul_f64_e32 v[6:7], s[40:41], v[138:139]
	v_fma_f64 v[90:91], s[38:39], v[10:11], -v[16:17]
	v_dual_mov_b32 v10, v164 :: v_dual_mov_b32 v11, v165
	v_dual_mov_b32 v16, v64 :: v_dual_mov_b32 v17, v65
	v_fma_f64 v[88:89], s[40:41], v[250:251], v[14:15]
	s_delay_alu instid0(VALU_DEP_3)
	v_fma_f64 v[94:95], s[38:39], v[10:11], -v[20:21]
	v_fma_f64 v[96:97], s[40:41], v[10:11], v[22:23]
	v_dual_mov_b32 v10, v160 :: v_dual_mov_b32 v11, v161
	v_dual_mov_b32 v20, v62 :: v_dual_mov_b32 v21, v63
	v_fma_f64 v[106:107], s[38:39], v[16:17], -v[36:37]
	v_fma_f64 v[108:109], s[40:41], v[16:17], v[38:39]
	s_delay_alu instid0(VALU_DEP_4)
	v_fma_f64 v[98:99], s[38:39], v[10:11], -v[24:25]
	v_fma_f64 v[100:101], s[40:41], v[10:11], v[26:27]
	v_dual_mov_b32 v10, v156 :: v_dual_mov_b32 v11, v157
	v_fma_f64 v[130:131], s[38:39], v[144:145], -v[2:3]
	v_dual_mov_b32 v2, v136 :: v_dual_mov_b32 v3, v137
	v_fma_f64 v[122:123], s[38:39], v[178:179], -v[52:53]
	v_fma_f64 v[124:125], s[40:41], v[178:179], v[54:55]
	v_fma_f64 v[132:133], s[40:41], v[144:145], v[4:5]
	s_delay_alu instid0(VALU_DEP_4)
	v_fma_f64 v[72:73], s[40:41], v[2:3], v[8:9]
	v_fma_f64 v[102:103], s[38:39], v[10:11], -v[28:29]
	v_fma_f64 v[104:105], s[40:41], v[10:11], v[30:31]
	v_fma_f64 v[110:111], s[38:39], v[20:21], -v[40:41]
	;; [unrolled: 2-line block ×4, first 2 shown]
	s_wait_loadcnt 0x3
	v_lshlrev_b64_e32 v[32:33], 4, v[32:33]
	s_wait_loadcnt 0x2
	v_lshlrev_b64_e32 v[34:35], 4, v[34:35]
	s_wait_alu 0xfffe
	s_delay_alu instid0(VALU_DEP_2) | instskip(SKIP_2) | instid1(VALU_DEP_2)
	v_add_co_u32 v32, vcc_lo, s24, v32
	s_wait_alu 0xfffd
	v_add_co_ci_u32_e64 v33, null, s25, v33, vcc_lo
	v_add_co_u32 v10, vcc_lo, v32, v34
	s_wait_alu 0xfffd
	s_delay_alu instid0(VALU_DEP_2)
	v_add_co_ci_u32_e64 v11, null, v33, v35, vcc_lo
	v_add_co_u32 v14, vcc_lo, v32, s22
	s_wait_alu 0xfffd
	v_add_co_ci_u32_e64 v15, null, s23, v33, vcc_lo
	s_wait_loadcnt 0x1
	v_fma_f64 v[118:119], s[38:39], v[12:13], -v[48:49]
	v_fma_f64 v[120:121], s[40:41], v[12:13], v[50:51]
	v_add_co_u32 v12, vcc_lo, v14, v34
	s_wait_loadcnt 0x0
	v_fma_f64 v[114:115], s[38:39], v[18:19], -v[44:45]
	v_fma_f64 v[116:117], s[40:41], v[18:19], v[46:47]
	s_wait_alu 0xfffd
	v_add_co_ci_u32_e64 v13, null, v15, v35, vcc_lo
	v_add_co_u32 v4, vcc_lo, v14, s22
	s_wait_alu 0xfffd
	v_add_co_ci_u32_e64 v5, null, s23, v15, vcc_lo
	s_clause 0x5
	global_store_b128 v[10:11], v[74:77], off
	global_store_b128 v[10:11], v[78:81], off offset:256
	global_store_b128 v[10:11], v[82:85], off offset:512
	global_store_b128 v[10:11], v[86:89], off offset:768
	global_store_b128 v[12:13], v[90:93], off
	global_store_b128 v[12:13], v[94:97], off offset:256
	v_add_co_u32 v2, vcc_lo, v4, v34
	s_wait_alu 0xfffd
	v_add_co_ci_u32_e64 v3, null, v5, v35, vcc_lo
	v_add_co_u32 v4, vcc_lo, v4, s22
	s_wait_alu 0xfffd
	v_add_co_ci_u32_e64 v5, null, s23, v5, vcc_lo
	s_clause 0x1
	global_store_b128 v[12:13], v[98:101], off offset:512
	global_store_b128 v[12:13], v[102:105], off offset:768
	v_add_co_u32 v4, vcc_lo, v4, v34
	s_wait_alu 0xfffd
	v_add_co_ci_u32_e64 v5, null, v5, v35, vcc_lo
	s_clause 0x1
	global_store_b128 v[2:3], v[106:109], off
	global_store_b128 v[2:3], v[110:113], off offset:256
	v_add_co_u32 v74, vcc_lo, 0x300, v4
	s_wait_alu 0xfffd
	v_add_co_ci_u32_e64 v75, null, 0, v5, vcc_lo
	s_clause 0x5
	global_store_b128 v[2:3], v[114:117], off offset:512
	global_store_b128 v[2:3], v[118:121], off offset:768
	global_store_b128 v[4:5], v[122:125], off
	global_store_b128 v[4:5], v[126:129], off offset:256
	global_store_b128 v[4:5], v[130:133], off offset:512
	global_store_b64 v[4:5], v[0:1], off offset:768
	s_cbranch_execnz .LBB122_2
.LBB122_10:                             ;   in Loop: Header=BB122_3 Depth=1
	s_clause 0x1
	scratch_load_b64 v[0:1], off, off offset:344
	scratch_load_b32 v2, off, off offset:368
	s_mul_u64 s[28:29], s[14:15], s[2:3]
	v_mul_f64_e32 v[4:5], s[40:41], v[182:183]
	s_wait_alu 0xfffe
	s_lshl_b64 s[28:29], s[28:29], 4
	v_mul_f64_e32 v[6:7], s[38:39], v[182:183]
	v_dual_mov_b32 v19, v17 :: v_dual_mov_b32 v18, v16
	s_delay_alu instid0(VALU_DEP_3) | instskip(NEXT) | instid1(VALU_DEP_3)
	v_fma_f64 v[4:5], s[38:39], v[180:181], -v[4:5]
	v_fma_f64 v[6:7], s[40:41], v[180:181], v[6:7]
	s_wait_loadcnt 0x1
	v_lshlrev_b64_e32 v[0:1], 4, v[0:1]
	s_wait_loadcnt 0x0
	s_wait_alu 0xfffe
	v_add_co_u32 v14, vcc_lo, v2, s28
	scratch_load_b32 v2, off, off offset:372 ; 4-byte Folded Reload
	s_wait_loadcnt 0x0
	s_wait_alu 0xfffd
	v_add_co_ci_u32_e64 v15, null, s29, v2, vcc_lo
	v_add_co_u32 v2, vcc_lo, v14, v0
	s_wait_alu 0xfffd
	s_delay_alu instid0(VALU_DEP_2) | instskip(SKIP_4) | instid1(VALU_DEP_2)
	v_add_co_ci_u32_e64 v3, null, v15, v1, vcc_lo
	global_load_b128 v[72:75], v[2:3], off
	s_wait_loadcnt 0x0
	v_mul_f64_e32 v[8:9], s[8:9], v[74:75]
	v_mul_f64_e32 v[10:11], s[6:7], v[74:75]
	v_fma_f64 v[8:9], s[6:7], v[72:73], -v[8:9]
	s_delay_alu instid0(VALU_DEP_2) | instskip(NEXT) | instid1(VALU_DEP_2)
	v_fma_f64 v[10:11], s[8:9], v[72:73], v[10:11]
	v_add_f64_e32 v[68:69], v[4:5], v[8:9]
	scratch_load_b64 v[4:5], off, off offset:336 ; 8-byte Folded Reload
	v_add_f64_e32 v[70:71], v[6:7], v[10:11]
	v_mul_f64_e32 v[6:7], s[40:41], v[208:209]
	v_mul_f64_e32 v[8:9], s[38:39], v[208:209]
	s_delay_alu instid0(VALU_DEP_2) | instskip(NEXT) | instid1(VALU_DEP_2)
	v_fma_f64 v[6:7], s[38:39], v[172:173], -v[6:7]
	v_fma_f64 v[8:9], s[40:41], v[172:173], v[8:9]
	s_wait_loadcnt 0x0
	v_lshlrev_b64_e32 v[4:5], 4, v[4:5]
	s_delay_alu instid0(VALU_DEP_1) | instskip(SKIP_1) | instid1(VALU_DEP_2)
	v_add_co_u32 v16, vcc_lo, s24, v4
	s_wait_alu 0xfffd
	v_add_co_ci_u32_e64 v17, null, s25, v5, vcc_lo
	s_delay_alu instid0(VALU_DEP_2) | instskip(SKIP_1) | instid1(VALU_DEP_2)
	v_add_co_u32 v4, vcc_lo, v16, v0
	s_wait_alu 0xfffd
	v_add_co_ci_u32_e64 v5, null, v17, v1, vcc_lo
	v_add_co_u32 v14, vcc_lo, v14, s18
	s_wait_alu 0xfffd
	v_add_co_ci_u32_e64 v15, null, s19, v15, vcc_lo
	global_store_b128 v[4:5], v[68:71], off
	global_load_b128 v[68:71], v[2:3], off offset:256
	s_wait_loadcnt 0x0
	v_mul_f64_e32 v[10:11], s[8:9], v[70:71]
	v_mul_f64_e32 v[12:13], s[6:7], v[70:71]
	s_delay_alu instid0(VALU_DEP_2) | instskip(NEXT) | instid1(VALU_DEP_2)
	v_fma_f64 v[10:11], s[6:7], v[68:69], -v[10:11]
	v_fma_f64 v[12:13], s[8:9], v[68:69], v[12:13]
	s_delay_alu instid0(VALU_DEP_2) | instskip(NEXT) | instid1(VALU_DEP_2)
	v_add_f64_e32 v[64:65], v[6:7], v[10:11]
	v_add_f64_e32 v[66:67], v[8:9], v[12:13]
	v_mul_f64_e32 v[6:7], s[40:41], v[248:249]
	v_mul_f64_e32 v[8:9], s[38:39], v[248:249]
	global_store_b128 v[4:5], v[64:67], off offset:256
	global_load_b128 v[64:67], v[2:3], off offset:512
	v_fma_f64 v[6:7], s[38:39], v[246:247], -v[6:7]
	v_fma_f64 v[8:9], s[40:41], v[246:247], v[8:9]
	s_wait_loadcnt 0x0
	v_mul_f64_e32 v[10:11], s[8:9], v[66:67]
	v_mul_f64_e32 v[12:13], s[6:7], v[66:67]
	s_delay_alu instid0(VALU_DEP_2) | instskip(NEXT) | instid1(VALU_DEP_2)
	v_fma_f64 v[10:11], s[6:7], v[64:65], -v[10:11]
	v_fma_f64 v[12:13], s[8:9], v[64:65], v[12:13]
	s_delay_alu instid0(VALU_DEP_2) | instskip(NEXT) | instid1(VALU_DEP_2)
	v_add_f64_e32 v[60:61], v[6:7], v[10:11]
	v_add_f64_e32 v[62:63], v[8:9], v[12:13]
	v_mul_f64_e32 v[6:7], s[38:39], v[252:253]
	global_store_b128 v[4:5], v[60:63], off offset:512
	global_load_b128 v[60:63], v[2:3], off offset:768
	v_mul_f64_e32 v[2:3], s[40:41], v[252:253]
	v_fma_f64 v[6:7], s[40:41], v[250:251], v[6:7]
	s_delay_alu instid0(VALU_DEP_2) | instskip(SKIP_3) | instid1(VALU_DEP_2)
	v_fma_f64 v[2:3], s[38:39], v[250:251], -v[2:3]
	s_wait_loadcnt 0x0
	v_mul_f64_e32 v[8:9], s[8:9], v[62:63]
	v_mul_f64_e32 v[10:11], s[6:7], v[62:63]
	v_fma_f64 v[8:9], s[6:7], v[60:61], -v[8:9]
	s_delay_alu instid0(VALU_DEP_2) | instskip(NEXT) | instid1(VALU_DEP_2)
	v_fma_f64 v[10:11], s[8:9], v[60:61], v[10:11]
	v_add_f64_e32 v[56:57], v[2:3], v[8:9]
	s_delay_alu instid0(VALU_DEP_2)
	v_add_f64_e32 v[58:59], v[6:7], v[10:11]
	v_add_co_u32 v2, vcc_lo, v14, v0
	s_wait_alu 0xfffd
	v_add_co_ci_u32_e64 v3, null, v15, v1, vcc_lo
	v_mul_f64_e32 v[6:7], s[38:39], v[170:171]
	v_add_co_u32 v16, vcc_lo, v16, s22
	s_wait_alu 0xfffd
	v_add_co_ci_u32_e64 v17, null, s23, v17, vcc_lo
	global_store_b128 v[4:5], v[56:59], off offset:768
	global_load_b128 v[56:59], v[2:3], off
	v_mul_f64_e32 v[4:5], s[40:41], v[170:171]
	v_fma_f64 v[6:7], s[40:41], v[168:169], v[6:7]
	s_delay_alu instid0(VALU_DEP_2) | instskip(SKIP_3) | instid1(VALU_DEP_2)
	v_fma_f64 v[4:5], s[38:39], v[168:169], -v[4:5]
	s_wait_loadcnt 0x0
	v_mul_f64_e32 v[8:9], s[8:9], v[58:59]
	v_mul_f64_e32 v[10:11], s[6:7], v[58:59]
	v_fma_f64 v[8:9], s[6:7], v[56:57], -v[8:9]
	s_delay_alu instid0(VALU_DEP_2) | instskip(NEXT) | instid1(VALU_DEP_2)
	v_fma_f64 v[10:11], s[8:9], v[56:57], v[10:11]
	v_add_f64_e32 v[52:53], v[4:5], v[8:9]
	s_delay_alu instid0(VALU_DEP_2)
	v_add_f64_e32 v[54:55], v[6:7], v[10:11]
	v_add_co_u32 v4, vcc_lo, v16, v0
	s_wait_alu 0xfffd
	v_add_co_ci_u32_e64 v5, null, v17, v1, vcc_lo
	v_mul_f64_e32 v[6:7], s[40:41], v[166:167]
	v_mul_f64_e32 v[8:9], s[38:39], v[166:167]
	v_add_co_u32 v14, vcc_lo, v14, s18
	s_wait_alu 0xfffd
	v_add_co_ci_u32_e64 v15, null, s19, v15, vcc_lo
	global_store_b128 v[4:5], v[52:55], off
	global_load_b128 v[52:55], v[2:3], off offset:256
	v_fma_f64 v[6:7], s[38:39], v[164:165], -v[6:7]
	v_fma_f64 v[8:9], s[40:41], v[164:165], v[8:9]
	s_wait_loadcnt 0x0
	v_mul_f64_e32 v[10:11], s[8:9], v[54:55]
	v_mul_f64_e32 v[12:13], s[6:7], v[54:55]
	s_delay_alu instid0(VALU_DEP_2) | instskip(NEXT) | instid1(VALU_DEP_2)
	v_fma_f64 v[10:11], s[6:7], v[52:53], -v[10:11]
	v_fma_f64 v[12:13], s[8:9], v[52:53], v[12:13]
	s_delay_alu instid0(VALU_DEP_2) | instskip(NEXT) | instid1(VALU_DEP_2)
	v_add_f64_e32 v[48:49], v[6:7], v[10:11]
	v_add_f64_e32 v[50:51], v[8:9], v[12:13]
	v_mul_f64_e32 v[6:7], s[40:41], v[162:163]
	v_mul_f64_e32 v[8:9], s[38:39], v[162:163]
	global_store_b128 v[4:5], v[48:51], off offset:256
	global_load_b128 v[48:51], v[2:3], off offset:512
	v_fma_f64 v[6:7], s[38:39], v[160:161], -v[6:7]
	v_fma_f64 v[8:9], s[40:41], v[160:161], v[8:9]
	s_wait_loadcnt 0x0
	v_mul_f64_e32 v[10:11], s[8:9], v[50:51]
	v_mul_f64_e32 v[12:13], s[6:7], v[50:51]
	s_delay_alu instid0(VALU_DEP_2) | instskip(NEXT) | instid1(VALU_DEP_2)
	v_fma_f64 v[10:11], s[6:7], v[48:49], -v[10:11]
	v_fma_f64 v[12:13], s[8:9], v[48:49], v[12:13]
	s_delay_alu instid0(VALU_DEP_2) | instskip(NEXT) | instid1(VALU_DEP_2)
	v_add_f64_e32 v[44:45], v[6:7], v[10:11]
	v_add_f64_e32 v[46:47], v[8:9], v[12:13]
	v_mul_f64_e32 v[6:7], s[38:39], v[158:159]
	global_store_b128 v[4:5], v[44:47], off offset:512
	global_load_b128 v[44:47], v[2:3], off offset:768
	v_mul_f64_e32 v[2:3], s[40:41], v[158:159]
	v_fma_f64 v[6:7], s[40:41], v[156:157], v[6:7]
	s_delay_alu instid0(VALU_DEP_2) | instskip(SKIP_3) | instid1(VALU_DEP_2)
	v_fma_f64 v[2:3], s[38:39], v[156:157], -v[2:3]
	s_wait_loadcnt 0x0
	v_mul_f64_e32 v[8:9], s[8:9], v[46:47]
	v_mul_f64_e32 v[10:11], s[6:7], v[46:47]
	v_fma_f64 v[8:9], s[6:7], v[44:45], -v[8:9]
	s_delay_alu instid0(VALU_DEP_2) | instskip(NEXT) | instid1(VALU_DEP_2)
	v_fma_f64 v[10:11], s[8:9], v[44:45], v[10:11]
	v_add_f64_e32 v[40:41], v[2:3], v[8:9]
	s_delay_alu instid0(VALU_DEP_2)
	v_add_f64_e32 v[42:43], v[6:7], v[10:11]
	v_add_co_u32 v2, vcc_lo, v14, v0
	s_wait_alu 0xfffd
	v_add_co_ci_u32_e64 v3, null, v15, v1, vcc_lo
	v_mul_f64_e32 v[6:7], s[38:39], v[154:155]
	v_add_co_u32 v16, vcc_lo, v16, s22
	s_wait_alu 0xfffd
	v_add_co_ci_u32_e64 v17, null, s23, v17, vcc_lo
	global_store_b128 v[4:5], v[40:43], off offset:768
	global_load_b128 v[40:43], v[2:3], off
	v_mul_f64_e32 v[4:5], s[40:41], v[154:155]
	v_fma_f64 v[6:7], s[40:41], v[18:19], v[6:7]
	s_delay_alu instid0(VALU_DEP_2) | instskip(SKIP_4) | instid1(VALU_DEP_2)
	v_fma_f64 v[4:5], s[38:39], v[18:19], -v[4:5]
	scratch_load_b64 v[18:19], off, off offset:8 th:TH_LOAD_LU ; 8-byte Folded Reload
	s_wait_loadcnt 0x1
	v_mul_f64_e32 v[8:9], s[8:9], v[42:43]
	v_mul_f64_e32 v[10:11], s[6:7], v[42:43]
	v_fma_f64 v[8:9], s[6:7], v[40:41], -v[8:9]
	s_delay_alu instid0(VALU_DEP_2) | instskip(NEXT) | instid1(VALU_DEP_2)
	v_fma_f64 v[10:11], s[8:9], v[40:41], v[10:11]
	v_add_f64_e32 v[36:37], v[4:5], v[8:9]
	s_delay_alu instid0(VALU_DEP_2)
	v_add_f64_e32 v[38:39], v[6:7], v[10:11]
	v_add_co_u32 v4, vcc_lo, v16, v0
	s_wait_alu 0xfffd
	v_add_co_ci_u32_e64 v5, null, v17, v1, vcc_lo
	v_mul_f64_e32 v[6:7], s[40:41], v[152:153]
	v_mul_f64_e32 v[8:9], s[38:39], v[152:153]
	global_store_b128 v[4:5], v[36:39], off
	global_load_b128 v[36:39], v[2:3], off offset:256
	v_fma_f64 v[6:7], s[38:39], v[20:21], -v[6:7]
	v_fma_f64 v[8:9], s[40:41], v[20:21], v[8:9]
	s_wait_loadcnt 0x0
	v_mul_f64_e32 v[10:11], s[8:9], v[38:39]
	v_mul_f64_e32 v[12:13], s[6:7], v[38:39]
	s_delay_alu instid0(VALU_DEP_2) | instskip(NEXT) | instid1(VALU_DEP_2)
	v_fma_f64 v[10:11], s[6:7], v[36:37], -v[10:11]
	v_fma_f64 v[12:13], s[8:9], v[36:37], v[12:13]
	s_delay_alu instid0(VALU_DEP_2) | instskip(NEXT) | instid1(VALU_DEP_2)
	v_add_f64_e32 v[32:33], v[6:7], v[10:11]
	v_add_f64_e32 v[34:35], v[8:9], v[12:13]
	v_mul_f64_e32 v[6:7], s[40:41], v[150:151]
	v_mul_f64_e32 v[8:9], s[38:39], v[150:151]
	global_store_b128 v[4:5], v[32:35], off offset:256
	global_load_b128 v[32:35], v[2:3], off offset:512
	v_fma_f64 v[6:7], s[38:39], v[18:19], -v[6:7]
	v_fma_f64 v[8:9], s[40:41], v[18:19], v[8:9]
	scratch_load_b64 v[18:19], off, off th:TH_LOAD_LU ; 8-byte Folded Reload
	s_wait_loadcnt 0x1
	v_mul_f64_e32 v[10:11], s[8:9], v[34:35]
	v_mul_f64_e32 v[12:13], s[6:7], v[34:35]
	s_delay_alu instid0(VALU_DEP_2) | instskip(NEXT) | instid1(VALU_DEP_2)
	v_fma_f64 v[10:11], s[6:7], v[32:33], -v[10:11]
	v_fma_f64 v[12:13], s[8:9], v[32:33], v[12:13]
	s_delay_alu instid0(VALU_DEP_2) | instskip(NEXT) | instid1(VALU_DEP_2)
	v_add_f64_e32 v[28:29], v[6:7], v[10:11]
	v_add_f64_e32 v[30:31], v[8:9], v[12:13]
	v_mul_f64_e32 v[6:7], s[38:39], v[148:149]
	global_store_b128 v[4:5], v[28:31], off offset:512
	global_load_b128 v[28:31], v[2:3], off offset:768
	v_mul_f64_e32 v[2:3], s[40:41], v[148:149]
	s_wait_loadcnt 0x1
	v_fma_f64 v[6:7], s[40:41], v[18:19], v[6:7]
	s_delay_alu instid0(VALU_DEP_2) | instskip(SKIP_3) | instid1(VALU_DEP_2)
	v_fma_f64 v[2:3], s[38:39], v[18:19], -v[2:3]
	s_wait_loadcnt 0x0
	v_mul_f64_e32 v[8:9], s[8:9], v[30:31]
	v_mul_f64_e32 v[10:11], s[6:7], v[30:31]
	v_fma_f64 v[8:9], s[6:7], v[28:29], -v[8:9]
	s_delay_alu instid0(VALU_DEP_2) | instskip(NEXT) | instid1(VALU_DEP_2)
	v_fma_f64 v[10:11], s[8:9], v[28:29], v[10:11]
	v_add_f64_e32 v[24:25], v[2:3], v[8:9]
	s_delay_alu instid0(VALU_DEP_2) | instskip(SKIP_4) | instid1(VALU_DEP_3)
	v_add_f64_e32 v[26:27], v[6:7], v[10:11]
	v_add_co_u32 v2, vcc_lo, v14, s18
	s_wait_alu 0xfffd
	v_add_co_ci_u32_e64 v3, null, s19, v15, vcc_lo
	v_mul_f64_e32 v[6:7], s[38:39], v[146:147]
	v_add_co_u32 v2, vcc_lo, v2, v0
	s_wait_alu 0xfffd
	s_delay_alu instid0(VALU_DEP_3) | instskip(SKIP_4) | instid1(VALU_DEP_2)
	v_add_co_ci_u32_e64 v3, null, v3, v1, vcc_lo
	global_store_b128 v[4:5], v[24:27], off offset:768
	global_load_b128 v[24:27], v[2:3], off
	v_mul_f64_e32 v[4:5], s[40:41], v[146:147]
	v_fma_f64 v[6:7], s[40:41], v[178:179], v[6:7]
	v_fma_f64 v[4:5], s[38:39], v[178:179], -v[4:5]
	s_wait_loadcnt 0x0
	v_mul_f64_e32 v[8:9], s[8:9], v[26:27]
	v_mul_f64_e32 v[10:11], s[6:7], v[26:27]
	s_delay_alu instid0(VALU_DEP_2) | instskip(NEXT) | instid1(VALU_DEP_2)
	v_fma_f64 v[8:9], s[6:7], v[24:25], -v[8:9]
	v_fma_f64 v[10:11], s[8:9], v[24:25], v[10:11]
	s_delay_alu instid0(VALU_DEP_2) | instskip(NEXT) | instid1(VALU_DEP_2)
	v_add_f64_e32 v[20:21], v[4:5], v[8:9]
	v_add_f64_e32 v[22:23], v[6:7], v[10:11]
	v_add_co_u32 v4, vcc_lo, v16, s22
	s_wait_alu 0xfffd
	v_add_co_ci_u32_e64 v5, null, s23, v17, vcc_lo
	v_mul_f64_e32 v[6:7], s[38:39], v[206:207]
	s_delay_alu instid0(VALU_DEP_3) | instskip(SKIP_1) | instid1(VALU_DEP_3)
	v_add_co_u32 v0, vcc_lo, v4, v0
	s_wait_alu 0xfffd
	v_add_co_ci_u32_e64 v1, null, v5, v1, vcc_lo
	v_mul_f64_e32 v[4:5], s[40:41], v[206:207]
	s_delay_alu instid0(VALU_DEP_3) | instskip(SKIP_1) | instid1(VALU_DEP_3)
	v_add_co_u32 v74, vcc_lo, 0x300, v0
	s_wait_alu 0xfffd
	v_add_co_ci_u32_e64 v75, null, 0, v1, vcc_lo
	global_store_b128 v[0:1], v[20:23], off
	global_load_b128 v[20:23], v[2:3], off offset:256
	v_fma_f64 v[6:7], s[40:41], v[254:255], v[6:7]
	v_fma_f64 v[4:5], s[38:39], v[254:255], -v[4:5]
	s_wait_loadcnt 0x0
	v_mul_f64_e32 v[8:9], s[8:9], v[22:23]
	v_mul_f64_e32 v[10:11], s[6:7], v[22:23]
	s_delay_alu instid0(VALU_DEP_2) | instskip(NEXT) | instid1(VALU_DEP_2)
	v_fma_f64 v[8:9], s[6:7], v[20:21], -v[8:9]
	v_fma_f64 v[10:11], s[8:9], v[20:21], v[10:11]
	s_delay_alu instid0(VALU_DEP_2) | instskip(NEXT) | instid1(VALU_DEP_2)
	v_add_f64_e32 v[16:17], v[4:5], v[8:9]
	v_add_f64_e32 v[18:19], v[6:7], v[10:11]
	v_mul_f64_e32 v[4:5], s[40:41], v[140:141]
	v_mul_f64_e32 v[6:7], s[38:39], v[140:141]
	global_store_b128 v[0:1], v[16:19], off offset:256
	global_load_b128 v[16:19], v[2:3], off offset:512
	v_fma_f64 v[4:5], s[38:39], v[144:145], -v[4:5]
	v_fma_f64 v[6:7], s[40:41], v[144:145], v[6:7]
	s_wait_loadcnt 0x0
	v_mul_f64_e32 v[8:9], s[8:9], v[18:19]
	v_mul_f64_e32 v[10:11], s[6:7], v[18:19]
	s_delay_alu instid0(VALU_DEP_2) | instskip(NEXT) | instid1(VALU_DEP_2)
	v_fma_f64 v[8:9], s[6:7], v[16:17], -v[8:9]
	v_fma_f64 v[10:11], s[8:9], v[16:17], v[10:11]
	s_delay_alu instid0(VALU_DEP_2) | instskip(NEXT) | instid1(VALU_DEP_2)
	v_add_f64_e32 v[12:13], v[4:5], v[8:9]
	v_add_f64_e32 v[14:15], v[6:7], v[10:11]
	v_mul_f64_e32 v[4:5], s[38:39], v[138:139]
	global_store_b128 v[0:1], v[12:15], off offset:512
	global_load_b128 v[12:15], v[2:3], off offset:768
	v_mul_f64_e32 v[2:3], s[40:41], v[138:139]
	v_fma_f64 v[4:5], s[40:41], v[136:137], v[4:5]
	s_delay_alu instid0(VALU_DEP_2) | instskip(SKIP_3) | instid1(VALU_DEP_2)
	v_fma_f64 v[2:3], s[38:39], v[136:137], -v[2:3]
	s_wait_loadcnt 0x0
	v_mul_f64_e32 v[6:7], s[8:9], v[14:15]
	v_mul_f64_e32 v[8:9], s[6:7], v[14:15]
	v_fma_f64 v[6:7], s[6:7], v[12:13], -v[6:7]
	s_delay_alu instid0(VALU_DEP_2) | instskip(NEXT) | instid1(VALU_DEP_2)
	v_fma_f64 v[8:9], s[8:9], v[12:13], v[8:9]
	v_add_f64_e32 v[2:3], v[2:3], v[6:7]
	s_delay_alu instid0(VALU_DEP_2)
	v_add_f64_e32 v[72:73], v[4:5], v[8:9]
	global_store_b64 v[0:1], v[2:3], off offset:768
	s_branch .LBB122_2
.LBB122_11:
	s_nop 0
	s_sendmsg sendmsg(MSG_DEALLOC_VGPRS)
	s_endpgm
	.section	.rodata,"a",@progbits
	.p2align	6, 0x0
	.amdhsa_kernel _ZN12_GLOBAL__N_127rocblas_gemm_batched_kernelI19rocblas_complex_numIdELi16ELi16ELi64ELi64ELi4ELi64ELi4ELi4ELi64ELc67ELc67EKS2_S3_S2_EEvlllT_PT11_llS6_llS4_PT12_llPT13_lli
		.amdhsa_group_segment_fixed_size 8192
		.amdhsa_private_segment_fixed_size 380
		.amdhsa_kernarg_size 156
		.amdhsa_user_sgpr_count 2
		.amdhsa_user_sgpr_dispatch_ptr 0
		.amdhsa_user_sgpr_queue_ptr 0
		.amdhsa_user_sgpr_kernarg_segment_ptr 1
		.amdhsa_user_sgpr_dispatch_id 0
		.amdhsa_user_sgpr_private_segment_size 0
		.amdhsa_wavefront_size32 1
		.amdhsa_uses_dynamic_stack 0
		.amdhsa_enable_private_segment 1
		.amdhsa_system_sgpr_workgroup_id_x 1
		.amdhsa_system_sgpr_workgroup_id_y 1
		.amdhsa_system_sgpr_workgroup_id_z 1
		.amdhsa_system_sgpr_workgroup_info 0
		.amdhsa_system_vgpr_workitem_id 1
		.amdhsa_next_free_vgpr 256
		.amdhsa_next_free_sgpr 52
		.amdhsa_reserve_vcc 1
		.amdhsa_float_round_mode_32 0
		.amdhsa_float_round_mode_16_64 0
		.amdhsa_float_denorm_mode_32 3
		.amdhsa_float_denorm_mode_16_64 3
		.amdhsa_fp16_overflow 0
		.amdhsa_workgroup_processor_mode 1
		.amdhsa_memory_ordered 1
		.amdhsa_forward_progress 1
		.amdhsa_inst_pref_size 68
		.amdhsa_round_robin_scheduling 0
		.amdhsa_exception_fp_ieee_invalid_op 0
		.amdhsa_exception_fp_denorm_src 0
		.amdhsa_exception_fp_ieee_div_zero 0
		.amdhsa_exception_fp_ieee_overflow 0
		.amdhsa_exception_fp_ieee_underflow 0
		.amdhsa_exception_fp_ieee_inexact 0
		.amdhsa_exception_int_div_zero 0
	.end_amdhsa_kernel
	.section	.text._ZN12_GLOBAL__N_127rocblas_gemm_batched_kernelI19rocblas_complex_numIdELi16ELi16ELi64ELi64ELi4ELi64ELi4ELi4ELi64ELc67ELc67EKS2_S3_S2_EEvlllT_PT11_llS6_llS4_PT12_llPT13_lli,"axG",@progbits,_ZN12_GLOBAL__N_127rocblas_gemm_batched_kernelI19rocblas_complex_numIdELi16ELi16ELi64ELi64ELi4ELi64ELi4ELi4ELi64ELc67ELc67EKS2_S3_S2_EEvlllT_PT11_llS6_llS4_PT12_llPT13_lli,comdat
.Lfunc_end122:
	.size	_ZN12_GLOBAL__N_127rocblas_gemm_batched_kernelI19rocblas_complex_numIdELi16ELi16ELi64ELi64ELi4ELi64ELi4ELi4ELi64ELc67ELc67EKS2_S3_S2_EEvlllT_PT11_llS6_llS4_PT12_llPT13_lli, .Lfunc_end122-_ZN12_GLOBAL__N_127rocblas_gemm_batched_kernelI19rocblas_complex_numIdELi16ELi16ELi64ELi64ELi4ELi64ELi4ELi4ELi64ELc67ELc67EKS2_S3_S2_EEvlllT_PT11_llS6_llS4_PT12_llPT13_lli
                                        ; -- End function
	.set _ZN12_GLOBAL__N_127rocblas_gemm_batched_kernelI19rocblas_complex_numIdELi16ELi16ELi64ELi64ELi4ELi64ELi4ELi4ELi64ELc67ELc67EKS2_S3_S2_EEvlllT_PT11_llS6_llS4_PT12_llPT13_lli.num_vgpr, 256
	.set _ZN12_GLOBAL__N_127rocblas_gemm_batched_kernelI19rocblas_complex_numIdELi16ELi16ELi64ELi64ELi4ELi64ELi4ELi4ELi64ELc67ELc67EKS2_S3_S2_EEvlllT_PT11_llS6_llS4_PT12_llPT13_lli.num_agpr, 0
	.set _ZN12_GLOBAL__N_127rocblas_gemm_batched_kernelI19rocblas_complex_numIdELi16ELi16ELi64ELi64ELi4ELi64ELi4ELi4ELi64ELc67ELc67EKS2_S3_S2_EEvlllT_PT11_llS6_llS4_PT12_llPT13_lli.numbered_sgpr, 52
	.set _ZN12_GLOBAL__N_127rocblas_gemm_batched_kernelI19rocblas_complex_numIdELi16ELi16ELi64ELi64ELi4ELi64ELi4ELi4ELi64ELc67ELc67EKS2_S3_S2_EEvlllT_PT11_llS6_llS4_PT12_llPT13_lli.num_named_barrier, 0
	.set _ZN12_GLOBAL__N_127rocblas_gemm_batched_kernelI19rocblas_complex_numIdELi16ELi16ELi64ELi64ELi4ELi64ELi4ELi4ELi64ELc67ELc67EKS2_S3_S2_EEvlllT_PT11_llS6_llS4_PT12_llPT13_lli.private_seg_size, 380
	.set _ZN12_GLOBAL__N_127rocblas_gemm_batched_kernelI19rocblas_complex_numIdELi16ELi16ELi64ELi64ELi4ELi64ELi4ELi4ELi64ELc67ELc67EKS2_S3_S2_EEvlllT_PT11_llS6_llS4_PT12_llPT13_lli.uses_vcc, 1
	.set _ZN12_GLOBAL__N_127rocblas_gemm_batched_kernelI19rocblas_complex_numIdELi16ELi16ELi64ELi64ELi4ELi64ELi4ELi4ELi64ELc67ELc67EKS2_S3_S2_EEvlllT_PT11_llS6_llS4_PT12_llPT13_lli.uses_flat_scratch, 1
	.set _ZN12_GLOBAL__N_127rocblas_gemm_batched_kernelI19rocblas_complex_numIdELi16ELi16ELi64ELi64ELi4ELi64ELi4ELi4ELi64ELc67ELc67EKS2_S3_S2_EEvlllT_PT11_llS6_llS4_PT12_llPT13_lli.has_dyn_sized_stack, 0
	.set _ZN12_GLOBAL__N_127rocblas_gemm_batched_kernelI19rocblas_complex_numIdELi16ELi16ELi64ELi64ELi4ELi64ELi4ELi4ELi64ELc67ELc67EKS2_S3_S2_EEvlllT_PT11_llS6_llS4_PT12_llPT13_lli.has_recursion, 0
	.set _ZN12_GLOBAL__N_127rocblas_gemm_batched_kernelI19rocblas_complex_numIdELi16ELi16ELi64ELi64ELi4ELi64ELi4ELi4ELi64ELc67ELc67EKS2_S3_S2_EEvlllT_PT11_llS6_llS4_PT12_llPT13_lli.has_indirect_call, 0
	.section	.AMDGPU.csdata,"",@progbits
; Kernel info:
; codeLenInByte = 8616
; TotalNumSgprs: 54
; NumVgprs: 256
; ScratchSize: 380
; MemoryBound: 0
; FloatMode: 240
; IeeeMode: 1
; LDSByteSize: 8192 bytes/workgroup (compile time only)
; SGPRBlocks: 0
; VGPRBlocks: 31
; NumSGPRsForWavesPerEU: 54
; NumVGPRsForWavesPerEU: 256
; Occupancy: 5
; WaveLimiterHint : 1
; COMPUTE_PGM_RSRC2:SCRATCH_EN: 1
; COMPUTE_PGM_RSRC2:USER_SGPR: 2
; COMPUTE_PGM_RSRC2:TRAP_HANDLER: 0
; COMPUTE_PGM_RSRC2:TGID_X_EN: 1
; COMPUTE_PGM_RSRC2:TGID_Y_EN: 1
; COMPUTE_PGM_RSRC2:TGID_Z_EN: 1
; COMPUTE_PGM_RSRC2:TIDIG_COMP_CNT: 1
	.section	.text._ZN12_GLOBAL__N_127rocblas_gemm_batched_kernelI19rocblas_complex_numIdELi16ELi16ELi64ELi64ELi4ELi64ELi4ELi4ELi64ELc67ELc78EKS2_S3_S2_EEvlllT_PT11_llS6_llS4_PT12_llPT13_lli,"axG",@progbits,_ZN12_GLOBAL__N_127rocblas_gemm_batched_kernelI19rocblas_complex_numIdELi16ELi16ELi64ELi64ELi4ELi64ELi4ELi4ELi64ELc67ELc78EKS2_S3_S2_EEvlllT_PT11_llS6_llS4_PT12_llPT13_lli,comdat
	.globl	_ZN12_GLOBAL__N_127rocblas_gemm_batched_kernelI19rocblas_complex_numIdELi16ELi16ELi64ELi64ELi4ELi64ELi4ELi4ELi64ELc67ELc78EKS2_S3_S2_EEvlllT_PT11_llS6_llS4_PT12_llPT13_lli ; -- Begin function _ZN12_GLOBAL__N_127rocblas_gemm_batched_kernelI19rocblas_complex_numIdELi16ELi16ELi64ELi64ELi4ELi64ELi4ELi4ELi64ELc67ELc78EKS2_S3_S2_EEvlllT_PT11_llS6_llS4_PT12_llPT13_lli
	.p2align	8
	.type	_ZN12_GLOBAL__N_127rocblas_gemm_batched_kernelI19rocblas_complex_numIdELi16ELi16ELi64ELi64ELi4ELi64ELi4ELi4ELi64ELc67ELc78EKS2_S3_S2_EEvlllT_PT11_llS6_llS4_PT12_llPT13_lli,@function
_ZN12_GLOBAL__N_127rocblas_gemm_batched_kernelI19rocblas_complex_numIdELi16ELi16ELi64ELi64ELi4ELi64ELi4ELi4ELi64ELc67ELc78EKS2_S3_S2_EEvlllT_PT11_llS6_llS4_PT12_llPT13_lli: ; @_ZN12_GLOBAL__N_127rocblas_gemm_batched_kernelI19rocblas_complex_numIdELi16ELi16ELi64ELi64ELi4ELi64ELi4ELi4ELi64ELc67ELc78EKS2_S3_S2_EEvlllT_PT11_llS6_llS4_PT12_llPT13_lli
; %bb.0:
	s_load_b32 s24, s[0:1], 0x98
	s_lshr_b32 s2, ttmp7, 16
	s_wait_kmcnt 0x0
	s_cmp_ge_i32 s2, s24
	s_cbranch_scc1 .LBB123_11
; %bb.1:
	v_and_b32_e32 v1, 0x3ff, v0
	v_bfe_u32 v2, v0, 10, 10
	s_clause 0x2
	s_load_b512 s[4:19], s[0:1], 0x50
	s_load_b512 s[36:51], s[0:1], 0x10
	s_load_b64 s[20:21], s[0:1], 0x90
	s_mov_b32 s22, ttmp9
	s_ashr_i32 s23, ttmp9, 31
	s_lshl_b32 s3, ttmp7, 6
	v_lshl_add_u32 v3, v2, 4, v1
	s_lshl_b64 s[0:1], s[22:23], 6
	s_and_b32 s3, s3, 0x3fffc0
	v_add_co_u32 v4, s25, s0, v1
	s_delay_alu instid0(VALU_DEP_2)
	v_and_b32_e32 v6, 63, v3
	v_lshlrev_b32_e32 v204, 4, v1
	v_lshl_add_u32 v205, v2, 6, 0x1000
	v_add_nc_u32_e32 v2, s3, v2
	v_add_co_ci_u32_e64 v5, null, s1, 0, s25
	v_lshrrev_b32_e32 v1, 2, v3
	v_lshrrev_b32_e32 v3, 6, v3
	v_lshlrev_b32_e32 v7, 4, v6
	v_or_b32_e32 v6, s0, v6
	scratch_store_b64 off, v[4:5], off offset:336 ; 8-byte Folded Spill
	s_wait_kmcnt 0x0
	v_mad_co_u64_u32 v[4:5], null, v2, s12, 0
	v_lshl_or_b32 v134, v3, 10, v7
	v_mul_lo_u32 v11, s45, v6
	v_mad_co_u64_u32 v[6:7], null, s44, v6, 0
	v_mad_co_u64_u32 v[15:16], null, v2, s18, 0
	v_lshlrev_b32_e32 v0, 4, v0
	v_add_nc_u32_e32 v13, s3, v1
	v_lshlrev_b32_e32 v14, 4, v3
	s_mul_i32 s0, s44, s1
	v_mad_co_u64_u32 v[8:9], null, v2, s13, v[5:6]
	v_dual_mov_b32 v3, v16 :: v_dual_and_b32 v0, 48, v0
	v_mad_co_u64_u32 v[9:10], null, s50, v13, 0
	s_wait_alu 0xfffe
	v_add3_u32 v7, v7, s0, v11
	s_delay_alu instid0(VALU_DEP_3)
	v_mad_co_u64_u32 v[11:12], null, v2, s19, v[3:4]
	v_mov_b32_e32 v5, v8
	v_lshl_or_b32 v1, v1, 6, v0
	v_cmp_eq_f64_e64 s22, s[6:7], 0
	v_cmp_eq_f64_e64 s23, s[8:9], 0
	v_mov_b32_e32 v3, v10
	v_lshlrev_b64_e32 v[4:5], 4, v[4:5]
	v_add_nc_u32_e32 v135, 0x1000, v1
	v_lshlrev_b64_e32 v[6:7], 4, v[6:7]
	v_cmp_gt_i64_e64 s0, s[36:37], 0
	v_mov_b32_e32 v16, v11
	s_lshl_b64 s[18:19], s[18:19], 4
	v_add_co_u32 v1, vcc_lo, s10, v4
	v_mad_co_u64_u32 v[12:13], null, s51, v13, v[3:4]
	s_lshl_b64 s[12:13], s[12:13], 4
	scratch_store_b32 off, v1, off offset:368 ; 4-byte Folded Spill
	v_add_co_ci_u32_e64 v1, null, s11, v5, vcc_lo
	s_lshl_b64 s[10:11], s[46:47], 4
	s_lshl_b64 s[4:5], s[4:5], 4
	v_mov_b32_e32 v10, v12
	scratch_store_b32 off, v1, off offset:372 ; 4-byte Folded Spill
	v_add_co_u32 v1, vcc_lo, v6, v14
	s_wait_alu 0xfffd
	v_add_co_ci_u32_e64 v2, null, 0, v7, vcc_lo
	v_lshlrev_b64_e32 v[6:7], 4, v[9:10]
	s_delay_alu instid0(VALU_DEP_3) | instskip(SKIP_1) | instid1(VALU_DEP_3)
	v_add_co_u32 v1, vcc_lo, s42, v1
	s_wait_alu 0xfffd
	v_add_co_ci_u32_e64 v2, null, s43, v2, vcc_lo
	s_mov_b32 s3, 0
	v_add_co_u32 v1, vcc_lo, v1, 8
	s_wait_alu 0xfffd
	v_add_co_ci_u32_e64 v2, null, 0, v2, vcc_lo
	v_add_co_u32 v0, vcc_lo, v6, v0
	s_clause 0x1
	scratch_store_b64 off, v[15:16], off offset:344
	scratch_store_b64 off, v[1:2], off offset:352
	s_wait_alu 0xfffd
	v_add_co_ci_u32_e64 v1, null, 0, v7, vcc_lo
	v_cndmask_b32_e64 v2, 0, 1, s0
	v_add_co_u32 v0, vcc_lo, s48, v0
	s_wait_alu 0xfffd
	s_delay_alu instid0(VALU_DEP_3) | instskip(NEXT) | instid1(VALU_DEP_3)
	v_add_co_ci_u32_e64 v1, null, s49, v1, vcc_lo
	v_cmp_ne_u32_e64 s0, 1, v2
	s_and_b32 s25, s22, s23
	s_wait_alu 0xfffe
	s_lshl_b64 s[12:13], s[12:13], 4
	s_lshl_b64 s[18:19], s[18:19], 4
	s_clause 0x2
	scratch_store_b64 off, v[0:1], off offset:360
	scratch_store_b32 off, v134, off offset:328
	scratch_store_b32 off, v135, off offset:332
	s_branch .LBB123_3
.LBB123_2:                              ;   in Loop: Header=BB123_3 Depth=1
	s_add_co_i32 s2, s2, 0x10000
	global_store_b64 v[74:75], v[72:73], off offset:8
	s_wait_alu 0xfffe
	s_cmp_lt_i32 s2, s24
	s_cbranch_scc0 .LBB123_11
.LBB123_3:                              ; =>This Loop Header: Depth=1
                                        ;     Child Loop BB123_5 Depth 2
	s_and_b32 vcc_lo, exec_lo, s0
	s_wait_alu 0xfffe
	s_cbranch_vccnz .LBB123_6
; %bb.4:                                ;   in Loop: Header=BB123_3 Depth=1
	scratch_load_b64 v[0:1], off, off offset:352 ; 8-byte Folded Reload
	v_mov_b32_e32 v144, 0
	v_mov_b32_e32 v30, 0
	v_dual_mov_b32 v31, 0 :: v_dual_mov_b32 v26, 0
	v_mov_b32_e32 v138, 0
	v_dual_mov_b32 v139, 0 :: v_dual_mov_b32 v140, 0
	v_mov_b32_e32 v206, 0
	v_mov_b32_e32 v254, 0
	v_dual_mov_b32 v72, 0 :: v_dual_mov_b32 v141, 0
	v_mov_b32_e32 v207, 0
	v_mov_b32_e32 v255, 0
	;; [unrolled: 1-line block ×4, first 2 shown]
	s_mov_b64 s[22:23], 0
	v_mov_b32_e32 v22, 0
	v_dual_mov_b32 v23, 0 :: v_dual_mov_b32 v18, 0
	v_dual_mov_b32 v19, 0 :: v_dual_mov_b32 v16, 0
	v_dual_mov_b32 v17, 0 :: v_dual_mov_b32 v14, 0
	v_dual_mov_b32 v15, 0 :: v_dual_mov_b32 v12, 0
	v_dual_mov_b32 v13, 0 :: v_dual_mov_b32 v10, 0
	v_dual_mov_b32 v11, 0 :: v_dual_mov_b32 v8, 0
	v_dual_mov_b32 v9, 0 :: v_dual_mov_b32 v6, 0
	v_dual_mov_b32 v7, 0 :: v_dual_mov_b32 v4, 0
	v_dual_mov_b32 v5, 0 :: v_dual_mov_b32 v2, 0
	v_dual_mov_b32 v3, 0 :: v_dual_mov_b32 v252, 0
	v_dual_mov_b32 v253, 0 :: v_dual_mov_b32 v250, 0
	v_dual_mov_b32 v251, 0 :: v_dual_mov_b32 v248, 0
	v_dual_mov_b32 v249, 0 :: v_dual_mov_b32 v246, 0
	v_dual_mov_b32 v247, 0 :: v_dual_mov_b32 v208, 0
	v_dual_mov_b32 v209, 0 :: v_dual_mov_b32 v172, 0
	v_dual_mov_b32 v173, 0 :: v_dual_mov_b32 v182, 0
	v_dual_mov_b32 v183, 0 :: v_dual_mov_b32 v180, 0
	v_mov_b32_e32 v181, 0
	s_wait_loadcnt 0x0
	v_mad_co_u64_u32 v[24:25], null, s10, s2, v[0:1]
	scratch_load_b64 v[0:1], off, off offset:360 ; 8-byte Folded Reload
	v_dual_mov_b32 v145, 0 :: v_dual_mov_b32 v20, v25
	s_delay_alu instid0(VALU_DEP_1) | instskip(SKIP_2) | instid1(VALU_DEP_3)
	v_mad_co_u64_u32 v[28:29], null, s11, s2, v[20:21]
	v_mov_b32_e32 v20, 0
	v_mov_b32_e32 v21, 0
	;; [unrolled: 1-line block ×3, first 2 shown]
	s_wait_loadcnt 0x0
	v_mad_co_u64_u32 v[32:33], null, s4, s2, v[0:1]
	v_mov_b32_e32 v0, 0
	v_dual_mov_b32 v1, 0 :: v_dual_mov_b32 v178, 0
	v_mov_b32_e32 v179, 0
	scratch_store_b64 off, v[0:1], off      ; 8-byte Folded Spill
	v_mov_b32_e32 v0, 0
	v_mov_b32_e32 v1, 0
	;; [unrolled: 1-line block ×3, first 2 shown]
	scratch_store_b64 off, v[0:1], off offset:8 ; 8-byte Folded Spill
	v_mov_b32_e32 v0, 0
	v_mad_co_u64_u32 v[75:76], null, s5, s2, v[29:30]
	v_mov_b32_e32 v1, 0
	s_delay_alu instid0(VALU_DEP_2)
	v_dual_mov_b32 v33, v75 :: v_dual_mov_b32 v74, 0
	v_mov_b32_e32 v75, 0
.LBB123_5:                              ;   Parent Loop BB123_3 Depth=1
                                        ; =>  This Inner Loop Header: Depth=2
	s_clause 0x4
	scratch_store_b64 off, v[144:145], off offset:200
	scratch_store_b64 off, v[140:141], off offset:40
	;; [unrolled: 1-line block ×5, first 2 shown]
	global_load_b128 v[76:79], v[24:25], off offset:-8
	global_load_b128 v[80:83], v[32:33], off
	v_dual_mov_b32 v36, v172 :: v_dual_mov_b32 v37, v173
	v_dual_mov_b32 v28, v180 :: v_dual_mov_b32 v29, v181
	;; [unrolled: 1-line block ×3, first 2 shown]
	s_wait_alu 0xfffe
	s_add_nc_u64 s[22:23], s[22:23], 4
	s_wait_loadcnt 0x1
	v_xor_b32_e32 v79, 0x80000000, v79
	s_wait_loadcnt 0x0
	ds_store_2addr_b64 v135, v[80:81], v[82:83] offset1:1
	ds_store_b128 v134, v[76:79]
	s_wait_storecnt_dscnt 0x0
	s_barrier_signal -1
	s_barrier_wait -1
	global_inv scope:SCOPE_SE
	ds_load_b128 v[90:93], v205
	ds_load_b128 v[126:129], v204
	ds_load_b128 v[130:133], v204 offset:256
	ds_load_b128 v[154:157], v205 offset:16
	s_wait_dscnt 0x2
	v_mul_f64_e32 v[76:77], v[92:93], v[128:129]
	v_mul_f64_e32 v[78:79], v[90:91], v[128:129]
	s_wait_dscnt 0x1
	v_mul_f64_e32 v[80:81], v[92:93], v[132:133]
	v_mul_f64_e32 v[82:83], v[90:91], v[132:133]
	s_delay_alu instid0(VALU_DEP_4)
	v_fma_f64 v[24:25], v[90:91], v[126:127], -v[76:77]
	scratch_store_b64 off, v[24:25], off offset:48 ; 8-byte Folded Spill
	v_fma_f64 v[24:25], v[92:93], v[126:127], v[78:79]
	scratch_store_b64 off, v[24:25], off offset:56 ; 8-byte Folded Spill
	v_fma_f64 v[24:25], v[90:91], v[130:131], -v[80:81]
	scratch_store_b64 off, v[24:25], off offset:64 ; 8-byte Folded Spill
	v_fma_f64 v[24:25], v[92:93], v[130:131], v[82:83]
	scratch_store_b64 off, v[24:25], off offset:72 ; 8-byte Folded Spill
	ds_load_b128 v[134:137], v204 offset:512
	ds_load_b128 v[138:141], v204 offset:768
	;; [unrolled: 1-line block ×4, first 2 shown]
	s_wait_dscnt 0x3
	v_mul_f64_e32 v[84:85], v[92:93], v[136:137]
	v_mul_f64_e32 v[86:87], v[90:91], v[136:137]
	s_wait_dscnt 0x2
	v_mul_f64_e32 v[88:89], v[92:93], v[140:141]
	s_wait_dscnt 0x1
	v_mul_f64_e32 v[94:95], v[106:107], v[128:129]
	v_mul_f64_e32 v[96:97], v[108:109], v[132:133]
	;; [unrolled: 1-line block ×6, first 2 shown]
	v_fma_f64 v[24:25], v[90:91], v[134:135], -v[84:85]
	scratch_store_b64 off, v[24:25], off offset:80 ; 8-byte Folded Spill
	v_fma_f64 v[24:25], v[92:93], v[134:135], v[86:87]
	scratch_store_b64 off, v[24:25], off offset:88 ; 8-byte Folded Spill
	v_fma_f64 v[24:25], v[90:91], v[138:139], -v[88:89]
	v_mul_f64_e32 v[90:91], v[90:91], v[140:141]
	scratch_store_b64 off, v[24:25], off offset:96 ; 8-byte Folded Spill
	v_fma_f64 v[24:25], v[92:93], v[138:139], v[90:91]
	v_mul_f64_e32 v[92:93], v[108:109], v[128:129]
	scratch_store_b64 off, v[24:25], off offset:104 ; 8-byte Folded Spill
	v_fma_f64 v[24:25], v[106:107], v[126:127], -v[92:93]
	scratch_store_b64 off, v[24:25], off offset:112 ; 8-byte Folded Spill
	v_fma_f64 v[24:25], v[108:109], v[126:127], v[94:95]
	scratch_store_b64 off, v[24:25], off offset:120 ; 8-byte Folded Spill
	v_fma_f64 v[24:25], v[106:107], v[130:131], -v[96:97]
	scratch_store_b64 off, v[24:25], off offset:128 ; 8-byte Folded Spill
	v_fma_f64 v[24:25], v[108:109], v[130:131], v[98:99]
	;; [unrolled: 4-line block ×3, first 2 shown]
	scratch_store_b64 off, v[24:25], off offset:152 ; 8-byte Folded Spill
	v_fma_f64 v[24:25], v[106:107], v[138:139], -v[104:105]
	v_mul_f64_e32 v[106:107], v[106:107], v[140:141]
	scratch_store_b64 off, v[24:25], off offset:160 ; 8-byte Folded Spill
	v_fma_f64 v[24:25], v[108:109], v[138:139], v[106:107]
	scratch_store_b64 off, v[24:25], off offset:168 ; 8-byte Folded Spill
	ds_load_b128 v[122:125], v205 offset:2048
	ds_load_b128 v[186:189], v205 offset:2064
	s_wait_dscnt 0x1
	v_mul_f64_e32 v[108:109], v[124:125], v[128:129]
	v_mul_f64_e32 v[110:111], v[122:123], v[128:129]
	;; [unrolled: 1-line block ×7, first 2 shown]
	v_fma_f64 v[24:25], v[122:123], v[126:127], -v[108:109]
	scratch_store_b64 off, v[24:25], off offset:176 ; 8-byte Folded Spill
	v_fma_f64 v[24:25], v[124:125], v[126:127], v[110:111]
	scratch_store_b64 off, v[24:25], off offset:184 ; 8-byte Folded Spill
	v_fma_f64 v[24:25], v[122:123], v[130:131], -v[112:113]
	scratch_store_b64 off, v[24:25], off offset:192 ; 8-byte Folded Spill
	v_fma_f64 v[24:25], v[124:125], v[130:131], v[114:115]
	scratch_store_b64 off, v[24:25], off offset:208 ; 8-byte Folded Spill
	v_fma_f64 v[24:25], v[122:123], v[134:135], -v[116:117]
	scratch_store_b64 off, v[24:25], off offset:216 ; 8-byte Folded Spill
	v_fma_f64 v[24:25], v[124:125], v[134:135], v[118:119]
	scratch_store_b64 off, v[24:25], off offset:224 ; 8-byte Folded Spill
	v_fma_f64 v[24:25], v[122:123], v[138:139], -v[120:121]
	v_mul_f64_e32 v[122:123], v[122:123], v[140:141]
	scratch_store_b64 off, v[24:25], off offset:232 ; 8-byte Folded Spill
	v_fma_f64 v[24:25], v[124:125], v[138:139], v[122:123]
	scratch_store_b64 off, v[24:25], off offset:240 ; 8-byte Folded Spill
	ds_load_b128 v[142:145], v205 offset:3072
	ds_load_b128 v[210:213], v205 offset:3088
	s_wait_dscnt 0x1
	v_mul_f64_e32 v[124:125], v[144:145], v[128:129]
	v_mul_f64_e32 v[128:129], v[142:143], v[128:129]
	s_delay_alu instid0(VALU_DEP_2)
	v_fma_f64 v[24:25], v[142:143], v[126:127], -v[124:125]
	scratch_store_b64 off, v[24:25], off offset:248 ; 8-byte Folded Spill
	v_fma_f64 v[24:25], v[144:145], v[126:127], v[128:129]
	v_mul_f64_e32 v[128:129], v[144:145], v[132:133]
	v_mul_f64_e32 v[132:133], v[142:143], v[132:133]
	scratch_store_b64 off, v[24:25], off offset:256 ; 8-byte Folded Spill
	v_fma_f64 v[24:25], v[142:143], v[130:131], -v[128:129]
	scratch_store_b64 off, v[24:25], off offset:264 ; 8-byte Folded Spill
	v_fma_f64 v[24:25], v[144:145], v[130:131], v[132:133]
	v_mul_f64_e32 v[132:133], v[144:145], v[136:137]
	v_mul_f64_e32 v[136:137], v[142:143], v[136:137]
	scratch_store_b64 off, v[24:25], off offset:272 ; 8-byte Folded Spill
	;; [unrolled: 6-line block ×3, first 2 shown]
	v_fma_f64 v[24:25], v[142:143], v[138:139], -v[136:137]
	scratch_store_b64 off, v[24:25], off offset:296 ; 8-byte Folded Spill
	v_fma_f64 v[24:25], v[144:145], v[138:139], v[140:141]
	scratch_store_b64 off, v[24:25], off offset:304 ; 8-byte Folded Spill
	ds_load_b128 v[190:193], v204 offset:1024
	ds_load_b128 v[194:197], v204 offset:1280
	s_wait_dscnt 0x1
	v_mul_f64_e32 v[140:141], v[156:157], v[192:193]
	s_wait_dscnt 0x0
	v_mul_f64_e32 v[144:145], v[156:157], v[196:197]
	v_mul_f64_e32 v[142:143], v[154:155], v[192:193]
	;; [unrolled: 1-line block ×9, first 2 shown]
	v_fma_f64 v[24:25], v[154:155], v[190:191], -v[140:141]
	v_fma_f64 v[144:145], v[154:155], v[194:195], -v[144:145]
	v_fma_f64 v[142:143], v[156:157], v[190:191], v[142:143]
	v_fma_f64 v[146:147], v[156:157], v[194:195], v[146:147]
	v_fma_f64 v[160:161], v[170:171], v[194:195], -v[160:161]
	v_fma_f64 v[158:159], v[172:173], v[190:191], v[158:159]
	v_fma_f64 v[176:177], v[186:187], v[194:195], -v[176:177]
	v_fma_f64 v[174:175], v[188:189], v[190:191], v[174:175]
	v_fma_f64 v[178:179], v[188:189], v[194:195], v[178:179]
	scratch_store_b64 off, v[24:25], off offset:312 ; 8-byte Folded Spill
	ds_load_b128 v[198:201], v204 offset:1536
	ds_load_b128 v[214:217], v204 offset:1792
	s_wait_dscnt 0x1
	v_mul_f64_e32 v[148:149], v[156:157], v[200:201]
	s_wait_dscnt 0x0
	v_mul_f64_e32 v[152:153], v[156:157], v[216:217]
	v_mul_f64_e32 v[150:151], v[154:155], v[200:201]
	;; [unrolled: 1-line block ×8, first 2 shown]
	v_fma_f64 v[148:149], v[154:155], v[198:199], -v[148:149]
	v_fma_f64 v[152:153], v[154:155], v[214:215], -v[152:153]
	v_mul_f64_e32 v[154:155], v[154:155], v[216:217]
	v_fma_f64 v[150:151], v[156:157], v[198:199], v[150:151]
	v_fma_f64 v[164:165], v[170:171], v[198:199], -v[164:165]
	v_fma_f64 v[168:169], v[170:171], v[214:215], -v[168:169]
	v_fma_f64 v[166:167], v[172:173], v[198:199], v[166:167]
	v_fma_f64 v[180:181], v[186:187], v[198:199], -v[180:181]
	v_fma_f64 v[184:185], v[186:187], v[214:215], -v[184:185]
	v_fma_f64 v[202:203], v[212:213], v[214:215], v[202:203]
	v_fma_f64 v[154:155], v[156:157], v[214:215], v[154:155]
	v_mul_f64_e32 v[156:157], v[172:173], v[192:193]
	s_delay_alu instid0(VALU_DEP_1)
	v_fma_f64 v[24:25], v[170:171], v[190:191], -v[156:157]
	v_mul_f64_e32 v[170:171], v[170:171], v[216:217]
	v_fma_f64 v[156:157], v[172:173], v[194:195], v[162:163]
	scratch_store_b64 off, v[24:25], off offset:320 ; 8-byte Folded Spill
	v_fma_f64 v[170:171], v[172:173], v[214:215], v[170:171]
	v_mul_f64_e32 v[172:173], v[188:189], v[192:193]
	v_dual_mov_b32 v24, v182 :: v_dual_mov_b32 v25, v183
	v_mul_f64_e32 v[182:183], v[186:187], v[200:201]
	s_delay_alu instid0(VALU_DEP_3) | instskip(SKIP_1) | instid1(VALU_DEP_3)
	v_fma_f64 v[172:173], v[186:187], v[190:191], -v[172:173]
	v_mul_f64_e32 v[186:187], v[186:187], v[216:217]
	v_fma_f64 v[182:183], v[188:189], v[198:199], v[182:183]
	s_delay_alu instid0(VALU_DEP_2) | instskip(SKIP_2) | instid1(VALU_DEP_2)
	v_fma_f64 v[186:187], v[188:189], v[214:215], v[186:187]
	v_mul_f64_e32 v[188:189], v[212:213], v[192:193]
	v_mul_f64_e32 v[192:193], v[210:211], v[192:193]
	v_fma_f64 v[188:189], v[210:211], v[190:191], -v[188:189]
	s_delay_alu instid0(VALU_DEP_2) | instskip(SKIP_2) | instid1(VALU_DEP_2)
	v_fma_f64 v[190:191], v[212:213], v[190:191], v[192:193]
	v_mul_f64_e32 v[192:193], v[212:213], v[196:197]
	v_mul_f64_e32 v[196:197], v[210:211], v[196:197]
	v_fma_f64 v[192:193], v[210:211], v[194:195], -v[192:193]
	s_delay_alu instid0(VALU_DEP_2) | instskip(SKIP_2) | instid1(VALU_DEP_2)
	v_fma_f64 v[194:195], v[212:213], v[194:195], v[196:197]
	v_mul_f64_e32 v[196:197], v[212:213], v[200:201]
	v_mul_f64_e32 v[200:201], v[210:211], v[200:201]
	v_fma_f64 v[196:197], v[210:211], v[198:199], -v[196:197]
	s_delay_alu instid0(VALU_DEP_2) | instskip(SKIP_1) | instid1(VALU_DEP_1)
	v_fma_f64 v[198:199], v[212:213], v[198:199], v[200:201]
	v_mul_f64_e32 v[200:201], v[212:213], v[216:217]
	v_fma_f64 v[200:201], v[210:211], v[214:215], -v[200:201]
	ds_load_b128 v[210:213], v205 offset:32
	ds_load_b128 v[214:217], v204 offset:2048
	;; [unrolled: 1-line block ×4, first 2 shown]
	s_wait_dscnt 0x2
	v_mul_f64_e32 v[226:227], v[212:213], v[216:217]
	s_delay_alu instid0(VALU_DEP_1) | instskip(SKIP_1) | instid1(VALU_DEP_1)
	v_fma_f64 v[136:137], v[210:211], v[214:215], -v[226:227]
	v_mul_f64_e32 v[226:227], v[210:211], v[216:217]
	v_fma_f64 v[134:135], v[212:213], v[214:215], v[226:227]
	s_wait_dscnt 0x1
	v_mul_f64_e32 v[226:227], v[212:213], v[220:221]
	s_delay_alu instid0(VALU_DEP_1) | instskip(SKIP_1) | instid1(VALU_DEP_1)
	v_fma_f64 v[132:133], v[210:211], v[218:219], -v[226:227]
	v_mul_f64_e32 v[226:227], v[210:211], v[220:221]
	v_fma_f64 v[130:131], v[212:213], v[218:219], v[226:227]
	ds_load_b128 v[226:229], v204 offset:2560
	ds_load_b128 v[230:233], v204 offset:2816
	s_wait_dscnt 0x1
	v_mul_f64_e32 v[234:235], v[212:213], v[228:229]
	s_delay_alu instid0(VALU_DEP_1) | instskip(SKIP_1) | instid1(VALU_DEP_1)
	v_fma_f64 v[128:129], v[210:211], v[226:227], -v[234:235]
	v_mul_f64_e32 v[234:235], v[210:211], v[228:229]
	v_fma_f64 v[126:127], v[212:213], v[226:227], v[234:235]
	s_wait_dscnt 0x0
	v_mul_f64_e32 v[234:235], v[212:213], v[232:233]
	s_delay_alu instid0(VALU_DEP_1) | instskip(SKIP_1) | instid1(VALU_DEP_1)
	v_fma_f64 v[124:125], v[210:211], v[230:231], -v[234:235]
	v_mul_f64_e32 v[210:211], v[210:211], v[232:233]
	v_fma_f64 v[122:123], v[212:213], v[230:231], v[210:211]
	ds_load_b128 v[210:213], v205 offset:1056
	ds_load_b128 v[234:237], v205 offset:1072
	s_wait_dscnt 0x1
	v_mul_f64_e32 v[238:239], v[212:213], v[216:217]
	s_delay_alu instid0(VALU_DEP_1) | instskip(SKIP_1) | instid1(VALU_DEP_1)
	v_fma_f64 v[162:163], v[210:211], v[214:215], -v[238:239]
	v_mul_f64_e32 v[238:239], v[210:211], v[216:217]
	v_fma_f64 v[120:121], v[212:213], v[214:215], v[238:239]
	v_mul_f64_e32 v[238:239], v[212:213], v[220:221]
	s_delay_alu instid0(VALU_DEP_1) | instskip(SKIP_1) | instid1(VALU_DEP_1)
	v_fma_f64 v[118:119], v[210:211], v[218:219], -v[238:239]
	v_mul_f64_e32 v[238:239], v[210:211], v[220:221]
	v_fma_f64 v[116:117], v[212:213], v[218:219], v[238:239]
	;; [unrolled: 5-line block ×4, first 2 shown]
	ds_load_b128 v[210:213], v205 offset:2080
	ds_load_b128 v[238:241], v205 offset:2096
	s_wait_dscnt 0x1
	v_mul_f64_e32 v[242:243], v[212:213], v[216:217]
	s_delay_alu instid0(VALU_DEP_1) | instskip(SKIP_1) | instid1(VALU_DEP_1)
	v_fma_f64 v[106:107], v[210:211], v[214:215], -v[242:243]
	v_mul_f64_e32 v[242:243], v[210:211], v[216:217]
	v_fma_f64 v[104:105], v[212:213], v[214:215], v[242:243]
	v_mul_f64_e32 v[242:243], v[212:213], v[220:221]
	s_delay_alu instid0(VALU_DEP_1) | instskip(SKIP_1) | instid1(VALU_DEP_1)
	v_fma_f64 v[102:103], v[210:211], v[218:219], -v[242:243]
	v_mul_f64_e32 v[242:243], v[210:211], v[220:221]
	v_fma_f64 v[100:101], v[212:213], v[218:219], v[242:243]
	v_mul_f64_e32 v[242:243], v[212:213], v[228:229]
	s_delay_alu instid0(VALU_DEP_1) | instskip(SKIP_1) | instid1(VALU_DEP_1)
	v_fma_f64 v[98:99], v[210:211], v[226:227], -v[242:243]
	v_mul_f64_e32 v[242:243], v[210:211], v[228:229]
	v_fma_f64 v[96:97], v[212:213], v[226:227], v[242:243]
	v_mul_f64_e32 v[242:243], v[212:213], v[232:233]
	s_delay_alu instid0(VALU_DEP_1) | instskip(SKIP_1) | instid1(VALU_DEP_1)
	v_fma_f64 v[94:95], v[210:211], v[230:231], -v[242:243]
	v_mul_f64_e32 v[210:211], v[210:211], v[232:233]
	v_fma_f64 v[92:93], v[212:213], v[230:231], v[210:211]
	ds_load_b128 v[210:213], v205 offset:3104
	ds_load_b128 v[242:245], v205 offset:3120
	s_wait_dscnt 0x1
	v_mul_f64_e32 v[34:35], v[212:213], v[216:217]
	v_mul_f64_e32 v[216:217], v[210:211], v[216:217]
	s_delay_alu instid0(VALU_DEP_2) | instskip(NEXT) | instid1(VALU_DEP_2)
	v_fma_f64 v[90:91], v[210:211], v[214:215], -v[34:35]
	v_fma_f64 v[88:89], v[212:213], v[214:215], v[216:217]
	v_mul_f64_e32 v[214:215], v[212:213], v[220:221]
	s_delay_alu instid0(VALU_DEP_1) | instskip(SKIP_1) | instid1(VALU_DEP_1)
	v_fma_f64 v[38:39], v[210:211], v[218:219], -v[214:215]
	v_mul_f64_e32 v[214:215], v[210:211], v[220:221]
	v_fma_f64 v[40:41], v[212:213], v[218:219], v[214:215]
	v_mul_f64_e32 v[214:215], v[212:213], v[228:229]
	s_delay_alu instid0(VALU_DEP_1) | instskip(SKIP_1) | instid1(VALU_DEP_1)
	v_fma_f64 v[42:43], v[210:211], v[226:227], -v[214:215]
	v_mul_f64_e32 v[214:215], v[210:211], v[228:229]
	;; [unrolled: 5-line block ×3, first 2 shown]
	v_fma_f64 v[230:231], v[212:213], v[230:231], v[210:211]
	ds_load_b128 v[210:213], v204 offset:3072
	ds_load_b128 v[214:217], v204 offset:3328
	s_wait_dscnt 0x1
	v_mul_f64_e32 v[218:219], v[224:225], v[212:213]
	s_wait_dscnt 0x0
	v_mul_f64_e32 v[62:63], v[236:237], v[216:217]
	v_mul_f64_e32 v[60:61], v[234:235], v[212:213]
	;; [unrolled: 1-line block ×6, first 2 shown]
	v_fma_f64 v[232:233], v[222:223], v[210:211], -v[218:219]
	v_mul_f64_e32 v[218:219], v[222:223], v[212:213]
	v_fma_f64 v[62:63], v[234:235], v[214:215], -v[62:63]
	v_fma_f64 v[60:61], v[236:237], v[210:211], v[60:61]
	v_fma_f64 v[64:65], v[236:237], v[214:215], v[64:65]
	v_fma_f64 v[78:79], v[238:239], v[214:215], -v[78:79]
	v_fma_f64 v[76:77], v[240:241], v[210:211], v[76:77]
	v_fma_f64 v[80:81], v[240:241], v[214:215], v[80:81]
	;; [unrolled: 1-line block ×3, first 2 shown]
	v_mul_f64_e32 v[218:219], v[224:225], v[216:217]
	s_delay_alu instid0(VALU_DEP_1) | instskip(SKIP_1) | instid1(VALU_DEP_1)
	v_fma_f64 v[50:51], v[222:223], v[214:215], -v[218:219]
	v_mul_f64_e32 v[218:219], v[222:223], v[216:217]
	v_fma_f64 v[52:53], v[224:225], v[214:215], v[218:219]
	ds_load_b128 v[218:221], v204 offset:3584
	ds_load_b128 v[226:229], v204 offset:3840
	scratch_load_b64 v[34:35], off, off offset:48 th:TH_LOAD_LU ; 8-byte Folded Reload
	s_wait_dscnt 0x1
	v_mul_f64_e32 v[54:55], v[224:225], v[220:221]
	s_wait_dscnt 0x0
	v_mul_f64_e32 v[58:59], v[224:225], v[228:229]
	v_mul_f64_e32 v[56:57], v[222:223], v[220:221]
	;; [unrolled: 1-line block ×8, first 2 shown]
	v_fma_f64 v[54:55], v[222:223], v[218:219], -v[54:55]
	v_fma_f64 v[58:59], v[222:223], v[226:227], -v[58:59]
	v_mul_f64_e32 v[222:223], v[222:223], v[228:229]
	v_fma_f64 v[56:57], v[224:225], v[218:219], v[56:57]
	v_fma_f64 v[66:67], v[234:235], v[218:219], -v[66:67]
	v_fma_f64 v[70:71], v[234:235], v[226:227], -v[70:71]
	v_fma_f64 v[68:69], v[236:237], v[218:219], v[68:69]
	v_fma_f64 v[82:83], v[238:239], v[218:219], -v[82:83]
	v_fma_f64 v[86:87], v[238:239], v[226:227], -v[86:87]
	v_fma_f64 v[84:85], v[240:241], v[218:219], v[84:85]
	v_fma_f64 v[222:223], v[224:225], v[226:227], v[222:223]
	v_mul_f64_e32 v[224:225], v[236:237], v[212:213]
	s_delay_alu instid0(VALU_DEP_1) | instskip(SKIP_1) | instid1(VALU_DEP_1)
	v_fma_f64 v[224:225], v[234:235], v[210:211], -v[224:225]
	v_mul_f64_e32 v[234:235], v[234:235], v[228:229]
	v_fma_f64 v[234:235], v[236:237], v[226:227], v[234:235]
	v_mul_f64_e32 v[236:237], v[240:241], v[212:213]
	s_delay_alu instid0(VALU_DEP_1) | instskip(SKIP_1) | instid1(VALU_DEP_1)
	v_fma_f64 v[236:237], v[238:239], v[210:211], -v[236:237]
	v_mul_f64_e32 v[238:239], v[238:239], v[228:229]
	v_fma_f64 v[238:239], v[240:241], v[226:227], v[238:239]
	v_mul_f64_e32 v[240:241], v[244:245], v[212:213]
	v_mul_f64_e32 v[212:213], v[242:243], v[212:213]
	s_delay_alu instid0(VALU_DEP_2) | instskip(NEXT) | instid1(VALU_DEP_2)
	v_fma_f64 v[240:241], v[242:243], v[210:211], -v[240:241]
	v_fma_f64 v[210:211], v[244:245], v[210:211], v[212:213]
	v_mul_f64_e32 v[212:213], v[244:245], v[216:217]
	v_mul_f64_e32 v[216:217], v[242:243], v[216:217]
	s_delay_alu instid0(VALU_DEP_2) | instskip(NEXT) | instid1(VALU_DEP_2)
	v_fma_f64 v[212:213], v[242:243], v[214:215], -v[212:213]
	;; [unrolled: 5-line block ×4, first 2 shown]
	v_fma_f64 v[226:227], v[244:245], v[226:227], v[228:229]
	s_wait_loadcnt 0x0
	v_add_f64_e32 v[228:229], v[28:29], v[34:35]
	scratch_load_b64 v[28:29], off, off offset:56 th:TH_LOAD_LU ; 8-byte Folded Reload
	s_wait_loadcnt 0x0
	v_add_f64_e32 v[242:243], v[28:29], v[24:25]
	scratch_load_b64 v[24:25], off, off offset:64 th:TH_LOAD_LU ; 8-byte Folded Reload
	v_add_f64_e32 v[142:143], v[142:143], v[242:243]
	s_delay_alu instid0(VALU_DEP_1)
	v_add_f64_e32 v[134:135], v[134:135], v[142:143]
	s_wait_loadcnt 0x0
	v_add_f64_e32 v[244:245], v[36:37], v[24:25]
	scratch_load_b64 v[24:25], off, off offset:72 th:TH_LOAD_LU ; 8-byte Folded Reload
	v_dual_mov_b32 v36, v204 :: v_dual_mov_b32 v37, v205
	v_add_f64_e32 v[144:145], v[244:245], v[144:145]
	s_delay_alu instid0(VALU_DEP_1)
	v_add_f64_e32 v[132:133], v[144:145], v[132:133]
	s_wait_loadcnt 0x0
	v_add_f64_e32 v[204:205], v[24:25], v[208:209]
	scratch_load_b64 v[24:25], off, off offset:80 th:TH_LOAD_LU ; 8-byte Folded Reload
	v_add_f64_e32 v[146:147], v[146:147], v[204:205]
	v_dual_mov_b32 v205, v37 :: v_dual_mov_b32 v204, v36
	s_delay_alu instid0(VALU_DEP_2) | instskip(SKIP_4) | instid1(VALU_DEP_1)
	v_add_f64_e32 v[130:131], v[130:131], v[146:147]
	s_wait_loadcnt 0x0
	v_add_f64_e32 v[246:247], v[246:247], v[24:25]
	scratch_load_b64 v[24:25], off, off offset:88 th:TH_LOAD_LU ; 8-byte Folded Reload
	v_add_f64_e32 v[148:149], v[246:247], v[148:149]
	v_add_f64_e32 v[128:129], v[148:149], v[128:129]
	s_delay_alu instid0(VALU_DEP_1) | instskip(SKIP_4) | instid1(VALU_DEP_1)
	v_add_f64_e32 v[246:247], v[128:129], v[54:55]
	s_wait_loadcnt 0x0
	v_add_f64_e32 v[248:249], v[24:25], v[248:249]
	scratch_load_b64 v[24:25], off, off offset:96 th:TH_LOAD_LU ; 8-byte Folded Reload
	v_add_f64_e32 v[150:151], v[150:151], v[248:249]
	v_add_f64_e32 v[126:127], v[126:127], v[150:151]
	s_delay_alu instid0(VALU_DEP_1) | instskip(SKIP_4) | instid1(VALU_DEP_1)
	;; [unrolled: 7-line block ×3, first 2 shown]
	v_add_f64_e32 v[250:251], v[124:125], v[58:59]
	s_wait_loadcnt 0x0
	v_add_f64_e32 v[252:253], v[24:25], v[252:253]
	scratch_load_b64 v[24:25], off, off offset:112 th:TH_LOAD_LU ; 8-byte Folded Reload
	v_add_f64_e32 v[154:155], v[154:155], v[252:253]
	v_add_f64_e32 v[122:123], v[122:123], v[154:155]
	s_delay_alu instid0(VALU_DEP_1)
	v_add_f64_e32 v[252:253], v[222:223], v[122:123]
	s_wait_loadcnt 0x0
	v_add_f64_e32 v[0:1], v[0:1], v[24:25]
	scratch_load_b64 v[24:25], off, off offset:120 th:TH_LOAD_LU ; 8-byte Folded Reload
	s_wait_loadcnt 0x0
	v_add_f64_e32 v[2:3], v[24:25], v[2:3]
	scratch_load_b64 v[24:25], off, off offset:128 th:TH_LOAD_LU ; 8-byte Folded Reload
	v_add_f64_e32 v[2:3], v[158:159], v[2:3]
	s_delay_alu instid0(VALU_DEP_1) | instskip(NEXT) | instid1(VALU_DEP_1)
	v_add_f64_e32 v[2:3], v[120:121], v[2:3]
	v_add_f64_e32 v[2:3], v[60:61], v[2:3]
	s_wait_loadcnt 0x0
	v_add_f64_e32 v[4:5], v[4:5], v[24:25]
	scratch_load_b64 v[24:25], off, off offset:136 th:TH_LOAD_LU ; 8-byte Folded Reload
	v_add_f64_e32 v[4:5], v[4:5], v[160:161]
	s_delay_alu instid0(VALU_DEP_1) | instskip(NEXT) | instid1(VALU_DEP_1)
	v_add_f64_e32 v[4:5], v[4:5], v[118:119]
	v_add_f64_e32 v[4:5], v[4:5], v[62:63]
	;; [unrolled: 7-line block ×7, first 2 shown]
	s_wait_loadcnt 0x0
	v_add_f64_e32 v[16:17], v[16:17], v[24:25]
	scratch_load_b64 v[24:25], off, off offset:184 th:TH_LOAD_LU ; 8-byte Folded Reload
	v_add_f64_e32 v[16:17], v[16:17], v[172:173]
	v_add_f64_e32 v[172:173], v[132:133], v[50:51]
	s_delay_alu instid0(VALU_DEP_2) | instskip(NEXT) | instid1(VALU_DEP_1)
	v_add_f64_e32 v[16:17], v[16:17], v[106:107]
	v_add_f64_e32 v[16:17], v[16:17], v[236:237]
	s_wait_loadcnt 0x0
	v_add_f64_e32 v[18:19], v[24:25], v[18:19]
	scratch_load_b64 v[24:25], off, off offset:192 th:TH_LOAD_LU ; 8-byte Folded Reload
	v_add_f64_e32 v[18:19], v[174:175], v[18:19]
	s_delay_alu instid0(VALU_DEP_1) | instskip(NEXT) | instid1(VALU_DEP_1)
	v_add_f64_e32 v[18:19], v[104:105], v[18:19]
	v_add_f64_e32 v[18:19], v[76:77], v[18:19]
	s_wait_loadcnt 0x0
	v_add_f64_e32 v[20:21], v[20:21], v[24:25]
	scratch_load_b64 v[24:25], off, off offset:208 th:TH_LOAD_LU ; 8-byte Folded Reload
	v_add_f64_e32 v[20:21], v[20:21], v[176:177]
	s_delay_alu instid0(VALU_DEP_1) | instskip(NEXT) | instid1(VALU_DEP_1)
	v_add_f64_e32 v[20:21], v[20:21], v[102:103]
	v_add_f64_e32 v[20:21], v[20:21], v[78:79]
	s_wait_loadcnt 0x0
	v_add_f64_e32 v[22:23], v[24:25], v[22:23]
	s_clause 0x1
	scratch_load_b64 v[24:25], off, off offset:8 th:TH_LOAD_LU
	scratch_load_b64 v[28:29], off, off offset:216 th:TH_LOAD_LU
	v_add_f64_e32 v[22:23], v[178:179], v[22:23]
	s_delay_alu instid0(VALU_DEP_1) | instskip(NEXT) | instid1(VALU_DEP_1)
	v_add_f64_e32 v[22:23], v[100:101], v[22:23]
	v_add_f64_e32 v[22:23], v[80:81], v[22:23]
	s_wait_loadcnt 0x0
	v_add_f64_e32 v[24:25], v[24:25], v[28:29]
	scratch_load_b64 v[28:29], off, off offset:224 th:TH_LOAD_LU ; 8-byte Folded Reload
	v_add_f64_e32 v[24:25], v[24:25], v[180:181]
	s_delay_alu instid0(VALU_DEP_1) | instskip(NEXT) | instid1(VALU_DEP_1)
	v_add_f64_e32 v[24:25], v[24:25], v[98:99]
	v_add_f64_e32 v[24:25], v[24:25], v[82:83]
	s_wait_loadcnt 0x0
	v_add_f64_e32 v[26:27], v[28:29], v[26:27]
	s_clause 0x1
	scratch_load_b64 v[28:29], off, off th:TH_LOAD_LU
	scratch_load_b64 v[34:35], off, off offset:232 th:TH_LOAD_LU
	v_add_f64_e32 v[26:27], v[182:183], v[26:27]
	v_add_f64_e32 v[182:183], v[48:49], v[134:135]
	s_delay_alu instid0(VALU_DEP_2) | instskip(NEXT) | instid1(VALU_DEP_1)
	v_add_f64_e32 v[26:27], v[96:97], v[26:27]
	v_add_f64_e32 v[26:27], v[84:85], v[26:27]
	s_wait_loadcnt 0x0
	v_add_f64_e32 v[28:29], v[28:29], v[34:35]
	scratch_load_b64 v[34:35], off, off offset:240 th:TH_LOAD_LU ; 8-byte Folded Reload
	v_add_f64_e32 v[28:29], v[28:29], v[184:185]
	s_delay_alu instid0(VALU_DEP_1) | instskip(NEXT) | instid1(VALU_DEP_1)
	v_add_f64_e32 v[28:29], v[28:29], v[94:95]
	v_add_f64_e32 v[28:29], v[28:29], v[86:87]
	s_wait_loadcnt 0x0
	v_add_f64_e32 v[30:31], v[34:35], v[30:31]
	scratch_load_b64 v[34:35], off, off offset:248 th:TH_LOAD_LU ; 8-byte Folded Reload
	v_add_f64_e32 v[30:31], v[186:187], v[30:31]
	s_delay_alu instid0(VALU_DEP_1) | instskip(NEXT) | instid1(VALU_DEP_1)
	;; [unrolled: 7-line block ×3, first 2 shown]
	v_add_f64_e32 v[32:33], v[32:33], v[90:91]
	v_add_f64_e32 v[178:179], v[32:33], v[240:241]
	s_wait_loadcnt 0x0
	v_add_f64_e32 v[72:73], v[34:35], v[72:73]
	scratch_load_b64 v[34:35], off, off offset:264 th:TH_LOAD_LU ; 8-byte Folded Reload
	v_add_f64_e32 v[72:73], v[190:191], v[72:73]
	s_wait_loadcnt 0x0
	v_add_f64_e32 v[254:255], v[254:255], v[34:35]
	scratch_load_b64 v[34:35], off, off offset:272 th:TH_LOAD_LU ; 8-byte Folded Reload
	v_add_f64_e32 v[156:157], v[254:255], v[192:193]
	s_delay_alu instid0(VALU_DEP_1) | instskip(NEXT) | instid1(VALU_DEP_1)
	v_add_f64_e32 v[38:39], v[156:157], v[38:39]
	v_add_f64_e32 v[254:255], v[38:39], v[212:213]
	s_wait_loadcnt 0x0
	v_add_f64_e32 v[208:209], v[34:35], v[206:207]
	s_clause 0x1
	scratch_load_b64 v[34:35], off, off offset:200 th:TH_LOAD_LU
	scratch_load_b64 v[138:139], off, off offset:280 th:TH_LOAD_LU
	v_add_f64_e32 v[158:159], v[194:195], v[208:209]
	v_add_f64_e32 v[208:209], v[52:53], v[130:131]
	s_delay_alu instid0(VALU_DEP_2)
	v_add_f64_e32 v[40:41], v[40:41], v[158:159]
	s_wait_loadcnt 0x0
	v_add_f64_e32 v[206:207], v[34:35], v[138:139]
	s_clause 0x1
	scratch_load_b64 v[34:35], off, off offset:40 th:TH_LOAD_LU
	scratch_load_b64 v[138:139], off, off offset:288 th:TH_LOAD_LU
	v_add_f64_e32 v[160:161], v[206:207], v[196:197]
	v_add_f64_e32 v[206:207], v[214:215], v[40:41]
	s_delay_alu instid0(VALU_DEP_2) | instskip(NEXT) | instid1(VALU_DEP_1)
	v_add_f64_e32 v[42:43], v[160:161], v[42:43]
	v_add_f64_e32 v[144:145], v[42:43], v[216:217]
	s_wait_loadcnt 0x0
	v_add_f64_e32 v[34:35], v[138:139], v[34:35]
	scratch_load_b64 v[138:139], off, off offset:296 th:TH_LOAD_LU ; 8-byte Folded Reload
	v_add_f64_e32 v[34:35], v[198:199], v[34:35]
	s_delay_alu instid0(VALU_DEP_1)
	v_add_f64_e32 v[34:35], v[44:45], v[34:35]
	s_wait_loadcnt 0x0
	v_add_f64_e32 v[74:75], v[74:75], v[138:139]
	s_clause 0x2
	scratch_load_b64 v[138:139], off, off offset:32 th:TH_LOAD_LU
	scratch_load_b64 v[140:141], off, off offset:304 th:TH_LOAD_LU
	;; [unrolled: 1-line block ×3, first 2 shown]
	v_add_f64_e32 v[74:75], v[74:75], v[200:201]
	s_delay_alu instid0(VALU_DEP_1) | instskip(NEXT) | instid1(VALU_DEP_1)
	v_add_f64_e32 v[44:45], v[74:75], v[46:47]
	v_add_f64_e32 v[74:75], v[44:45], v[220:221]
	s_wait_loadcnt 0x1
	v_add_f64_e32 v[138:139], v[140:141], v[138:139]
	s_clause 0x2
	scratch_load_b64 v[140:141], off, off offset:312 th:TH_LOAD_LU
	scratch_load_b32 v135, off, off offset:332
	scratch_load_b32 v134, off, off offset:328
	s_clause 0x1
	scratch_store_b64 off, v[24:25], off offset:8
	scratch_store_b64 off, v[28:29], off
	s_clause 0x1
	scratch_load_b64 v[24:25], off, off offset:16 th:TH_LOAD_LU
	scratch_load_b64 v[32:33], off, off offset:24 th:TH_LOAD_LU
	s_wait_loadcnt 0x0
	s_wait_storecnt 0x0
	s_barrier_signal -1
	s_barrier_wait -1
	global_inv scope:SCOPE_SE
	v_add_f64_e32 v[0:1], v[0:1], v[36:37]
	v_add_f64_e32 v[36:37], v[88:89], v[72:73]
	v_add_f64_e32 v[138:139], v[202:203], v[138:139]
	s_delay_alu instid0(VALU_DEP_3) | instskip(NEXT) | instid1(VALU_DEP_3)
	v_add_f64_e32 v[0:1], v[0:1], v[162:163]
	v_add_f64_e32 v[72:73], v[210:211], v[36:37]
	s_delay_alu instid0(VALU_DEP_3) | instskip(NEXT) | instid1(VALU_DEP_3)
	v_add_f64_e32 v[46:47], v[230:231], v[138:139]
	v_add_f64_e32 v[0:1], v[0:1], v[224:225]
	s_delay_alu instid0(VALU_DEP_2)
	v_add_f64_e32 v[138:139], v[226:227], v[46:47]
	v_add_f64_e32 v[140:141], v[228:229], v[140:141]
	v_add_co_u32 v24, s1, v24, 64
	s_wait_alu 0xf1ff
	v_add_co_ci_u32_e64 v25, null, 0, v25, s1
	s_wait_alu 0xfffe
	v_cmp_lt_i64_e64 s1, s[22:23], s[36:37]
	v_add_co_u32 v32, vcc_lo, v32, 64
	s_wait_alu 0xfffd
	v_add_co_ci_u32_e64 v33, null, 0, v33, vcc_lo
	s_and_b32 vcc_lo, exec_lo, s1
	v_add_f64_e32 v[136:137], v[140:141], v[136:137]
	v_add_f64_e32 v[140:141], v[218:219], v[34:35]
	s_delay_alu instid0(VALU_DEP_2)
	v_add_f64_e32 v[180:181], v[136:137], v[232:233]
	s_wait_alu 0xfffe
	s_cbranch_vccnz .LBB123_5
	s_branch .LBB123_7
.LBB123_6:                              ;   in Loop: Header=BB123_3 Depth=1
	v_mov_b32_e32 v24, 0
	v_dual_mov_b32 v28, 0 :: v_dual_mov_b32 v25, 0
	v_dual_mov_b32 v26, 0 :: v_dual_mov_b32 v29, 0
	v_mov_b32_e32 v30, 0
	v_mov_b32_e32 v180, 0
	;; [unrolled: 1-line block ×14, first 2 shown]
	v_dual_mov_b32 v74, 0 :: v_dual_mov_b32 v181, 0
	v_dual_mov_b32 v182, 0 :: v_dual_mov_b32 v173, 0
	v_dual_mov_b32 v208, 0 :: v_dual_mov_b32 v247, 0
	v_dual_mov_b32 v248, 0 :: v_dual_mov_b32 v251, 0
	v_dual_mov_b32 v252, 0 :: v_dual_mov_b32 v1, 0
	v_dual_mov_b32 v2, 0 :: v_dual_mov_b32 v5, 0
	v_dual_mov_b32 v6, 0 :: v_dual_mov_b32 v9, 0
	v_dual_mov_b32 v10, 0 :: v_dual_mov_b32 v13, 0
	v_dual_mov_b32 v14, 0 :: v_dual_mov_b32 v17, 0
	v_dual_mov_b32 v18, 0 :: v_dual_mov_b32 v21, 0
	v_dual_mov_b32 v22, 0 :: v_dual_mov_b32 v179, 0
	v_dual_mov_b32 v72, 0 :: v_dual_mov_b32 v255, 0
	v_dual_mov_b32 v206, 0 :: v_dual_mov_b32 v145, 0
	v_dual_mov_b32 v140, 0 :: v_dual_mov_b32 v75, 0
	v_dual_mov_b32 v138, 0 :: v_dual_mov_b32 v183, 0
	v_mov_b32_e32 v209, 0
	v_mov_b32_e32 v249, 0
	;; [unrolled: 1-line block ×9, first 2 shown]
	s_clause 0x1
	scratch_store_b64 off, v[24:25], off offset:8
	scratch_store_b64 off, v[28:29], off
	v_mov_b32_e32 v27, 0
	v_mov_b32_e32 v31, 0
	;; [unrolled: 1-line block ×6, first 2 shown]
.LBB123_7:                              ;   in Loop: Header=BB123_3 Depth=1
	s_mul_u64 s[22:23], s[20:21], s[2:3]
	v_dual_mov_b32 v153, v23 :: v_dual_mov_b32 v152, v22
	v_dual_mov_b32 v151, v27 :: v_dual_mov_b32 v150, v26
	;; [unrolled: 1-line block ×14, first 2 shown]
	s_wait_alu 0xfffe
	s_lshl_b64 s[22:23], s[22:23], 4
	s_and_not1_b32 vcc_lo, exec_lo, s25
	s_wait_alu 0xfffe
	s_add_nc_u64 s[22:23], s[16:17], s[22:23]
	s_mov_b32 s1, -1
                                        ; implicit-def: $vgpr72_vgpr73
                                        ; implicit-def: $vgpr74_vgpr75
	s_cbranch_vccz .LBB123_9
; %bb.8:                                ;   in Loop: Header=BB123_3 Depth=1
	s_wait_alu 0xfffe
	s_and_not1_b32 vcc_lo, exec_lo, s1
	s_wait_alu 0xfffe
	s_cbranch_vccnz .LBB123_2
	s_branch .LBB123_10
.LBB123_9:                              ;   in Loop: Header=BB123_3 Depth=1
	v_mul_f64_e32 v[10:11], s[38:39], v[248:249]
	v_dual_mov_b32 v18, v170 :: v_dual_mov_b32 v19, v171
	v_dual_mov_b32 v65, v17 :: v_dual_mov_b32 v64, v16
	v_mul_f64_e32 v[12:13], s[40:41], v[252:253]
	s_clause 0x1
	scratch_load_b64 v[32:33], off, off offset:344
	scratch_load_b64 v[34:35], off, off offset:336
	v_mul_f64_e32 v[16:17], s[40:41], v[18:19]
	v_mul_f64_e32 v[18:19], s[38:39], v[18:19]
	;; [unrolled: 1-line block ×7, first 2 shown]
	v_dual_mov_b32 v22, v166 :: v_dual_mov_b32 v23, v167
	v_dual_mov_b32 v63, v21 :: v_dual_mov_b32 v62, v20
	;; [unrolled: 1-line block ×3, first 2 shown]
	s_delay_alu instid0(VALU_DEP_3)
	v_mul_f64_e32 v[20:21], s[40:41], v[22:23]
	v_mul_f64_e32 v[22:23], s[38:39], v[22:23]
	v_dual_mov_b32 v38, v154 :: v_dual_mov_b32 v39, v155
	v_dual_mov_b32 v46, v150 :: v_dual_mov_b32 v47, v151
	;; [unrolled: 1-line block ×3, first 2 shown]
	v_mul_f64_e32 v[14:15], s[38:39], v[252:253]
	v_mul_f64_e32 v[24:25], s[40:41], v[26:27]
	;; [unrolled: 1-line block ×3, first 2 shown]
	v_dual_mov_b32 v30, v158 :: v_dual_mov_b32 v31, v159
	v_dual_mov_b32 v42, v152 :: v_dual_mov_b32 v43, v153
	;; [unrolled: 1-line block ×3, first 2 shown]
	v_fma_f64 v[84:85], s[40:41], v[246:247], v[10:11]
	v_dual_mov_b32 v10, v168 :: v_dual_mov_b32 v11, v169
	v_mul_f64_e32 v[36:37], s[40:41], v[38:39]
	v_mul_f64_e32 v[38:39], s[38:39], v[38:39]
	v_fma_f64 v[86:87], s[38:39], v[250:251], -v[12:13]
	scratch_load_b64 v[12:13], off, off     ; 8-byte Folded Reload
	v_mul_f64_e32 v[44:45], s[40:41], v[46:47]
	v_mul_f64_e32 v[46:47], s[38:39], v[46:47]
	v_fma_f64 v[92:93], s[40:41], v[10:11], v[18:19]
	scratch_load_b64 v[18:19], off, off offset:8 ; 8-byte Folded Reload
	v_fma_f64 v[76:77], s[40:41], v[180:181], v[2:3]
	v_mul_f64_e32 v[2:3], s[40:41], v[140:141]
	v_mul_f64_e32 v[52:53], s[40:41], v[54:55]
	;; [unrolled: 1-line block ×3, first 2 shown]
	v_fma_f64 v[78:79], s[38:39], v[172:173], -v[4:5]
	v_fma_f64 v[82:83], s[38:39], v[246:247], -v[8:9]
	v_mul_f64_e32 v[4:5], s[38:39], v[140:141]
	v_mul_f64_e32 v[8:9], s[38:39], v[138:139]
	;; [unrolled: 1-line block ×9, first 2 shown]
	v_fma_f64 v[74:75], s[38:39], v[180:181], -v[0:1]
	v_fma_f64 v[80:81], s[40:41], v[172:173], v[6:7]
	v_mul_f64_e32 v[0:1], s[38:39], v[206:207]
	v_mul_f64_e32 v[6:7], s[40:41], v[138:139]
	v_fma_f64 v[90:91], s[38:39], v[10:11], -v[16:17]
	v_dual_mov_b32 v10, v164 :: v_dual_mov_b32 v11, v165
	v_dual_mov_b32 v16, v64 :: v_dual_mov_b32 v17, v65
	v_fma_f64 v[88:89], s[40:41], v[250:251], v[14:15]
	s_delay_alu instid0(VALU_DEP_3)
	v_fma_f64 v[94:95], s[38:39], v[10:11], -v[20:21]
	v_fma_f64 v[96:97], s[40:41], v[10:11], v[22:23]
	v_dual_mov_b32 v10, v160 :: v_dual_mov_b32 v11, v161
	v_dual_mov_b32 v20, v62 :: v_dual_mov_b32 v21, v63
	v_fma_f64 v[106:107], s[38:39], v[16:17], -v[36:37]
	v_fma_f64 v[108:109], s[40:41], v[16:17], v[38:39]
	s_delay_alu instid0(VALU_DEP_4)
	v_fma_f64 v[98:99], s[38:39], v[10:11], -v[24:25]
	v_fma_f64 v[100:101], s[40:41], v[10:11], v[26:27]
	v_dual_mov_b32 v10, v156 :: v_dual_mov_b32 v11, v157
	v_fma_f64 v[130:131], s[38:39], v[144:145], -v[2:3]
	v_dual_mov_b32 v2, v136 :: v_dual_mov_b32 v3, v137
	v_fma_f64 v[122:123], s[38:39], v[178:179], -v[52:53]
	v_fma_f64 v[124:125], s[40:41], v[178:179], v[54:55]
	v_fma_f64 v[132:133], s[40:41], v[144:145], v[4:5]
	s_delay_alu instid0(VALU_DEP_4)
	v_fma_f64 v[72:73], s[40:41], v[2:3], v[8:9]
	v_fma_f64 v[102:103], s[38:39], v[10:11], -v[28:29]
	v_fma_f64 v[104:105], s[40:41], v[10:11], v[30:31]
	v_fma_f64 v[110:111], s[38:39], v[20:21], -v[40:41]
	;; [unrolled: 2-line block ×4, first 2 shown]
	s_wait_loadcnt 0x3
	v_lshlrev_b64_e32 v[32:33], 4, v[32:33]
	s_wait_loadcnt 0x2
	v_lshlrev_b64_e32 v[34:35], 4, v[34:35]
	s_wait_alu 0xfffe
	s_delay_alu instid0(VALU_DEP_2) | instskip(SKIP_2) | instid1(VALU_DEP_2)
	v_add_co_u32 v32, vcc_lo, s22, v32
	s_wait_alu 0xfffd
	v_add_co_ci_u32_e64 v33, null, s23, v33, vcc_lo
	v_add_co_u32 v10, vcc_lo, v32, v34
	s_wait_alu 0xfffd
	s_delay_alu instid0(VALU_DEP_2)
	v_add_co_ci_u32_e64 v11, null, v33, v35, vcc_lo
	v_add_co_u32 v14, vcc_lo, v32, s18
	s_wait_alu 0xfffd
	v_add_co_ci_u32_e64 v15, null, s19, v33, vcc_lo
	s_wait_loadcnt 0x1
	v_fma_f64 v[118:119], s[38:39], v[12:13], -v[48:49]
	v_fma_f64 v[120:121], s[40:41], v[12:13], v[50:51]
	v_add_co_u32 v12, vcc_lo, v14, v34
	s_wait_loadcnt 0x0
	v_fma_f64 v[114:115], s[38:39], v[18:19], -v[44:45]
	v_fma_f64 v[116:117], s[40:41], v[18:19], v[46:47]
	s_wait_alu 0xfffd
	v_add_co_ci_u32_e64 v13, null, v15, v35, vcc_lo
	v_add_co_u32 v4, vcc_lo, v14, s18
	s_wait_alu 0xfffd
	v_add_co_ci_u32_e64 v5, null, s19, v15, vcc_lo
	s_clause 0x5
	global_store_b128 v[10:11], v[74:77], off
	global_store_b128 v[10:11], v[78:81], off offset:256
	global_store_b128 v[10:11], v[82:85], off offset:512
	;; [unrolled: 1-line block ×3, first 2 shown]
	global_store_b128 v[12:13], v[90:93], off
	global_store_b128 v[12:13], v[94:97], off offset:256
	v_add_co_u32 v2, vcc_lo, v4, v34
	s_wait_alu 0xfffd
	v_add_co_ci_u32_e64 v3, null, v5, v35, vcc_lo
	v_add_co_u32 v4, vcc_lo, v4, s18
	s_wait_alu 0xfffd
	v_add_co_ci_u32_e64 v5, null, s19, v5, vcc_lo
	s_clause 0x1
	global_store_b128 v[12:13], v[98:101], off offset:512
	global_store_b128 v[12:13], v[102:105], off offset:768
	v_add_co_u32 v4, vcc_lo, v4, v34
	s_wait_alu 0xfffd
	v_add_co_ci_u32_e64 v5, null, v5, v35, vcc_lo
	s_clause 0x1
	global_store_b128 v[2:3], v[106:109], off
	global_store_b128 v[2:3], v[110:113], off offset:256
	v_add_co_u32 v74, vcc_lo, 0x300, v4
	s_wait_alu 0xfffd
	v_add_co_ci_u32_e64 v75, null, 0, v5, vcc_lo
	s_clause 0x5
	global_store_b128 v[2:3], v[114:117], off offset:512
	global_store_b128 v[2:3], v[118:121], off offset:768
	global_store_b128 v[4:5], v[122:125], off
	global_store_b128 v[4:5], v[126:129], off offset:256
	global_store_b128 v[4:5], v[130:133], off offset:512
	global_store_b64 v[4:5], v[0:1], off offset:768
	s_cbranch_execnz .LBB123_2
.LBB123_10:                             ;   in Loop: Header=BB123_3 Depth=1
	s_clause 0x1
	scratch_load_b64 v[0:1], off, off offset:336
	scratch_load_b32 v2, off, off offset:368
	s_mul_u64 s[26:27], s[14:15], s[2:3]
	v_mul_f64_e32 v[4:5], s[40:41], v[182:183]
	s_wait_alu 0xfffe
	s_lshl_b64 s[26:27], s[26:27], 4
	v_mul_f64_e32 v[6:7], s[38:39], v[182:183]
	v_dual_mov_b32 v19, v17 :: v_dual_mov_b32 v18, v16
	s_delay_alu instid0(VALU_DEP_3) | instskip(NEXT) | instid1(VALU_DEP_3)
	v_fma_f64 v[4:5], s[38:39], v[180:181], -v[4:5]
	v_fma_f64 v[6:7], s[40:41], v[180:181], v[6:7]
	s_wait_loadcnt 0x1
	v_lshlrev_b64_e32 v[0:1], 4, v[0:1]
	s_wait_loadcnt 0x0
	s_wait_alu 0xfffe
	v_add_co_u32 v14, vcc_lo, v2, s26
	scratch_load_b32 v2, off, off offset:372 ; 4-byte Folded Reload
	s_wait_loadcnt 0x0
	s_wait_alu 0xfffd
	v_add_co_ci_u32_e64 v15, null, s27, v2, vcc_lo
	v_add_co_u32 v2, vcc_lo, v14, v0
	s_wait_alu 0xfffd
	s_delay_alu instid0(VALU_DEP_2) | instskip(SKIP_4) | instid1(VALU_DEP_2)
	v_add_co_ci_u32_e64 v3, null, v15, v1, vcc_lo
	global_load_b128 v[72:75], v[2:3], off
	s_wait_loadcnt 0x0
	v_mul_f64_e32 v[8:9], s[8:9], v[74:75]
	v_mul_f64_e32 v[10:11], s[6:7], v[74:75]
	v_fma_f64 v[8:9], s[6:7], v[72:73], -v[8:9]
	s_delay_alu instid0(VALU_DEP_2) | instskip(NEXT) | instid1(VALU_DEP_2)
	v_fma_f64 v[10:11], s[8:9], v[72:73], v[10:11]
	v_add_f64_e32 v[68:69], v[4:5], v[8:9]
	scratch_load_b64 v[4:5], off, off offset:344 ; 8-byte Folded Reload
	v_add_f64_e32 v[70:71], v[6:7], v[10:11]
	v_mul_f64_e32 v[6:7], s[40:41], v[208:209]
	v_mul_f64_e32 v[8:9], s[38:39], v[208:209]
	s_delay_alu instid0(VALU_DEP_2) | instskip(NEXT) | instid1(VALU_DEP_2)
	v_fma_f64 v[6:7], s[38:39], v[172:173], -v[6:7]
	v_fma_f64 v[8:9], s[40:41], v[172:173], v[8:9]
	s_wait_loadcnt 0x0
	v_lshlrev_b64_e32 v[4:5], 4, v[4:5]
	s_delay_alu instid0(VALU_DEP_1) | instskip(SKIP_1) | instid1(VALU_DEP_2)
	v_add_co_u32 v16, vcc_lo, s22, v4
	s_wait_alu 0xfffd
	v_add_co_ci_u32_e64 v17, null, s23, v5, vcc_lo
	s_delay_alu instid0(VALU_DEP_2) | instskip(SKIP_1) | instid1(VALU_DEP_2)
	v_add_co_u32 v4, vcc_lo, v16, v0
	s_wait_alu 0xfffd
	v_add_co_ci_u32_e64 v5, null, v17, v1, vcc_lo
	v_add_co_u32 v14, vcc_lo, v14, s12
	s_wait_alu 0xfffd
	v_add_co_ci_u32_e64 v15, null, s13, v15, vcc_lo
	global_store_b128 v[4:5], v[68:71], off
	global_load_b128 v[68:71], v[2:3], off offset:256
	s_wait_loadcnt 0x0
	v_mul_f64_e32 v[10:11], s[8:9], v[70:71]
	v_mul_f64_e32 v[12:13], s[6:7], v[70:71]
	s_delay_alu instid0(VALU_DEP_2) | instskip(NEXT) | instid1(VALU_DEP_2)
	v_fma_f64 v[10:11], s[6:7], v[68:69], -v[10:11]
	v_fma_f64 v[12:13], s[8:9], v[68:69], v[12:13]
	s_delay_alu instid0(VALU_DEP_2) | instskip(NEXT) | instid1(VALU_DEP_2)
	v_add_f64_e32 v[64:65], v[6:7], v[10:11]
	v_add_f64_e32 v[66:67], v[8:9], v[12:13]
	v_mul_f64_e32 v[6:7], s[40:41], v[248:249]
	v_mul_f64_e32 v[8:9], s[38:39], v[248:249]
	global_store_b128 v[4:5], v[64:67], off offset:256
	global_load_b128 v[64:67], v[2:3], off offset:512
	v_fma_f64 v[6:7], s[38:39], v[246:247], -v[6:7]
	v_fma_f64 v[8:9], s[40:41], v[246:247], v[8:9]
	s_wait_loadcnt 0x0
	v_mul_f64_e32 v[10:11], s[8:9], v[66:67]
	v_mul_f64_e32 v[12:13], s[6:7], v[66:67]
	s_delay_alu instid0(VALU_DEP_2) | instskip(NEXT) | instid1(VALU_DEP_2)
	v_fma_f64 v[10:11], s[6:7], v[64:65], -v[10:11]
	v_fma_f64 v[12:13], s[8:9], v[64:65], v[12:13]
	s_delay_alu instid0(VALU_DEP_2) | instskip(NEXT) | instid1(VALU_DEP_2)
	v_add_f64_e32 v[60:61], v[6:7], v[10:11]
	v_add_f64_e32 v[62:63], v[8:9], v[12:13]
	v_mul_f64_e32 v[6:7], s[38:39], v[252:253]
	global_store_b128 v[4:5], v[60:63], off offset:512
	global_load_b128 v[60:63], v[2:3], off offset:768
	v_mul_f64_e32 v[2:3], s[40:41], v[252:253]
	v_fma_f64 v[6:7], s[40:41], v[250:251], v[6:7]
	s_delay_alu instid0(VALU_DEP_2) | instskip(SKIP_3) | instid1(VALU_DEP_2)
	v_fma_f64 v[2:3], s[38:39], v[250:251], -v[2:3]
	s_wait_loadcnt 0x0
	v_mul_f64_e32 v[8:9], s[8:9], v[62:63]
	v_mul_f64_e32 v[10:11], s[6:7], v[62:63]
	v_fma_f64 v[8:9], s[6:7], v[60:61], -v[8:9]
	s_delay_alu instid0(VALU_DEP_2) | instskip(NEXT) | instid1(VALU_DEP_2)
	v_fma_f64 v[10:11], s[8:9], v[60:61], v[10:11]
	v_add_f64_e32 v[56:57], v[2:3], v[8:9]
	s_delay_alu instid0(VALU_DEP_2)
	v_add_f64_e32 v[58:59], v[6:7], v[10:11]
	v_add_co_u32 v2, vcc_lo, v14, v0
	s_wait_alu 0xfffd
	v_add_co_ci_u32_e64 v3, null, v15, v1, vcc_lo
	v_mul_f64_e32 v[6:7], s[38:39], v[170:171]
	v_add_co_u32 v16, vcc_lo, v16, s18
	s_wait_alu 0xfffd
	v_add_co_ci_u32_e64 v17, null, s19, v17, vcc_lo
	global_store_b128 v[4:5], v[56:59], off offset:768
	global_load_b128 v[56:59], v[2:3], off
	v_mul_f64_e32 v[4:5], s[40:41], v[170:171]
	v_fma_f64 v[6:7], s[40:41], v[168:169], v[6:7]
	s_delay_alu instid0(VALU_DEP_2) | instskip(SKIP_3) | instid1(VALU_DEP_2)
	v_fma_f64 v[4:5], s[38:39], v[168:169], -v[4:5]
	s_wait_loadcnt 0x0
	v_mul_f64_e32 v[8:9], s[8:9], v[58:59]
	v_mul_f64_e32 v[10:11], s[6:7], v[58:59]
	v_fma_f64 v[8:9], s[6:7], v[56:57], -v[8:9]
	s_delay_alu instid0(VALU_DEP_2) | instskip(NEXT) | instid1(VALU_DEP_2)
	v_fma_f64 v[10:11], s[8:9], v[56:57], v[10:11]
	v_add_f64_e32 v[52:53], v[4:5], v[8:9]
	s_delay_alu instid0(VALU_DEP_2)
	v_add_f64_e32 v[54:55], v[6:7], v[10:11]
	v_add_co_u32 v4, vcc_lo, v16, v0
	s_wait_alu 0xfffd
	v_add_co_ci_u32_e64 v5, null, v17, v1, vcc_lo
	v_mul_f64_e32 v[6:7], s[40:41], v[166:167]
	v_mul_f64_e32 v[8:9], s[38:39], v[166:167]
	v_add_co_u32 v14, vcc_lo, v14, s12
	s_wait_alu 0xfffd
	v_add_co_ci_u32_e64 v15, null, s13, v15, vcc_lo
	global_store_b128 v[4:5], v[52:55], off
	global_load_b128 v[52:55], v[2:3], off offset:256
	v_fma_f64 v[6:7], s[38:39], v[164:165], -v[6:7]
	v_fma_f64 v[8:9], s[40:41], v[164:165], v[8:9]
	s_wait_loadcnt 0x0
	v_mul_f64_e32 v[10:11], s[8:9], v[54:55]
	v_mul_f64_e32 v[12:13], s[6:7], v[54:55]
	s_delay_alu instid0(VALU_DEP_2) | instskip(NEXT) | instid1(VALU_DEP_2)
	v_fma_f64 v[10:11], s[6:7], v[52:53], -v[10:11]
	v_fma_f64 v[12:13], s[8:9], v[52:53], v[12:13]
	s_delay_alu instid0(VALU_DEP_2) | instskip(NEXT) | instid1(VALU_DEP_2)
	v_add_f64_e32 v[48:49], v[6:7], v[10:11]
	v_add_f64_e32 v[50:51], v[8:9], v[12:13]
	v_mul_f64_e32 v[6:7], s[40:41], v[162:163]
	v_mul_f64_e32 v[8:9], s[38:39], v[162:163]
	global_store_b128 v[4:5], v[48:51], off offset:256
	global_load_b128 v[48:51], v[2:3], off offset:512
	v_fma_f64 v[6:7], s[38:39], v[160:161], -v[6:7]
	v_fma_f64 v[8:9], s[40:41], v[160:161], v[8:9]
	s_wait_loadcnt 0x0
	v_mul_f64_e32 v[10:11], s[8:9], v[50:51]
	v_mul_f64_e32 v[12:13], s[6:7], v[50:51]
	s_delay_alu instid0(VALU_DEP_2) | instskip(NEXT) | instid1(VALU_DEP_2)
	v_fma_f64 v[10:11], s[6:7], v[48:49], -v[10:11]
	v_fma_f64 v[12:13], s[8:9], v[48:49], v[12:13]
	s_delay_alu instid0(VALU_DEP_2) | instskip(NEXT) | instid1(VALU_DEP_2)
	v_add_f64_e32 v[44:45], v[6:7], v[10:11]
	v_add_f64_e32 v[46:47], v[8:9], v[12:13]
	v_mul_f64_e32 v[6:7], s[38:39], v[158:159]
	global_store_b128 v[4:5], v[44:47], off offset:512
	global_load_b128 v[44:47], v[2:3], off offset:768
	v_mul_f64_e32 v[2:3], s[40:41], v[158:159]
	v_fma_f64 v[6:7], s[40:41], v[156:157], v[6:7]
	s_delay_alu instid0(VALU_DEP_2) | instskip(SKIP_3) | instid1(VALU_DEP_2)
	v_fma_f64 v[2:3], s[38:39], v[156:157], -v[2:3]
	s_wait_loadcnt 0x0
	v_mul_f64_e32 v[8:9], s[8:9], v[46:47]
	v_mul_f64_e32 v[10:11], s[6:7], v[46:47]
	v_fma_f64 v[8:9], s[6:7], v[44:45], -v[8:9]
	s_delay_alu instid0(VALU_DEP_2) | instskip(NEXT) | instid1(VALU_DEP_2)
	v_fma_f64 v[10:11], s[8:9], v[44:45], v[10:11]
	v_add_f64_e32 v[40:41], v[2:3], v[8:9]
	s_delay_alu instid0(VALU_DEP_2)
	v_add_f64_e32 v[42:43], v[6:7], v[10:11]
	v_add_co_u32 v2, vcc_lo, v14, v0
	s_wait_alu 0xfffd
	v_add_co_ci_u32_e64 v3, null, v15, v1, vcc_lo
	v_mul_f64_e32 v[6:7], s[38:39], v[154:155]
	v_add_co_u32 v16, vcc_lo, v16, s18
	s_wait_alu 0xfffd
	v_add_co_ci_u32_e64 v17, null, s19, v17, vcc_lo
	global_store_b128 v[4:5], v[40:43], off offset:768
	global_load_b128 v[40:43], v[2:3], off
	v_mul_f64_e32 v[4:5], s[40:41], v[154:155]
	v_fma_f64 v[6:7], s[40:41], v[18:19], v[6:7]
	s_delay_alu instid0(VALU_DEP_2) | instskip(SKIP_4) | instid1(VALU_DEP_2)
	v_fma_f64 v[4:5], s[38:39], v[18:19], -v[4:5]
	scratch_load_b64 v[18:19], off, off offset:8 th:TH_LOAD_LU ; 8-byte Folded Reload
	s_wait_loadcnt 0x1
	v_mul_f64_e32 v[8:9], s[8:9], v[42:43]
	v_mul_f64_e32 v[10:11], s[6:7], v[42:43]
	v_fma_f64 v[8:9], s[6:7], v[40:41], -v[8:9]
	s_delay_alu instid0(VALU_DEP_2) | instskip(NEXT) | instid1(VALU_DEP_2)
	v_fma_f64 v[10:11], s[8:9], v[40:41], v[10:11]
	v_add_f64_e32 v[36:37], v[4:5], v[8:9]
	s_delay_alu instid0(VALU_DEP_2)
	v_add_f64_e32 v[38:39], v[6:7], v[10:11]
	v_add_co_u32 v4, vcc_lo, v16, v0
	s_wait_alu 0xfffd
	v_add_co_ci_u32_e64 v5, null, v17, v1, vcc_lo
	v_mul_f64_e32 v[6:7], s[40:41], v[152:153]
	v_mul_f64_e32 v[8:9], s[38:39], v[152:153]
	global_store_b128 v[4:5], v[36:39], off
	global_load_b128 v[36:39], v[2:3], off offset:256
	v_fma_f64 v[6:7], s[38:39], v[20:21], -v[6:7]
	v_fma_f64 v[8:9], s[40:41], v[20:21], v[8:9]
	s_wait_loadcnt 0x0
	v_mul_f64_e32 v[10:11], s[8:9], v[38:39]
	v_mul_f64_e32 v[12:13], s[6:7], v[38:39]
	s_delay_alu instid0(VALU_DEP_2) | instskip(NEXT) | instid1(VALU_DEP_2)
	v_fma_f64 v[10:11], s[6:7], v[36:37], -v[10:11]
	v_fma_f64 v[12:13], s[8:9], v[36:37], v[12:13]
	s_delay_alu instid0(VALU_DEP_2) | instskip(NEXT) | instid1(VALU_DEP_2)
	v_add_f64_e32 v[32:33], v[6:7], v[10:11]
	v_add_f64_e32 v[34:35], v[8:9], v[12:13]
	v_mul_f64_e32 v[6:7], s[40:41], v[150:151]
	v_mul_f64_e32 v[8:9], s[38:39], v[150:151]
	global_store_b128 v[4:5], v[32:35], off offset:256
	global_load_b128 v[32:35], v[2:3], off offset:512
	v_fma_f64 v[6:7], s[38:39], v[18:19], -v[6:7]
	v_fma_f64 v[8:9], s[40:41], v[18:19], v[8:9]
	scratch_load_b64 v[18:19], off, off th:TH_LOAD_LU ; 8-byte Folded Reload
	s_wait_loadcnt 0x1
	v_mul_f64_e32 v[10:11], s[8:9], v[34:35]
	v_mul_f64_e32 v[12:13], s[6:7], v[34:35]
	s_delay_alu instid0(VALU_DEP_2) | instskip(NEXT) | instid1(VALU_DEP_2)
	v_fma_f64 v[10:11], s[6:7], v[32:33], -v[10:11]
	v_fma_f64 v[12:13], s[8:9], v[32:33], v[12:13]
	s_delay_alu instid0(VALU_DEP_2) | instskip(NEXT) | instid1(VALU_DEP_2)
	v_add_f64_e32 v[28:29], v[6:7], v[10:11]
	v_add_f64_e32 v[30:31], v[8:9], v[12:13]
	v_mul_f64_e32 v[6:7], s[38:39], v[148:149]
	global_store_b128 v[4:5], v[28:31], off offset:512
	global_load_b128 v[28:31], v[2:3], off offset:768
	v_mul_f64_e32 v[2:3], s[40:41], v[148:149]
	s_wait_loadcnt 0x1
	v_fma_f64 v[6:7], s[40:41], v[18:19], v[6:7]
	s_delay_alu instid0(VALU_DEP_2) | instskip(SKIP_3) | instid1(VALU_DEP_2)
	v_fma_f64 v[2:3], s[38:39], v[18:19], -v[2:3]
	s_wait_loadcnt 0x0
	v_mul_f64_e32 v[8:9], s[8:9], v[30:31]
	v_mul_f64_e32 v[10:11], s[6:7], v[30:31]
	v_fma_f64 v[8:9], s[6:7], v[28:29], -v[8:9]
	s_delay_alu instid0(VALU_DEP_2) | instskip(NEXT) | instid1(VALU_DEP_2)
	v_fma_f64 v[10:11], s[8:9], v[28:29], v[10:11]
	v_add_f64_e32 v[24:25], v[2:3], v[8:9]
	s_delay_alu instid0(VALU_DEP_2) | instskip(SKIP_4) | instid1(VALU_DEP_3)
	v_add_f64_e32 v[26:27], v[6:7], v[10:11]
	v_add_co_u32 v2, vcc_lo, v14, s12
	s_wait_alu 0xfffd
	v_add_co_ci_u32_e64 v3, null, s13, v15, vcc_lo
	v_mul_f64_e32 v[6:7], s[38:39], v[146:147]
	v_add_co_u32 v2, vcc_lo, v2, v0
	s_wait_alu 0xfffd
	s_delay_alu instid0(VALU_DEP_3) | instskip(SKIP_4) | instid1(VALU_DEP_2)
	v_add_co_ci_u32_e64 v3, null, v3, v1, vcc_lo
	global_store_b128 v[4:5], v[24:27], off offset:768
	global_load_b128 v[24:27], v[2:3], off
	v_mul_f64_e32 v[4:5], s[40:41], v[146:147]
	v_fma_f64 v[6:7], s[40:41], v[178:179], v[6:7]
	v_fma_f64 v[4:5], s[38:39], v[178:179], -v[4:5]
	s_wait_loadcnt 0x0
	v_mul_f64_e32 v[8:9], s[8:9], v[26:27]
	v_mul_f64_e32 v[10:11], s[6:7], v[26:27]
	s_delay_alu instid0(VALU_DEP_2) | instskip(NEXT) | instid1(VALU_DEP_2)
	v_fma_f64 v[8:9], s[6:7], v[24:25], -v[8:9]
	v_fma_f64 v[10:11], s[8:9], v[24:25], v[10:11]
	s_delay_alu instid0(VALU_DEP_2) | instskip(NEXT) | instid1(VALU_DEP_2)
	v_add_f64_e32 v[20:21], v[4:5], v[8:9]
	v_add_f64_e32 v[22:23], v[6:7], v[10:11]
	v_add_co_u32 v4, vcc_lo, v16, s18
	s_wait_alu 0xfffd
	v_add_co_ci_u32_e64 v5, null, s19, v17, vcc_lo
	v_mul_f64_e32 v[6:7], s[38:39], v[206:207]
	s_delay_alu instid0(VALU_DEP_3) | instskip(SKIP_1) | instid1(VALU_DEP_3)
	v_add_co_u32 v0, vcc_lo, v4, v0
	s_wait_alu 0xfffd
	v_add_co_ci_u32_e64 v1, null, v5, v1, vcc_lo
	v_mul_f64_e32 v[4:5], s[40:41], v[206:207]
	s_delay_alu instid0(VALU_DEP_3) | instskip(SKIP_1) | instid1(VALU_DEP_3)
	v_add_co_u32 v74, vcc_lo, 0x300, v0
	s_wait_alu 0xfffd
	v_add_co_ci_u32_e64 v75, null, 0, v1, vcc_lo
	global_store_b128 v[0:1], v[20:23], off
	global_load_b128 v[20:23], v[2:3], off offset:256
	v_fma_f64 v[6:7], s[40:41], v[254:255], v[6:7]
	v_fma_f64 v[4:5], s[38:39], v[254:255], -v[4:5]
	s_wait_loadcnt 0x0
	v_mul_f64_e32 v[8:9], s[8:9], v[22:23]
	v_mul_f64_e32 v[10:11], s[6:7], v[22:23]
	s_delay_alu instid0(VALU_DEP_2) | instskip(NEXT) | instid1(VALU_DEP_2)
	v_fma_f64 v[8:9], s[6:7], v[20:21], -v[8:9]
	v_fma_f64 v[10:11], s[8:9], v[20:21], v[10:11]
	s_delay_alu instid0(VALU_DEP_2) | instskip(NEXT) | instid1(VALU_DEP_2)
	v_add_f64_e32 v[16:17], v[4:5], v[8:9]
	v_add_f64_e32 v[18:19], v[6:7], v[10:11]
	v_mul_f64_e32 v[4:5], s[40:41], v[140:141]
	v_mul_f64_e32 v[6:7], s[38:39], v[140:141]
	global_store_b128 v[0:1], v[16:19], off offset:256
	global_load_b128 v[16:19], v[2:3], off offset:512
	v_fma_f64 v[4:5], s[38:39], v[144:145], -v[4:5]
	v_fma_f64 v[6:7], s[40:41], v[144:145], v[6:7]
	s_wait_loadcnt 0x0
	v_mul_f64_e32 v[8:9], s[8:9], v[18:19]
	v_mul_f64_e32 v[10:11], s[6:7], v[18:19]
	s_delay_alu instid0(VALU_DEP_2) | instskip(NEXT) | instid1(VALU_DEP_2)
	v_fma_f64 v[8:9], s[6:7], v[16:17], -v[8:9]
	v_fma_f64 v[10:11], s[8:9], v[16:17], v[10:11]
	s_delay_alu instid0(VALU_DEP_2) | instskip(NEXT) | instid1(VALU_DEP_2)
	v_add_f64_e32 v[12:13], v[4:5], v[8:9]
	v_add_f64_e32 v[14:15], v[6:7], v[10:11]
	v_mul_f64_e32 v[4:5], s[38:39], v[138:139]
	global_store_b128 v[0:1], v[12:15], off offset:512
	global_load_b128 v[12:15], v[2:3], off offset:768
	v_mul_f64_e32 v[2:3], s[40:41], v[138:139]
	v_fma_f64 v[4:5], s[40:41], v[136:137], v[4:5]
	s_delay_alu instid0(VALU_DEP_2) | instskip(SKIP_3) | instid1(VALU_DEP_2)
	v_fma_f64 v[2:3], s[38:39], v[136:137], -v[2:3]
	s_wait_loadcnt 0x0
	v_mul_f64_e32 v[6:7], s[8:9], v[14:15]
	v_mul_f64_e32 v[8:9], s[6:7], v[14:15]
	v_fma_f64 v[6:7], s[6:7], v[12:13], -v[6:7]
	s_delay_alu instid0(VALU_DEP_2) | instskip(NEXT) | instid1(VALU_DEP_2)
	v_fma_f64 v[8:9], s[8:9], v[12:13], v[8:9]
	v_add_f64_e32 v[2:3], v[2:3], v[6:7]
	s_delay_alu instid0(VALU_DEP_2)
	v_add_f64_e32 v[72:73], v[4:5], v[8:9]
	global_store_b64 v[0:1], v[2:3], off offset:768
	s_branch .LBB123_2
.LBB123_11:
	s_nop 0
	s_sendmsg sendmsg(MSG_DEALLOC_VGPRS)
	s_endpgm
	.section	.rodata,"a",@progbits
	.p2align	6, 0x0
	.amdhsa_kernel _ZN12_GLOBAL__N_127rocblas_gemm_batched_kernelI19rocblas_complex_numIdELi16ELi16ELi64ELi64ELi4ELi64ELi4ELi4ELi64ELc67ELc78EKS2_S3_S2_EEvlllT_PT11_llS6_llS4_PT12_llPT13_lli
		.amdhsa_group_segment_fixed_size 8192
		.amdhsa_private_segment_fixed_size 380
		.amdhsa_kernarg_size 156
		.amdhsa_user_sgpr_count 2
		.amdhsa_user_sgpr_dispatch_ptr 0
		.amdhsa_user_sgpr_queue_ptr 0
		.amdhsa_user_sgpr_kernarg_segment_ptr 1
		.amdhsa_user_sgpr_dispatch_id 0
		.amdhsa_user_sgpr_private_segment_size 0
		.amdhsa_wavefront_size32 1
		.amdhsa_uses_dynamic_stack 0
		.amdhsa_enable_private_segment 1
		.amdhsa_system_sgpr_workgroup_id_x 1
		.amdhsa_system_sgpr_workgroup_id_y 1
		.amdhsa_system_sgpr_workgroup_id_z 1
		.amdhsa_system_sgpr_workgroup_info 0
		.amdhsa_system_vgpr_workitem_id 1
		.amdhsa_next_free_vgpr 256
		.amdhsa_next_free_sgpr 52
		.amdhsa_reserve_vcc 1
		.amdhsa_float_round_mode_32 0
		.amdhsa_float_round_mode_16_64 0
		.amdhsa_float_denorm_mode_32 3
		.amdhsa_float_denorm_mode_16_64 3
		.amdhsa_fp16_overflow 0
		.amdhsa_workgroup_processor_mode 1
		.amdhsa_memory_ordered 1
		.amdhsa_forward_progress 1
		.amdhsa_inst_pref_size 68
		.amdhsa_round_robin_scheduling 0
		.amdhsa_exception_fp_ieee_invalid_op 0
		.amdhsa_exception_fp_denorm_src 0
		.amdhsa_exception_fp_ieee_div_zero 0
		.amdhsa_exception_fp_ieee_overflow 0
		.amdhsa_exception_fp_ieee_underflow 0
		.amdhsa_exception_fp_ieee_inexact 0
		.amdhsa_exception_int_div_zero 0
	.end_amdhsa_kernel
	.section	.text._ZN12_GLOBAL__N_127rocblas_gemm_batched_kernelI19rocblas_complex_numIdELi16ELi16ELi64ELi64ELi4ELi64ELi4ELi4ELi64ELc67ELc78EKS2_S3_S2_EEvlllT_PT11_llS6_llS4_PT12_llPT13_lli,"axG",@progbits,_ZN12_GLOBAL__N_127rocblas_gemm_batched_kernelI19rocblas_complex_numIdELi16ELi16ELi64ELi64ELi4ELi64ELi4ELi4ELi64ELc67ELc78EKS2_S3_S2_EEvlllT_PT11_llS6_llS4_PT12_llPT13_lli,comdat
.Lfunc_end123:
	.size	_ZN12_GLOBAL__N_127rocblas_gemm_batched_kernelI19rocblas_complex_numIdELi16ELi16ELi64ELi64ELi4ELi64ELi4ELi4ELi64ELc67ELc78EKS2_S3_S2_EEvlllT_PT11_llS6_llS4_PT12_llPT13_lli, .Lfunc_end123-_ZN12_GLOBAL__N_127rocblas_gemm_batched_kernelI19rocblas_complex_numIdELi16ELi16ELi64ELi64ELi4ELi64ELi4ELi4ELi64ELc67ELc78EKS2_S3_S2_EEvlllT_PT11_llS6_llS4_PT12_llPT13_lli
                                        ; -- End function
	.set _ZN12_GLOBAL__N_127rocblas_gemm_batched_kernelI19rocblas_complex_numIdELi16ELi16ELi64ELi64ELi4ELi64ELi4ELi4ELi64ELc67ELc78EKS2_S3_S2_EEvlllT_PT11_llS6_llS4_PT12_llPT13_lli.num_vgpr, 256
	.set _ZN12_GLOBAL__N_127rocblas_gemm_batched_kernelI19rocblas_complex_numIdELi16ELi16ELi64ELi64ELi4ELi64ELi4ELi4ELi64ELc67ELc78EKS2_S3_S2_EEvlllT_PT11_llS6_llS4_PT12_llPT13_lli.num_agpr, 0
	.set _ZN12_GLOBAL__N_127rocblas_gemm_batched_kernelI19rocblas_complex_numIdELi16ELi16ELi64ELi64ELi4ELi64ELi4ELi4ELi64ELc67ELc78EKS2_S3_S2_EEvlllT_PT11_llS6_llS4_PT12_llPT13_lli.numbered_sgpr, 52
	.set _ZN12_GLOBAL__N_127rocblas_gemm_batched_kernelI19rocblas_complex_numIdELi16ELi16ELi64ELi64ELi4ELi64ELi4ELi4ELi64ELc67ELc78EKS2_S3_S2_EEvlllT_PT11_llS6_llS4_PT12_llPT13_lli.num_named_barrier, 0
	.set _ZN12_GLOBAL__N_127rocblas_gemm_batched_kernelI19rocblas_complex_numIdELi16ELi16ELi64ELi64ELi4ELi64ELi4ELi4ELi64ELc67ELc78EKS2_S3_S2_EEvlllT_PT11_llS6_llS4_PT12_llPT13_lli.private_seg_size, 380
	.set _ZN12_GLOBAL__N_127rocblas_gemm_batched_kernelI19rocblas_complex_numIdELi16ELi16ELi64ELi64ELi4ELi64ELi4ELi4ELi64ELc67ELc78EKS2_S3_S2_EEvlllT_PT11_llS6_llS4_PT12_llPT13_lli.uses_vcc, 1
	.set _ZN12_GLOBAL__N_127rocblas_gemm_batched_kernelI19rocblas_complex_numIdELi16ELi16ELi64ELi64ELi4ELi64ELi4ELi4ELi64ELc67ELc78EKS2_S3_S2_EEvlllT_PT11_llS6_llS4_PT12_llPT13_lli.uses_flat_scratch, 1
	.set _ZN12_GLOBAL__N_127rocblas_gemm_batched_kernelI19rocblas_complex_numIdELi16ELi16ELi64ELi64ELi4ELi64ELi4ELi4ELi64ELc67ELc78EKS2_S3_S2_EEvlllT_PT11_llS6_llS4_PT12_llPT13_lli.has_dyn_sized_stack, 0
	.set _ZN12_GLOBAL__N_127rocblas_gemm_batched_kernelI19rocblas_complex_numIdELi16ELi16ELi64ELi64ELi4ELi64ELi4ELi4ELi64ELc67ELc78EKS2_S3_S2_EEvlllT_PT11_llS6_llS4_PT12_llPT13_lli.has_recursion, 0
	.set _ZN12_GLOBAL__N_127rocblas_gemm_batched_kernelI19rocblas_complex_numIdELi16ELi16ELi64ELi64ELi4ELi64ELi4ELi4ELi64ELc67ELc78EKS2_S3_S2_EEvlllT_PT11_llS6_llS4_PT12_llPT13_lli.has_indirect_call, 0
	.section	.AMDGPU.csdata,"",@progbits
; Kernel info:
; codeLenInByte = 8580
; TotalNumSgprs: 54
; NumVgprs: 256
; ScratchSize: 380
; MemoryBound: 0
; FloatMode: 240
; IeeeMode: 1
; LDSByteSize: 8192 bytes/workgroup (compile time only)
; SGPRBlocks: 0
; VGPRBlocks: 31
; NumSGPRsForWavesPerEU: 54
; NumVGPRsForWavesPerEU: 256
; Occupancy: 5
; WaveLimiterHint : 1
; COMPUTE_PGM_RSRC2:SCRATCH_EN: 1
; COMPUTE_PGM_RSRC2:USER_SGPR: 2
; COMPUTE_PGM_RSRC2:TRAP_HANDLER: 0
; COMPUTE_PGM_RSRC2:TGID_X_EN: 1
; COMPUTE_PGM_RSRC2:TGID_Y_EN: 1
; COMPUTE_PGM_RSRC2:TGID_Z_EN: 1
; COMPUTE_PGM_RSRC2:TIDIG_COMP_CNT: 1
	.section	.text._ZN12_GLOBAL__N_127rocblas_gemm_batched_kernelI19rocblas_complex_numIdELi16ELi16ELi64ELi64ELi4ELi64ELi4ELi4ELi64ELc67ELc84EKS2_S3_S2_EEvlllT_PT11_llS6_llS4_PT12_llPT13_lli,"axG",@progbits,_ZN12_GLOBAL__N_127rocblas_gemm_batched_kernelI19rocblas_complex_numIdELi16ELi16ELi64ELi64ELi4ELi64ELi4ELi4ELi64ELc67ELc84EKS2_S3_S2_EEvlllT_PT11_llS6_llS4_PT12_llPT13_lli,comdat
	.globl	_ZN12_GLOBAL__N_127rocblas_gemm_batched_kernelI19rocblas_complex_numIdELi16ELi16ELi64ELi64ELi4ELi64ELi4ELi4ELi64ELc67ELc84EKS2_S3_S2_EEvlllT_PT11_llS6_llS4_PT12_llPT13_lli ; -- Begin function _ZN12_GLOBAL__N_127rocblas_gemm_batched_kernelI19rocblas_complex_numIdELi16ELi16ELi64ELi64ELi4ELi64ELi4ELi4ELi64ELc67ELc84EKS2_S3_S2_EEvlllT_PT11_llS6_llS4_PT12_llPT13_lli
	.p2align	8
	.type	_ZN12_GLOBAL__N_127rocblas_gemm_batched_kernelI19rocblas_complex_numIdELi16ELi16ELi64ELi64ELi4ELi64ELi4ELi4ELi64ELc67ELc84EKS2_S3_S2_EEvlllT_PT11_llS6_llS4_PT12_llPT13_lli,@function
_ZN12_GLOBAL__N_127rocblas_gemm_batched_kernelI19rocblas_complex_numIdELi16ELi16ELi64ELi64ELi4ELi64ELi4ELi4ELi64ELc67ELc84EKS2_S3_S2_EEvlllT_PT11_llS6_llS4_PT12_llPT13_lli: ; @_ZN12_GLOBAL__N_127rocblas_gemm_batched_kernelI19rocblas_complex_numIdELi16ELi16ELi64ELi64ELi4ELi64ELi4ELi4ELi64ELc67ELc84EKS2_S3_S2_EEvlllT_PT11_llS6_llS4_PT12_llPT13_lli
; %bb.0:
	s_load_b32 s26, s[0:1], 0x98
	s_lshr_b32 s2, ttmp7, 16
	s_wait_kmcnt 0x0
	s_cmp_ge_i32 s2, s26
	s_cbranch_scc1 .LBB124_11
; %bb.1:
	s_clause 0x2
	s_load_b512 s[4:19], s[0:1], 0x50
	s_load_b512 s[36:51], s[0:1], 0x10
	s_load_b64 s[20:21], s[0:1], 0x90
	v_and_b32_e32 v13, 0x3ff, v0
	v_bfe_u32 v2, v0, 10, 10
	s_mov_b32 s22, ttmp9
	s_ashr_i32 s23, ttmp9, 31
	s_lshl_b32 s24, ttmp7, 6
	s_lshl_b64 s[0:1], s[22:23], 6
	v_lshl_add_u32 v3, v2, 4, v13
	s_and_b32 s22, s24, 0x3fffc0
	v_lshl_add_u32 v205, v2, 6, 0x1000
	v_add_nc_u32_e32 v12, s22, v2
	s_mov_b32 s3, 0
	v_lshrrev_b32_e32 v9, 2, v3
	v_and_b32_e32 v11, 63, v3
	v_lshrrev_b32_e32 v14, 6, v3
	s_delay_alu instid0(VALU_DEP_2) | instskip(SKIP_4) | instid1(VALU_DEP_1)
	v_or_b32_e32 v3, s0, v11
	s_wait_kmcnt 0x0
	v_mad_co_u64_u32 v[17:18], null, v12, s18, 0
	v_and_b32_e32 v10, 3, v0
	v_add_co_u32 v0, s25, v9, s22
	v_add_co_ci_u32_e64 v1, null, 0, 0, s25
	v_mad_co_u64_u32 v[6:7], null, v12, s12, 0
	v_mul_lo_u32 v16, s45, v3
	s_delay_alu instid0(VALU_DEP_3)
	v_mad_co_u64_u32 v[4:5], null, s50, v10, v[0:1]
	v_dual_mov_b32 v1, v18 :: v_dual_lshlrev_b32 v8, 4, v10
	v_lshlrev_b32_e32 v0, 4, v11
	v_cmp_eq_f64_e64 s23, s[6:7], 0
	v_cmp_eq_f64_e64 s24, s[8:9], 0
	s_lshl_b64 s[4:5], s[4:5], 4
	v_lshl_or_b32 v15, v9, 6, v8
	v_mov_b32_e32 v2, v5
	v_mad_co_u64_u32 v[8:9], null, s44, v3, 0
	v_mov_b32_e32 v3, v7
	v_lshl_or_b32 v134, v14, 10, v0
	v_lshlrev_b32_e32 v0, 4, v14
	v_add_nc_u32_e32 v135, 0x1000, v15
	s_delay_alu instid0(VALU_DEP_4)
	v_mad_co_u64_u32 v[10:11], null, s51, v10, v[2:3]
	v_mad_co_u64_u32 v[1:2], null, v12, s19, v[1:2]
	;; [unrolled: 1-line block ×3, first 2 shown]
	v_add_co_u32 v2, s0, s0, v13
	s_wait_alu 0xf1ff
	v_add_co_ci_u32_e64 v3, null, s1, 0, s0
	s_mul_i32 s0, s44, s1
	v_mov_b32_e32 v18, v1
	s_wait_alu 0xfffe
	v_add3_u32 v9, v9, s0, v16
	v_mov_b32_e32 v7, v11
	scratch_store_b64 off, v[2:3], off offset:344 ; 8-byte Folded Spill
	v_dual_mov_b32 v5, v10 :: v_dual_lshlrev_b32 v204, 4, v13
	v_lshlrev_b64_e32 v[8:9], 4, v[8:9]
	v_lshlrev_b64_e32 v[6:7], 4, v[6:7]
	v_cmp_gt_i64_e64 s0, s[36:37], 0
	scratch_store_b64 off, v[17:18], off offset:336 ; 8-byte Folded Spill
	v_add_co_u32 v0, vcc_lo, v8, v0
	s_delay_alu instid0(VALU_DEP_1)
	v_add_co_ci_u32_e64 v1, null, 0, v9, vcc_lo
	v_add_co_u32 v2, vcc_lo, s10, v6
	s_and_b32 s27, s23, s24
	s_lshl_b64 s[22:23], s[18:19], 4
	s_lshl_b64 s[18:19], s[12:13], 4
	scratch_store_b32 off, v2, off offset:368 ; 4-byte Folded Spill
	s_wait_alu 0xfffd
	v_add_co_ci_u32_e64 v2, null, s11, v7, vcc_lo
	v_add_co_u32 v0, vcc_lo, s42, v0
	s_wait_alu 0xfffd
	v_add_co_ci_u32_e64 v1, null, s43, v1, vcc_lo
	v_lshlrev_b64_e32 v[6:7], 4, v[4:5]
	s_delay_alu instid0(VALU_DEP_3) | instskip(SKIP_1) | instid1(VALU_DEP_3)
	v_add_co_u32 v0, vcc_lo, v0, 8
	s_wait_alu 0xfffd
	v_add_co_ci_u32_e64 v1, null, 0, v1, vcc_lo
	scratch_store_b32 off, v2, off offset:372 ; 4-byte Folded Spill
	s_lshl_b64 s[10:11], s[46:47], 4
	s_lshl_b64 s[12:13], s[50:51], 6
	scratch_store_b64 off, v[0:1], off offset:352 ; 8-byte Folded Spill
	v_cndmask_b32_e64 v0, 0, 1, s0
	v_add_co_u32 v1, vcc_lo, s48, v6
	s_wait_alu 0xfffd
	v_add_co_ci_u32_e64 v2, null, s49, v7, vcc_lo
	s_delay_alu instid0(VALU_DEP_3)
	v_cmp_ne_u32_e64 s0, 1, v0
	s_wait_alu 0xfffe
	s_lshl_b64 s[18:19], s[18:19], 4
	s_lshl_b64 s[22:23], s[22:23], 4
	s_clause 0x2
	scratch_store_b64 off, v[1:2], off offset:360
	scratch_store_b32 off, v134, off offset:328
	scratch_store_b32 off, v135, off offset:332
	s_branch .LBB124_3
.LBB124_2:                              ;   in Loop: Header=BB124_3 Depth=1
	s_add_co_i32 s2, s2, 0x10000
	global_store_b64 v[74:75], v[72:73], off offset:8
	s_wait_alu 0xfffe
	s_cmp_lt_i32 s2, s26
	s_cbranch_scc0 .LBB124_11
.LBB124_3:                              ; =>This Loop Header: Depth=1
                                        ;     Child Loop BB124_5 Depth 2
	s_and_b32 vcc_lo, exec_lo, s0
	s_wait_alu 0xfffe
	s_cbranch_vccnz .LBB124_6
; %bb.4:                                ;   in Loop: Header=BB124_3 Depth=1
	scratch_load_b64 v[0:1], off, off offset:352 ; 8-byte Folded Reload
	v_mov_b32_e32 v144, 0
	v_mov_b32_e32 v30, 0
	v_dual_mov_b32 v31, 0 :: v_dual_mov_b32 v26, 0
	v_mov_b32_e32 v138, 0
	v_dual_mov_b32 v139, 0 :: v_dual_mov_b32 v140, 0
	v_mov_b32_e32 v206, 0
	v_mov_b32_e32 v254, 0
	v_dual_mov_b32 v72, 0 :: v_dual_mov_b32 v141, 0
	v_mov_b32_e32 v207, 0
	v_mov_b32_e32 v255, 0
	v_mov_b32_e32 v73, 0
	v_mov_b32_e32 v27, 0
	s_mov_b64 s[24:25], 0
	v_mov_b32_e32 v22, 0
	v_dual_mov_b32 v23, 0 :: v_dual_mov_b32 v18, 0
	v_dual_mov_b32 v19, 0 :: v_dual_mov_b32 v16, 0
	;; [unrolled: 1-line block ×17, first 2 shown]
	v_mov_b32_e32 v181, 0
	s_wait_loadcnt 0x0
	v_mad_co_u64_u32 v[24:25], null, s10, s2, v[0:1]
	scratch_load_b64 v[0:1], off, off offset:360 ; 8-byte Folded Reload
	v_dual_mov_b32 v145, 0 :: v_dual_mov_b32 v20, v25
	s_delay_alu instid0(VALU_DEP_1) | instskip(SKIP_2) | instid1(VALU_DEP_3)
	v_mad_co_u64_u32 v[28:29], null, s11, s2, v[20:21]
	v_mov_b32_e32 v20, 0
	v_mov_b32_e32 v21, 0
	;; [unrolled: 1-line block ×3, first 2 shown]
	s_wait_loadcnt 0x0
	v_mad_co_u64_u32 v[32:33], null, s4, s2, v[0:1]
	v_mov_b32_e32 v0, 0
	v_dual_mov_b32 v1, 0 :: v_dual_mov_b32 v178, 0
	v_mov_b32_e32 v179, 0
	scratch_store_b64 off, v[0:1], off      ; 8-byte Folded Spill
	v_mov_b32_e32 v0, 0
	v_mov_b32_e32 v1, 0
	v_mov_b32_e32 v29, v33
	scratch_store_b64 off, v[0:1], off offset:8 ; 8-byte Folded Spill
	v_mov_b32_e32 v0, 0
	v_mad_co_u64_u32 v[75:76], null, s5, s2, v[29:30]
	v_mov_b32_e32 v1, 0
	s_delay_alu instid0(VALU_DEP_2)
	v_dual_mov_b32 v33, v75 :: v_dual_mov_b32 v74, 0
	v_mov_b32_e32 v75, 0
.LBB124_5:                              ;   Parent Loop BB124_3 Depth=1
                                        ; =>  This Inner Loop Header: Depth=2
	s_clause 0x4
	scratch_store_b64 off, v[144:145], off offset:200
	scratch_store_b64 off, v[140:141], off offset:40
	;; [unrolled: 1-line block ×5, first 2 shown]
	global_load_b128 v[76:79], v[24:25], off offset:-8
	global_load_b128 v[80:83], v[32:33], off
	v_dual_mov_b32 v36, v172 :: v_dual_mov_b32 v37, v173
	v_dual_mov_b32 v28, v180 :: v_dual_mov_b32 v29, v181
	v_dual_mov_b32 v32, v178 :: v_dual_mov_b32 v33, v179
	s_wait_alu 0xfffe
	s_add_nc_u64 s[24:25], s[24:25], 4
	s_wait_loadcnt 0x1
	v_xor_b32_e32 v79, 0x80000000, v79
	s_wait_loadcnt 0x0
	ds_store_2addr_b64 v135, v[80:81], v[82:83] offset1:1
	ds_store_b128 v134, v[76:79]
	s_wait_storecnt_dscnt 0x0
	s_barrier_signal -1
	s_barrier_wait -1
	global_inv scope:SCOPE_SE
	ds_load_b128 v[90:93], v205
	ds_load_b128 v[126:129], v204
	ds_load_b128 v[130:133], v204 offset:256
	ds_load_b128 v[154:157], v205 offset:16
	s_wait_dscnt 0x2
	v_mul_f64_e32 v[76:77], v[92:93], v[128:129]
	v_mul_f64_e32 v[78:79], v[90:91], v[128:129]
	s_wait_dscnt 0x1
	v_mul_f64_e32 v[80:81], v[92:93], v[132:133]
	v_mul_f64_e32 v[82:83], v[90:91], v[132:133]
	s_delay_alu instid0(VALU_DEP_4)
	v_fma_f64 v[24:25], v[90:91], v[126:127], -v[76:77]
	scratch_store_b64 off, v[24:25], off offset:48 ; 8-byte Folded Spill
	v_fma_f64 v[24:25], v[92:93], v[126:127], v[78:79]
	scratch_store_b64 off, v[24:25], off offset:56 ; 8-byte Folded Spill
	v_fma_f64 v[24:25], v[90:91], v[130:131], -v[80:81]
	scratch_store_b64 off, v[24:25], off offset:64 ; 8-byte Folded Spill
	v_fma_f64 v[24:25], v[92:93], v[130:131], v[82:83]
	scratch_store_b64 off, v[24:25], off offset:72 ; 8-byte Folded Spill
	ds_load_b128 v[134:137], v204 offset:512
	ds_load_b128 v[138:141], v204 offset:768
	;; [unrolled: 1-line block ×4, first 2 shown]
	s_wait_dscnt 0x3
	v_mul_f64_e32 v[84:85], v[92:93], v[136:137]
	v_mul_f64_e32 v[86:87], v[90:91], v[136:137]
	s_wait_dscnt 0x2
	v_mul_f64_e32 v[88:89], v[92:93], v[140:141]
	s_wait_dscnt 0x1
	v_mul_f64_e32 v[94:95], v[106:107], v[128:129]
	v_mul_f64_e32 v[96:97], v[108:109], v[132:133]
	;; [unrolled: 1-line block ×6, first 2 shown]
	v_fma_f64 v[24:25], v[90:91], v[134:135], -v[84:85]
	scratch_store_b64 off, v[24:25], off offset:80 ; 8-byte Folded Spill
	v_fma_f64 v[24:25], v[92:93], v[134:135], v[86:87]
	scratch_store_b64 off, v[24:25], off offset:88 ; 8-byte Folded Spill
	v_fma_f64 v[24:25], v[90:91], v[138:139], -v[88:89]
	v_mul_f64_e32 v[90:91], v[90:91], v[140:141]
	scratch_store_b64 off, v[24:25], off offset:96 ; 8-byte Folded Spill
	v_fma_f64 v[24:25], v[92:93], v[138:139], v[90:91]
	v_mul_f64_e32 v[92:93], v[108:109], v[128:129]
	scratch_store_b64 off, v[24:25], off offset:104 ; 8-byte Folded Spill
	v_fma_f64 v[24:25], v[106:107], v[126:127], -v[92:93]
	scratch_store_b64 off, v[24:25], off offset:112 ; 8-byte Folded Spill
	v_fma_f64 v[24:25], v[108:109], v[126:127], v[94:95]
	scratch_store_b64 off, v[24:25], off offset:120 ; 8-byte Folded Spill
	v_fma_f64 v[24:25], v[106:107], v[130:131], -v[96:97]
	scratch_store_b64 off, v[24:25], off offset:128 ; 8-byte Folded Spill
	v_fma_f64 v[24:25], v[108:109], v[130:131], v[98:99]
	scratch_store_b64 off, v[24:25], off offset:136 ; 8-byte Folded Spill
	v_fma_f64 v[24:25], v[106:107], v[134:135], -v[100:101]
	scratch_store_b64 off, v[24:25], off offset:144 ; 8-byte Folded Spill
	v_fma_f64 v[24:25], v[108:109], v[134:135], v[102:103]
	scratch_store_b64 off, v[24:25], off offset:152 ; 8-byte Folded Spill
	v_fma_f64 v[24:25], v[106:107], v[138:139], -v[104:105]
	v_mul_f64_e32 v[106:107], v[106:107], v[140:141]
	scratch_store_b64 off, v[24:25], off offset:160 ; 8-byte Folded Spill
	v_fma_f64 v[24:25], v[108:109], v[138:139], v[106:107]
	scratch_store_b64 off, v[24:25], off offset:168 ; 8-byte Folded Spill
	ds_load_b128 v[122:125], v205 offset:2048
	ds_load_b128 v[186:189], v205 offset:2064
	s_wait_dscnt 0x1
	v_mul_f64_e32 v[108:109], v[124:125], v[128:129]
	v_mul_f64_e32 v[110:111], v[122:123], v[128:129]
	;; [unrolled: 1-line block ×7, first 2 shown]
	v_fma_f64 v[24:25], v[122:123], v[126:127], -v[108:109]
	scratch_store_b64 off, v[24:25], off offset:176 ; 8-byte Folded Spill
	v_fma_f64 v[24:25], v[124:125], v[126:127], v[110:111]
	scratch_store_b64 off, v[24:25], off offset:184 ; 8-byte Folded Spill
	v_fma_f64 v[24:25], v[122:123], v[130:131], -v[112:113]
	scratch_store_b64 off, v[24:25], off offset:192 ; 8-byte Folded Spill
	v_fma_f64 v[24:25], v[124:125], v[130:131], v[114:115]
	scratch_store_b64 off, v[24:25], off offset:208 ; 8-byte Folded Spill
	;; [unrolled: 4-line block ×3, first 2 shown]
	v_fma_f64 v[24:25], v[122:123], v[138:139], -v[120:121]
	v_mul_f64_e32 v[122:123], v[122:123], v[140:141]
	scratch_store_b64 off, v[24:25], off offset:232 ; 8-byte Folded Spill
	v_fma_f64 v[24:25], v[124:125], v[138:139], v[122:123]
	scratch_store_b64 off, v[24:25], off offset:240 ; 8-byte Folded Spill
	ds_load_b128 v[142:145], v205 offset:3072
	ds_load_b128 v[210:213], v205 offset:3088
	s_wait_dscnt 0x1
	v_mul_f64_e32 v[124:125], v[144:145], v[128:129]
	v_mul_f64_e32 v[128:129], v[142:143], v[128:129]
	s_delay_alu instid0(VALU_DEP_2)
	v_fma_f64 v[24:25], v[142:143], v[126:127], -v[124:125]
	scratch_store_b64 off, v[24:25], off offset:248 ; 8-byte Folded Spill
	v_fma_f64 v[24:25], v[144:145], v[126:127], v[128:129]
	v_mul_f64_e32 v[128:129], v[144:145], v[132:133]
	v_mul_f64_e32 v[132:133], v[142:143], v[132:133]
	scratch_store_b64 off, v[24:25], off offset:256 ; 8-byte Folded Spill
	v_fma_f64 v[24:25], v[142:143], v[130:131], -v[128:129]
	scratch_store_b64 off, v[24:25], off offset:264 ; 8-byte Folded Spill
	v_fma_f64 v[24:25], v[144:145], v[130:131], v[132:133]
	v_mul_f64_e32 v[132:133], v[144:145], v[136:137]
	v_mul_f64_e32 v[136:137], v[142:143], v[136:137]
	scratch_store_b64 off, v[24:25], off offset:272 ; 8-byte Folded Spill
	;; [unrolled: 6-line block ×3, first 2 shown]
	v_fma_f64 v[24:25], v[142:143], v[138:139], -v[136:137]
	scratch_store_b64 off, v[24:25], off offset:296 ; 8-byte Folded Spill
	v_fma_f64 v[24:25], v[144:145], v[138:139], v[140:141]
	scratch_store_b64 off, v[24:25], off offset:304 ; 8-byte Folded Spill
	ds_load_b128 v[190:193], v204 offset:1024
	ds_load_b128 v[194:197], v204 offset:1280
	s_wait_dscnt 0x1
	v_mul_f64_e32 v[140:141], v[156:157], v[192:193]
	s_wait_dscnt 0x0
	v_mul_f64_e32 v[144:145], v[156:157], v[196:197]
	v_mul_f64_e32 v[142:143], v[154:155], v[192:193]
	;; [unrolled: 1-line block ×9, first 2 shown]
	v_fma_f64 v[24:25], v[154:155], v[190:191], -v[140:141]
	v_fma_f64 v[144:145], v[154:155], v[194:195], -v[144:145]
	v_fma_f64 v[142:143], v[156:157], v[190:191], v[142:143]
	v_fma_f64 v[146:147], v[156:157], v[194:195], v[146:147]
	v_fma_f64 v[160:161], v[170:171], v[194:195], -v[160:161]
	v_fma_f64 v[158:159], v[172:173], v[190:191], v[158:159]
	v_fma_f64 v[176:177], v[186:187], v[194:195], -v[176:177]
	v_fma_f64 v[174:175], v[188:189], v[190:191], v[174:175]
	v_fma_f64 v[178:179], v[188:189], v[194:195], v[178:179]
	scratch_store_b64 off, v[24:25], off offset:312 ; 8-byte Folded Spill
	ds_load_b128 v[198:201], v204 offset:1536
	ds_load_b128 v[214:217], v204 offset:1792
	s_wait_dscnt 0x1
	v_mul_f64_e32 v[148:149], v[156:157], v[200:201]
	s_wait_dscnt 0x0
	v_mul_f64_e32 v[152:153], v[156:157], v[216:217]
	v_mul_f64_e32 v[150:151], v[154:155], v[200:201]
	;; [unrolled: 1-line block ×8, first 2 shown]
	v_fma_f64 v[148:149], v[154:155], v[198:199], -v[148:149]
	v_fma_f64 v[152:153], v[154:155], v[214:215], -v[152:153]
	v_mul_f64_e32 v[154:155], v[154:155], v[216:217]
	v_fma_f64 v[150:151], v[156:157], v[198:199], v[150:151]
	v_fma_f64 v[164:165], v[170:171], v[198:199], -v[164:165]
	v_fma_f64 v[168:169], v[170:171], v[214:215], -v[168:169]
	v_fma_f64 v[166:167], v[172:173], v[198:199], v[166:167]
	v_fma_f64 v[180:181], v[186:187], v[198:199], -v[180:181]
	v_fma_f64 v[184:185], v[186:187], v[214:215], -v[184:185]
	v_fma_f64 v[202:203], v[212:213], v[214:215], v[202:203]
	v_fma_f64 v[154:155], v[156:157], v[214:215], v[154:155]
	v_mul_f64_e32 v[156:157], v[172:173], v[192:193]
	s_delay_alu instid0(VALU_DEP_1)
	v_fma_f64 v[24:25], v[170:171], v[190:191], -v[156:157]
	v_mul_f64_e32 v[170:171], v[170:171], v[216:217]
	v_fma_f64 v[156:157], v[172:173], v[194:195], v[162:163]
	scratch_store_b64 off, v[24:25], off offset:320 ; 8-byte Folded Spill
	v_fma_f64 v[170:171], v[172:173], v[214:215], v[170:171]
	v_mul_f64_e32 v[172:173], v[188:189], v[192:193]
	v_dual_mov_b32 v24, v182 :: v_dual_mov_b32 v25, v183
	v_mul_f64_e32 v[182:183], v[186:187], v[200:201]
	s_delay_alu instid0(VALU_DEP_3) | instskip(SKIP_1) | instid1(VALU_DEP_3)
	v_fma_f64 v[172:173], v[186:187], v[190:191], -v[172:173]
	v_mul_f64_e32 v[186:187], v[186:187], v[216:217]
	v_fma_f64 v[182:183], v[188:189], v[198:199], v[182:183]
	s_delay_alu instid0(VALU_DEP_2) | instskip(SKIP_2) | instid1(VALU_DEP_2)
	v_fma_f64 v[186:187], v[188:189], v[214:215], v[186:187]
	v_mul_f64_e32 v[188:189], v[212:213], v[192:193]
	v_mul_f64_e32 v[192:193], v[210:211], v[192:193]
	v_fma_f64 v[188:189], v[210:211], v[190:191], -v[188:189]
	s_delay_alu instid0(VALU_DEP_2) | instskip(SKIP_2) | instid1(VALU_DEP_2)
	v_fma_f64 v[190:191], v[212:213], v[190:191], v[192:193]
	v_mul_f64_e32 v[192:193], v[212:213], v[196:197]
	v_mul_f64_e32 v[196:197], v[210:211], v[196:197]
	v_fma_f64 v[192:193], v[210:211], v[194:195], -v[192:193]
	;; [unrolled: 5-line block ×3, first 2 shown]
	s_delay_alu instid0(VALU_DEP_2) | instskip(SKIP_1) | instid1(VALU_DEP_1)
	v_fma_f64 v[198:199], v[212:213], v[198:199], v[200:201]
	v_mul_f64_e32 v[200:201], v[212:213], v[216:217]
	v_fma_f64 v[200:201], v[210:211], v[214:215], -v[200:201]
	ds_load_b128 v[210:213], v205 offset:32
	ds_load_b128 v[214:217], v204 offset:2048
	;; [unrolled: 1-line block ×4, first 2 shown]
	s_wait_dscnt 0x2
	v_mul_f64_e32 v[226:227], v[212:213], v[216:217]
	s_delay_alu instid0(VALU_DEP_1) | instskip(SKIP_1) | instid1(VALU_DEP_1)
	v_fma_f64 v[136:137], v[210:211], v[214:215], -v[226:227]
	v_mul_f64_e32 v[226:227], v[210:211], v[216:217]
	v_fma_f64 v[134:135], v[212:213], v[214:215], v[226:227]
	s_wait_dscnt 0x1
	v_mul_f64_e32 v[226:227], v[212:213], v[220:221]
	s_delay_alu instid0(VALU_DEP_1) | instskip(SKIP_1) | instid1(VALU_DEP_1)
	v_fma_f64 v[132:133], v[210:211], v[218:219], -v[226:227]
	v_mul_f64_e32 v[226:227], v[210:211], v[220:221]
	v_fma_f64 v[130:131], v[212:213], v[218:219], v[226:227]
	ds_load_b128 v[226:229], v204 offset:2560
	ds_load_b128 v[230:233], v204 offset:2816
	s_wait_dscnt 0x1
	v_mul_f64_e32 v[234:235], v[212:213], v[228:229]
	s_delay_alu instid0(VALU_DEP_1) | instskip(SKIP_1) | instid1(VALU_DEP_1)
	v_fma_f64 v[128:129], v[210:211], v[226:227], -v[234:235]
	v_mul_f64_e32 v[234:235], v[210:211], v[228:229]
	v_fma_f64 v[126:127], v[212:213], v[226:227], v[234:235]
	s_wait_dscnt 0x0
	v_mul_f64_e32 v[234:235], v[212:213], v[232:233]
	s_delay_alu instid0(VALU_DEP_1) | instskip(SKIP_1) | instid1(VALU_DEP_1)
	v_fma_f64 v[124:125], v[210:211], v[230:231], -v[234:235]
	v_mul_f64_e32 v[210:211], v[210:211], v[232:233]
	v_fma_f64 v[122:123], v[212:213], v[230:231], v[210:211]
	ds_load_b128 v[210:213], v205 offset:1056
	ds_load_b128 v[234:237], v205 offset:1072
	s_wait_dscnt 0x1
	v_mul_f64_e32 v[238:239], v[212:213], v[216:217]
	s_delay_alu instid0(VALU_DEP_1) | instskip(SKIP_1) | instid1(VALU_DEP_1)
	v_fma_f64 v[162:163], v[210:211], v[214:215], -v[238:239]
	v_mul_f64_e32 v[238:239], v[210:211], v[216:217]
	v_fma_f64 v[120:121], v[212:213], v[214:215], v[238:239]
	v_mul_f64_e32 v[238:239], v[212:213], v[220:221]
	s_delay_alu instid0(VALU_DEP_1) | instskip(SKIP_1) | instid1(VALU_DEP_1)
	v_fma_f64 v[118:119], v[210:211], v[218:219], -v[238:239]
	v_mul_f64_e32 v[238:239], v[210:211], v[220:221]
	v_fma_f64 v[116:117], v[212:213], v[218:219], v[238:239]
	;; [unrolled: 5-line block ×4, first 2 shown]
	ds_load_b128 v[210:213], v205 offset:2080
	ds_load_b128 v[238:241], v205 offset:2096
	s_wait_dscnt 0x1
	v_mul_f64_e32 v[242:243], v[212:213], v[216:217]
	s_delay_alu instid0(VALU_DEP_1) | instskip(SKIP_1) | instid1(VALU_DEP_1)
	v_fma_f64 v[106:107], v[210:211], v[214:215], -v[242:243]
	v_mul_f64_e32 v[242:243], v[210:211], v[216:217]
	v_fma_f64 v[104:105], v[212:213], v[214:215], v[242:243]
	v_mul_f64_e32 v[242:243], v[212:213], v[220:221]
	s_delay_alu instid0(VALU_DEP_1) | instskip(SKIP_1) | instid1(VALU_DEP_1)
	v_fma_f64 v[102:103], v[210:211], v[218:219], -v[242:243]
	v_mul_f64_e32 v[242:243], v[210:211], v[220:221]
	v_fma_f64 v[100:101], v[212:213], v[218:219], v[242:243]
	;; [unrolled: 5-line block ×4, first 2 shown]
	ds_load_b128 v[210:213], v205 offset:3104
	ds_load_b128 v[242:245], v205 offset:3120
	s_wait_dscnt 0x1
	v_mul_f64_e32 v[34:35], v[212:213], v[216:217]
	v_mul_f64_e32 v[216:217], v[210:211], v[216:217]
	s_delay_alu instid0(VALU_DEP_2) | instskip(NEXT) | instid1(VALU_DEP_2)
	v_fma_f64 v[90:91], v[210:211], v[214:215], -v[34:35]
	v_fma_f64 v[88:89], v[212:213], v[214:215], v[216:217]
	v_mul_f64_e32 v[214:215], v[212:213], v[220:221]
	s_delay_alu instid0(VALU_DEP_1) | instskip(SKIP_1) | instid1(VALU_DEP_1)
	v_fma_f64 v[38:39], v[210:211], v[218:219], -v[214:215]
	v_mul_f64_e32 v[214:215], v[210:211], v[220:221]
	v_fma_f64 v[40:41], v[212:213], v[218:219], v[214:215]
	v_mul_f64_e32 v[214:215], v[212:213], v[228:229]
	s_delay_alu instid0(VALU_DEP_1) | instskip(SKIP_1) | instid1(VALU_DEP_1)
	v_fma_f64 v[42:43], v[210:211], v[226:227], -v[214:215]
	v_mul_f64_e32 v[214:215], v[210:211], v[228:229]
	;; [unrolled: 5-line block ×3, first 2 shown]
	v_fma_f64 v[230:231], v[212:213], v[230:231], v[210:211]
	ds_load_b128 v[210:213], v204 offset:3072
	ds_load_b128 v[214:217], v204 offset:3328
	s_wait_dscnt 0x1
	v_mul_f64_e32 v[218:219], v[224:225], v[212:213]
	s_wait_dscnt 0x0
	v_mul_f64_e32 v[62:63], v[236:237], v[216:217]
	v_mul_f64_e32 v[60:61], v[234:235], v[212:213]
	;; [unrolled: 1-line block ×6, first 2 shown]
	v_fma_f64 v[232:233], v[222:223], v[210:211], -v[218:219]
	v_mul_f64_e32 v[218:219], v[222:223], v[212:213]
	v_fma_f64 v[62:63], v[234:235], v[214:215], -v[62:63]
	v_fma_f64 v[60:61], v[236:237], v[210:211], v[60:61]
	v_fma_f64 v[64:65], v[236:237], v[214:215], v[64:65]
	v_fma_f64 v[78:79], v[238:239], v[214:215], -v[78:79]
	v_fma_f64 v[76:77], v[240:241], v[210:211], v[76:77]
	v_fma_f64 v[80:81], v[240:241], v[214:215], v[80:81]
	;; [unrolled: 1-line block ×3, first 2 shown]
	v_mul_f64_e32 v[218:219], v[224:225], v[216:217]
	s_delay_alu instid0(VALU_DEP_1) | instskip(SKIP_1) | instid1(VALU_DEP_1)
	v_fma_f64 v[50:51], v[222:223], v[214:215], -v[218:219]
	v_mul_f64_e32 v[218:219], v[222:223], v[216:217]
	v_fma_f64 v[52:53], v[224:225], v[214:215], v[218:219]
	ds_load_b128 v[218:221], v204 offset:3584
	ds_load_b128 v[226:229], v204 offset:3840
	scratch_load_b64 v[34:35], off, off offset:48 th:TH_LOAD_LU ; 8-byte Folded Reload
	s_wait_dscnt 0x1
	v_mul_f64_e32 v[54:55], v[224:225], v[220:221]
	s_wait_dscnt 0x0
	v_mul_f64_e32 v[58:59], v[224:225], v[228:229]
	v_mul_f64_e32 v[56:57], v[222:223], v[220:221]
	;; [unrolled: 1-line block ×8, first 2 shown]
	v_fma_f64 v[54:55], v[222:223], v[218:219], -v[54:55]
	v_fma_f64 v[58:59], v[222:223], v[226:227], -v[58:59]
	v_mul_f64_e32 v[222:223], v[222:223], v[228:229]
	v_fma_f64 v[56:57], v[224:225], v[218:219], v[56:57]
	v_fma_f64 v[66:67], v[234:235], v[218:219], -v[66:67]
	v_fma_f64 v[70:71], v[234:235], v[226:227], -v[70:71]
	v_fma_f64 v[68:69], v[236:237], v[218:219], v[68:69]
	v_fma_f64 v[82:83], v[238:239], v[218:219], -v[82:83]
	v_fma_f64 v[86:87], v[238:239], v[226:227], -v[86:87]
	v_fma_f64 v[84:85], v[240:241], v[218:219], v[84:85]
	v_fma_f64 v[222:223], v[224:225], v[226:227], v[222:223]
	v_mul_f64_e32 v[224:225], v[236:237], v[212:213]
	s_delay_alu instid0(VALU_DEP_1) | instskip(SKIP_1) | instid1(VALU_DEP_1)
	v_fma_f64 v[224:225], v[234:235], v[210:211], -v[224:225]
	v_mul_f64_e32 v[234:235], v[234:235], v[228:229]
	v_fma_f64 v[234:235], v[236:237], v[226:227], v[234:235]
	v_mul_f64_e32 v[236:237], v[240:241], v[212:213]
	s_delay_alu instid0(VALU_DEP_1) | instskip(SKIP_1) | instid1(VALU_DEP_1)
	v_fma_f64 v[236:237], v[238:239], v[210:211], -v[236:237]
	v_mul_f64_e32 v[238:239], v[238:239], v[228:229]
	v_fma_f64 v[238:239], v[240:241], v[226:227], v[238:239]
	v_mul_f64_e32 v[240:241], v[244:245], v[212:213]
	v_mul_f64_e32 v[212:213], v[242:243], v[212:213]
	s_delay_alu instid0(VALU_DEP_2) | instskip(NEXT) | instid1(VALU_DEP_2)
	v_fma_f64 v[240:241], v[242:243], v[210:211], -v[240:241]
	v_fma_f64 v[210:211], v[244:245], v[210:211], v[212:213]
	v_mul_f64_e32 v[212:213], v[244:245], v[216:217]
	v_mul_f64_e32 v[216:217], v[242:243], v[216:217]
	s_delay_alu instid0(VALU_DEP_2) | instskip(NEXT) | instid1(VALU_DEP_2)
	v_fma_f64 v[212:213], v[242:243], v[214:215], -v[212:213]
	;; [unrolled: 5-line block ×4, first 2 shown]
	v_fma_f64 v[226:227], v[244:245], v[226:227], v[228:229]
	s_wait_loadcnt 0x0
	v_add_f64_e32 v[228:229], v[28:29], v[34:35]
	scratch_load_b64 v[28:29], off, off offset:56 th:TH_LOAD_LU ; 8-byte Folded Reload
	s_wait_loadcnt 0x0
	v_add_f64_e32 v[242:243], v[28:29], v[24:25]
	scratch_load_b64 v[24:25], off, off offset:64 th:TH_LOAD_LU ; 8-byte Folded Reload
	v_add_f64_e32 v[142:143], v[142:143], v[242:243]
	s_delay_alu instid0(VALU_DEP_1)
	v_add_f64_e32 v[134:135], v[134:135], v[142:143]
	s_wait_loadcnt 0x0
	v_add_f64_e32 v[244:245], v[36:37], v[24:25]
	scratch_load_b64 v[24:25], off, off offset:72 th:TH_LOAD_LU ; 8-byte Folded Reload
	v_dual_mov_b32 v36, v204 :: v_dual_mov_b32 v37, v205
	v_add_f64_e32 v[144:145], v[244:245], v[144:145]
	s_delay_alu instid0(VALU_DEP_1)
	v_add_f64_e32 v[132:133], v[144:145], v[132:133]
	s_wait_loadcnt 0x0
	v_add_f64_e32 v[204:205], v[24:25], v[208:209]
	scratch_load_b64 v[24:25], off, off offset:80 th:TH_LOAD_LU ; 8-byte Folded Reload
	v_add_f64_e32 v[146:147], v[146:147], v[204:205]
	v_dual_mov_b32 v205, v37 :: v_dual_mov_b32 v204, v36
	s_delay_alu instid0(VALU_DEP_2) | instskip(SKIP_4) | instid1(VALU_DEP_1)
	v_add_f64_e32 v[130:131], v[130:131], v[146:147]
	s_wait_loadcnt 0x0
	v_add_f64_e32 v[246:247], v[246:247], v[24:25]
	scratch_load_b64 v[24:25], off, off offset:88 th:TH_LOAD_LU ; 8-byte Folded Reload
	v_add_f64_e32 v[148:149], v[246:247], v[148:149]
	v_add_f64_e32 v[128:129], v[148:149], v[128:129]
	s_delay_alu instid0(VALU_DEP_1) | instskip(SKIP_4) | instid1(VALU_DEP_1)
	v_add_f64_e32 v[246:247], v[128:129], v[54:55]
	s_wait_loadcnt 0x0
	v_add_f64_e32 v[248:249], v[24:25], v[248:249]
	scratch_load_b64 v[24:25], off, off offset:96 th:TH_LOAD_LU ; 8-byte Folded Reload
	v_add_f64_e32 v[150:151], v[150:151], v[248:249]
	v_add_f64_e32 v[126:127], v[126:127], v[150:151]
	s_delay_alu instid0(VALU_DEP_1) | instskip(SKIP_4) | instid1(VALU_DEP_1)
	;; [unrolled: 7-line block ×3, first 2 shown]
	v_add_f64_e32 v[250:251], v[124:125], v[58:59]
	s_wait_loadcnt 0x0
	v_add_f64_e32 v[252:253], v[24:25], v[252:253]
	scratch_load_b64 v[24:25], off, off offset:112 th:TH_LOAD_LU ; 8-byte Folded Reload
	v_add_f64_e32 v[154:155], v[154:155], v[252:253]
	v_add_f64_e32 v[122:123], v[122:123], v[154:155]
	s_delay_alu instid0(VALU_DEP_1)
	v_add_f64_e32 v[252:253], v[222:223], v[122:123]
	s_wait_loadcnt 0x0
	v_add_f64_e32 v[0:1], v[0:1], v[24:25]
	scratch_load_b64 v[24:25], off, off offset:120 th:TH_LOAD_LU ; 8-byte Folded Reload
	s_wait_loadcnt 0x0
	v_add_f64_e32 v[2:3], v[24:25], v[2:3]
	scratch_load_b64 v[24:25], off, off offset:128 th:TH_LOAD_LU ; 8-byte Folded Reload
	v_add_f64_e32 v[2:3], v[158:159], v[2:3]
	s_delay_alu instid0(VALU_DEP_1) | instskip(NEXT) | instid1(VALU_DEP_1)
	v_add_f64_e32 v[2:3], v[120:121], v[2:3]
	v_add_f64_e32 v[2:3], v[60:61], v[2:3]
	s_wait_loadcnt 0x0
	v_add_f64_e32 v[4:5], v[4:5], v[24:25]
	scratch_load_b64 v[24:25], off, off offset:136 th:TH_LOAD_LU ; 8-byte Folded Reload
	v_add_f64_e32 v[4:5], v[4:5], v[160:161]
	s_delay_alu instid0(VALU_DEP_1) | instskip(NEXT) | instid1(VALU_DEP_1)
	v_add_f64_e32 v[4:5], v[4:5], v[118:119]
	v_add_f64_e32 v[4:5], v[4:5], v[62:63]
	;; [unrolled: 7-line block ×7, first 2 shown]
	s_wait_loadcnt 0x0
	v_add_f64_e32 v[16:17], v[16:17], v[24:25]
	scratch_load_b64 v[24:25], off, off offset:184 th:TH_LOAD_LU ; 8-byte Folded Reload
	v_add_f64_e32 v[16:17], v[16:17], v[172:173]
	v_add_f64_e32 v[172:173], v[132:133], v[50:51]
	s_delay_alu instid0(VALU_DEP_2) | instskip(NEXT) | instid1(VALU_DEP_1)
	v_add_f64_e32 v[16:17], v[16:17], v[106:107]
	v_add_f64_e32 v[16:17], v[16:17], v[236:237]
	s_wait_loadcnt 0x0
	v_add_f64_e32 v[18:19], v[24:25], v[18:19]
	scratch_load_b64 v[24:25], off, off offset:192 th:TH_LOAD_LU ; 8-byte Folded Reload
	v_add_f64_e32 v[18:19], v[174:175], v[18:19]
	s_delay_alu instid0(VALU_DEP_1) | instskip(NEXT) | instid1(VALU_DEP_1)
	v_add_f64_e32 v[18:19], v[104:105], v[18:19]
	v_add_f64_e32 v[18:19], v[76:77], v[18:19]
	s_wait_loadcnt 0x0
	v_add_f64_e32 v[20:21], v[20:21], v[24:25]
	scratch_load_b64 v[24:25], off, off offset:208 th:TH_LOAD_LU ; 8-byte Folded Reload
	v_add_f64_e32 v[20:21], v[20:21], v[176:177]
	s_delay_alu instid0(VALU_DEP_1) | instskip(NEXT) | instid1(VALU_DEP_1)
	v_add_f64_e32 v[20:21], v[20:21], v[102:103]
	v_add_f64_e32 v[20:21], v[20:21], v[78:79]
	s_wait_loadcnt 0x0
	v_add_f64_e32 v[22:23], v[24:25], v[22:23]
	s_clause 0x1
	scratch_load_b64 v[24:25], off, off offset:8 th:TH_LOAD_LU
	scratch_load_b64 v[28:29], off, off offset:216 th:TH_LOAD_LU
	v_add_f64_e32 v[22:23], v[178:179], v[22:23]
	s_delay_alu instid0(VALU_DEP_1) | instskip(NEXT) | instid1(VALU_DEP_1)
	v_add_f64_e32 v[22:23], v[100:101], v[22:23]
	v_add_f64_e32 v[22:23], v[80:81], v[22:23]
	s_wait_loadcnt 0x0
	v_add_f64_e32 v[24:25], v[24:25], v[28:29]
	scratch_load_b64 v[28:29], off, off offset:224 th:TH_LOAD_LU ; 8-byte Folded Reload
	v_add_f64_e32 v[24:25], v[24:25], v[180:181]
	s_delay_alu instid0(VALU_DEP_1) | instskip(NEXT) | instid1(VALU_DEP_1)
	v_add_f64_e32 v[24:25], v[24:25], v[98:99]
	v_add_f64_e32 v[24:25], v[24:25], v[82:83]
	s_wait_loadcnt 0x0
	v_add_f64_e32 v[26:27], v[28:29], v[26:27]
	s_clause 0x1
	scratch_load_b64 v[28:29], off, off th:TH_LOAD_LU
	scratch_load_b64 v[34:35], off, off offset:232 th:TH_LOAD_LU
	v_add_f64_e32 v[26:27], v[182:183], v[26:27]
	v_add_f64_e32 v[182:183], v[48:49], v[134:135]
	s_delay_alu instid0(VALU_DEP_2) | instskip(NEXT) | instid1(VALU_DEP_1)
	v_add_f64_e32 v[26:27], v[96:97], v[26:27]
	v_add_f64_e32 v[26:27], v[84:85], v[26:27]
	s_wait_loadcnt 0x0
	v_add_f64_e32 v[28:29], v[28:29], v[34:35]
	scratch_load_b64 v[34:35], off, off offset:240 th:TH_LOAD_LU ; 8-byte Folded Reload
	v_add_f64_e32 v[28:29], v[28:29], v[184:185]
	s_delay_alu instid0(VALU_DEP_1) | instskip(NEXT) | instid1(VALU_DEP_1)
	v_add_f64_e32 v[28:29], v[28:29], v[94:95]
	v_add_f64_e32 v[28:29], v[28:29], v[86:87]
	s_wait_loadcnt 0x0
	v_add_f64_e32 v[30:31], v[34:35], v[30:31]
	scratch_load_b64 v[34:35], off, off offset:248 th:TH_LOAD_LU ; 8-byte Folded Reload
	v_add_f64_e32 v[30:31], v[186:187], v[30:31]
	s_delay_alu instid0(VALU_DEP_1) | instskip(NEXT) | instid1(VALU_DEP_1)
	;; [unrolled: 7-line block ×3, first 2 shown]
	v_add_f64_e32 v[32:33], v[32:33], v[90:91]
	v_add_f64_e32 v[178:179], v[32:33], v[240:241]
	s_wait_loadcnt 0x0
	v_add_f64_e32 v[72:73], v[34:35], v[72:73]
	scratch_load_b64 v[34:35], off, off offset:264 th:TH_LOAD_LU ; 8-byte Folded Reload
	v_add_f64_e32 v[72:73], v[190:191], v[72:73]
	s_wait_loadcnt 0x0
	v_add_f64_e32 v[254:255], v[254:255], v[34:35]
	scratch_load_b64 v[34:35], off, off offset:272 th:TH_LOAD_LU ; 8-byte Folded Reload
	v_add_f64_e32 v[156:157], v[254:255], v[192:193]
	s_delay_alu instid0(VALU_DEP_1) | instskip(NEXT) | instid1(VALU_DEP_1)
	v_add_f64_e32 v[38:39], v[156:157], v[38:39]
	v_add_f64_e32 v[254:255], v[38:39], v[212:213]
	s_wait_loadcnt 0x0
	v_add_f64_e32 v[208:209], v[34:35], v[206:207]
	s_clause 0x1
	scratch_load_b64 v[34:35], off, off offset:200 th:TH_LOAD_LU
	scratch_load_b64 v[138:139], off, off offset:280 th:TH_LOAD_LU
	v_add_f64_e32 v[158:159], v[194:195], v[208:209]
	v_add_f64_e32 v[208:209], v[52:53], v[130:131]
	s_delay_alu instid0(VALU_DEP_2)
	v_add_f64_e32 v[40:41], v[40:41], v[158:159]
	s_wait_loadcnt 0x0
	v_add_f64_e32 v[206:207], v[34:35], v[138:139]
	s_clause 0x1
	scratch_load_b64 v[34:35], off, off offset:40 th:TH_LOAD_LU
	scratch_load_b64 v[138:139], off, off offset:288 th:TH_LOAD_LU
	v_add_f64_e32 v[160:161], v[206:207], v[196:197]
	v_add_f64_e32 v[206:207], v[214:215], v[40:41]
	s_delay_alu instid0(VALU_DEP_2) | instskip(NEXT) | instid1(VALU_DEP_1)
	v_add_f64_e32 v[42:43], v[160:161], v[42:43]
	v_add_f64_e32 v[144:145], v[42:43], v[216:217]
	s_wait_loadcnt 0x0
	v_add_f64_e32 v[34:35], v[138:139], v[34:35]
	scratch_load_b64 v[138:139], off, off offset:296 th:TH_LOAD_LU ; 8-byte Folded Reload
	v_add_f64_e32 v[34:35], v[198:199], v[34:35]
	s_delay_alu instid0(VALU_DEP_1)
	v_add_f64_e32 v[34:35], v[44:45], v[34:35]
	s_wait_loadcnt 0x0
	v_add_f64_e32 v[74:75], v[74:75], v[138:139]
	s_clause 0x2
	scratch_load_b64 v[138:139], off, off offset:32 th:TH_LOAD_LU
	scratch_load_b64 v[140:141], off, off offset:304 th:TH_LOAD_LU
	;; [unrolled: 1-line block ×3, first 2 shown]
	v_add_f64_e32 v[74:75], v[74:75], v[200:201]
	s_delay_alu instid0(VALU_DEP_1) | instskip(NEXT) | instid1(VALU_DEP_1)
	v_add_f64_e32 v[44:45], v[74:75], v[46:47]
	v_add_f64_e32 v[74:75], v[44:45], v[220:221]
	s_wait_loadcnt 0x1
	v_add_f64_e32 v[138:139], v[140:141], v[138:139]
	s_clause 0x2
	scratch_load_b64 v[140:141], off, off offset:312 th:TH_LOAD_LU
	scratch_load_b32 v135, off, off offset:332
	scratch_load_b32 v134, off, off offset:328
	s_clause 0x1
	scratch_store_b64 off, v[24:25], off offset:8
	scratch_store_b64 off, v[28:29], off
	s_clause 0x1
	scratch_load_b64 v[24:25], off, off offset:16 th:TH_LOAD_LU
	scratch_load_b64 v[32:33], off, off offset:24 th:TH_LOAD_LU
	s_wait_loadcnt 0x0
	s_wait_storecnt 0x0
	s_barrier_signal -1
	s_barrier_wait -1
	global_inv scope:SCOPE_SE
	v_add_f64_e32 v[0:1], v[0:1], v[36:37]
	v_add_f64_e32 v[36:37], v[88:89], v[72:73]
	;; [unrolled: 1-line block ×3, first 2 shown]
	s_delay_alu instid0(VALU_DEP_3) | instskip(NEXT) | instid1(VALU_DEP_3)
	v_add_f64_e32 v[0:1], v[0:1], v[162:163]
	v_add_f64_e32 v[72:73], v[210:211], v[36:37]
	s_delay_alu instid0(VALU_DEP_3) | instskip(NEXT) | instid1(VALU_DEP_3)
	v_add_f64_e32 v[46:47], v[230:231], v[138:139]
	v_add_f64_e32 v[0:1], v[0:1], v[224:225]
	s_delay_alu instid0(VALU_DEP_2)
	v_add_f64_e32 v[138:139], v[226:227], v[46:47]
	v_add_f64_e32 v[140:141], v[228:229], v[140:141]
	v_add_co_u32 v24, s1, v24, 64
	s_wait_alu 0xf1ff
	v_add_co_ci_u32_e64 v25, null, 0, v25, s1
	s_wait_alu 0xfffe
	v_cmp_lt_i64_e64 s1, s[24:25], s[36:37]
	v_add_co_u32 v32, vcc_lo, v32, s12
	s_wait_alu 0xfffd
	v_add_co_ci_u32_e64 v33, null, s13, v33, vcc_lo
	s_and_b32 vcc_lo, exec_lo, s1
	v_add_f64_e32 v[136:137], v[140:141], v[136:137]
	v_add_f64_e32 v[140:141], v[218:219], v[34:35]
	s_delay_alu instid0(VALU_DEP_2)
	v_add_f64_e32 v[180:181], v[136:137], v[232:233]
	s_wait_alu 0xfffe
	s_cbranch_vccnz .LBB124_5
	s_branch .LBB124_7
.LBB124_6:                              ;   in Loop: Header=BB124_3 Depth=1
	v_mov_b32_e32 v24, 0
	v_dual_mov_b32 v28, 0 :: v_dual_mov_b32 v25, 0
	v_dual_mov_b32 v26, 0 :: v_dual_mov_b32 v29, 0
	v_mov_b32_e32 v30, 0
	v_mov_b32_e32 v180, 0
	;; [unrolled: 1-line block ×14, first 2 shown]
	v_dual_mov_b32 v74, 0 :: v_dual_mov_b32 v181, 0
	v_dual_mov_b32 v182, 0 :: v_dual_mov_b32 v173, 0
	;; [unrolled: 1-line block ×15, first 2 shown]
	v_mov_b32_e32 v209, 0
	v_mov_b32_e32 v249, 0
	;; [unrolled: 1-line block ×9, first 2 shown]
	s_clause 0x1
	scratch_store_b64 off, v[24:25], off offset:8
	scratch_store_b64 off, v[28:29], off
	v_mov_b32_e32 v27, 0
	v_mov_b32_e32 v31, 0
	;; [unrolled: 1-line block ×6, first 2 shown]
.LBB124_7:                              ;   in Loop: Header=BB124_3 Depth=1
	s_mul_u64 s[24:25], s[20:21], s[2:3]
	v_dual_mov_b32 v153, v23 :: v_dual_mov_b32 v152, v22
	v_dual_mov_b32 v151, v27 :: v_dual_mov_b32 v150, v26
	;; [unrolled: 1-line block ×14, first 2 shown]
	s_wait_alu 0xfffe
	s_lshl_b64 s[24:25], s[24:25], 4
	s_and_not1_b32 vcc_lo, exec_lo, s27
	s_wait_alu 0xfffe
	s_add_nc_u64 s[24:25], s[16:17], s[24:25]
	s_mov_b32 s1, -1
                                        ; implicit-def: $vgpr72_vgpr73
                                        ; implicit-def: $vgpr74_vgpr75
	s_cbranch_vccz .LBB124_9
; %bb.8:                                ;   in Loop: Header=BB124_3 Depth=1
	s_wait_alu 0xfffe
	s_and_not1_b32 vcc_lo, exec_lo, s1
	s_wait_alu 0xfffe
	s_cbranch_vccnz .LBB124_2
	s_branch .LBB124_10
.LBB124_9:                              ;   in Loop: Header=BB124_3 Depth=1
	v_mul_f64_e32 v[10:11], s[38:39], v[248:249]
	v_dual_mov_b32 v18, v170 :: v_dual_mov_b32 v19, v171
	v_dual_mov_b32 v65, v17 :: v_dual_mov_b32 v64, v16
	v_mul_f64_e32 v[12:13], s[40:41], v[252:253]
	s_clause 0x1
	scratch_load_b64 v[32:33], off, off offset:336
	scratch_load_b64 v[34:35], off, off offset:344
	v_mul_f64_e32 v[16:17], s[40:41], v[18:19]
	v_mul_f64_e32 v[18:19], s[38:39], v[18:19]
	;; [unrolled: 1-line block ×7, first 2 shown]
	v_dual_mov_b32 v22, v166 :: v_dual_mov_b32 v23, v167
	v_dual_mov_b32 v63, v21 :: v_dual_mov_b32 v62, v20
	;; [unrolled: 1-line block ×3, first 2 shown]
	s_delay_alu instid0(VALU_DEP_3)
	v_mul_f64_e32 v[20:21], s[40:41], v[22:23]
	v_mul_f64_e32 v[22:23], s[38:39], v[22:23]
	v_dual_mov_b32 v38, v154 :: v_dual_mov_b32 v39, v155
	v_dual_mov_b32 v46, v150 :: v_dual_mov_b32 v47, v151
	v_dual_mov_b32 v54, v146 :: v_dual_mov_b32 v55, v147
	v_mul_f64_e32 v[14:15], s[38:39], v[252:253]
	v_mul_f64_e32 v[24:25], s[40:41], v[26:27]
	;; [unrolled: 1-line block ×3, first 2 shown]
	v_dual_mov_b32 v30, v158 :: v_dual_mov_b32 v31, v159
	v_dual_mov_b32 v42, v152 :: v_dual_mov_b32 v43, v153
	v_dual_mov_b32 v50, v148 :: v_dual_mov_b32 v51, v149
	v_fma_f64 v[84:85], s[40:41], v[246:247], v[10:11]
	v_dual_mov_b32 v10, v168 :: v_dual_mov_b32 v11, v169
	v_mul_f64_e32 v[36:37], s[40:41], v[38:39]
	v_mul_f64_e32 v[38:39], s[38:39], v[38:39]
	v_fma_f64 v[86:87], s[38:39], v[250:251], -v[12:13]
	scratch_load_b64 v[12:13], off, off     ; 8-byte Folded Reload
	v_mul_f64_e32 v[44:45], s[40:41], v[46:47]
	v_mul_f64_e32 v[46:47], s[38:39], v[46:47]
	v_fma_f64 v[92:93], s[40:41], v[10:11], v[18:19]
	scratch_load_b64 v[18:19], off, off offset:8 ; 8-byte Folded Reload
	v_fma_f64 v[76:77], s[40:41], v[180:181], v[2:3]
	v_mul_f64_e32 v[2:3], s[40:41], v[140:141]
	v_mul_f64_e32 v[52:53], s[40:41], v[54:55]
	;; [unrolled: 1-line block ×3, first 2 shown]
	v_fma_f64 v[78:79], s[38:39], v[172:173], -v[4:5]
	v_fma_f64 v[82:83], s[38:39], v[246:247], -v[8:9]
	v_mul_f64_e32 v[4:5], s[38:39], v[140:141]
	v_mul_f64_e32 v[8:9], s[38:39], v[138:139]
	;; [unrolled: 1-line block ×9, first 2 shown]
	v_fma_f64 v[74:75], s[38:39], v[180:181], -v[0:1]
	v_fma_f64 v[80:81], s[40:41], v[172:173], v[6:7]
	v_mul_f64_e32 v[0:1], s[38:39], v[206:207]
	v_mul_f64_e32 v[6:7], s[40:41], v[138:139]
	v_fma_f64 v[90:91], s[38:39], v[10:11], -v[16:17]
	v_dual_mov_b32 v10, v164 :: v_dual_mov_b32 v11, v165
	v_dual_mov_b32 v16, v64 :: v_dual_mov_b32 v17, v65
	v_fma_f64 v[88:89], s[40:41], v[250:251], v[14:15]
	s_delay_alu instid0(VALU_DEP_3)
	v_fma_f64 v[94:95], s[38:39], v[10:11], -v[20:21]
	v_fma_f64 v[96:97], s[40:41], v[10:11], v[22:23]
	v_dual_mov_b32 v10, v160 :: v_dual_mov_b32 v11, v161
	v_dual_mov_b32 v20, v62 :: v_dual_mov_b32 v21, v63
	v_fma_f64 v[106:107], s[38:39], v[16:17], -v[36:37]
	v_fma_f64 v[108:109], s[40:41], v[16:17], v[38:39]
	s_delay_alu instid0(VALU_DEP_4)
	v_fma_f64 v[98:99], s[38:39], v[10:11], -v[24:25]
	v_fma_f64 v[100:101], s[40:41], v[10:11], v[26:27]
	v_dual_mov_b32 v10, v156 :: v_dual_mov_b32 v11, v157
	v_fma_f64 v[130:131], s[38:39], v[144:145], -v[2:3]
	v_dual_mov_b32 v2, v136 :: v_dual_mov_b32 v3, v137
	v_fma_f64 v[122:123], s[38:39], v[178:179], -v[52:53]
	v_fma_f64 v[124:125], s[40:41], v[178:179], v[54:55]
	v_fma_f64 v[132:133], s[40:41], v[144:145], v[4:5]
	s_delay_alu instid0(VALU_DEP_4)
	v_fma_f64 v[72:73], s[40:41], v[2:3], v[8:9]
	v_fma_f64 v[102:103], s[38:39], v[10:11], -v[28:29]
	v_fma_f64 v[104:105], s[40:41], v[10:11], v[30:31]
	v_fma_f64 v[110:111], s[38:39], v[20:21], -v[40:41]
	;; [unrolled: 2-line block ×4, first 2 shown]
	s_wait_loadcnt 0x3
	v_lshlrev_b64_e32 v[32:33], 4, v[32:33]
	s_wait_loadcnt 0x2
	v_lshlrev_b64_e32 v[34:35], 4, v[34:35]
	s_wait_alu 0xfffe
	s_delay_alu instid0(VALU_DEP_2) | instskip(SKIP_2) | instid1(VALU_DEP_2)
	v_add_co_u32 v32, vcc_lo, s24, v32
	s_wait_alu 0xfffd
	v_add_co_ci_u32_e64 v33, null, s25, v33, vcc_lo
	v_add_co_u32 v10, vcc_lo, v32, v34
	s_wait_alu 0xfffd
	s_delay_alu instid0(VALU_DEP_2)
	v_add_co_ci_u32_e64 v11, null, v33, v35, vcc_lo
	v_add_co_u32 v14, vcc_lo, v32, s22
	s_wait_alu 0xfffd
	v_add_co_ci_u32_e64 v15, null, s23, v33, vcc_lo
	s_wait_loadcnt 0x1
	v_fma_f64 v[118:119], s[38:39], v[12:13], -v[48:49]
	v_fma_f64 v[120:121], s[40:41], v[12:13], v[50:51]
	v_add_co_u32 v12, vcc_lo, v14, v34
	s_wait_loadcnt 0x0
	v_fma_f64 v[114:115], s[38:39], v[18:19], -v[44:45]
	v_fma_f64 v[116:117], s[40:41], v[18:19], v[46:47]
	s_wait_alu 0xfffd
	v_add_co_ci_u32_e64 v13, null, v15, v35, vcc_lo
	v_add_co_u32 v4, vcc_lo, v14, s22
	s_wait_alu 0xfffd
	v_add_co_ci_u32_e64 v5, null, s23, v15, vcc_lo
	s_clause 0x5
	global_store_b128 v[10:11], v[74:77], off
	global_store_b128 v[10:11], v[78:81], off offset:256
	global_store_b128 v[10:11], v[82:85], off offset:512
	;; [unrolled: 1-line block ×3, first 2 shown]
	global_store_b128 v[12:13], v[90:93], off
	global_store_b128 v[12:13], v[94:97], off offset:256
	v_add_co_u32 v2, vcc_lo, v4, v34
	s_wait_alu 0xfffd
	v_add_co_ci_u32_e64 v3, null, v5, v35, vcc_lo
	v_add_co_u32 v4, vcc_lo, v4, s22
	s_wait_alu 0xfffd
	v_add_co_ci_u32_e64 v5, null, s23, v5, vcc_lo
	s_clause 0x1
	global_store_b128 v[12:13], v[98:101], off offset:512
	global_store_b128 v[12:13], v[102:105], off offset:768
	v_add_co_u32 v4, vcc_lo, v4, v34
	s_wait_alu 0xfffd
	v_add_co_ci_u32_e64 v5, null, v5, v35, vcc_lo
	s_clause 0x1
	global_store_b128 v[2:3], v[106:109], off
	global_store_b128 v[2:3], v[110:113], off offset:256
	v_add_co_u32 v74, vcc_lo, 0x300, v4
	s_wait_alu 0xfffd
	v_add_co_ci_u32_e64 v75, null, 0, v5, vcc_lo
	s_clause 0x5
	global_store_b128 v[2:3], v[114:117], off offset:512
	global_store_b128 v[2:3], v[118:121], off offset:768
	global_store_b128 v[4:5], v[122:125], off
	global_store_b128 v[4:5], v[126:129], off offset:256
	global_store_b128 v[4:5], v[130:133], off offset:512
	global_store_b64 v[4:5], v[0:1], off offset:768
	s_cbranch_execnz .LBB124_2
.LBB124_10:                             ;   in Loop: Header=BB124_3 Depth=1
	s_clause 0x1
	scratch_load_b64 v[0:1], off, off offset:344
	scratch_load_b32 v2, off, off offset:368
	s_mul_u64 s[28:29], s[14:15], s[2:3]
	v_mul_f64_e32 v[4:5], s[40:41], v[182:183]
	s_wait_alu 0xfffe
	s_lshl_b64 s[28:29], s[28:29], 4
	v_mul_f64_e32 v[6:7], s[38:39], v[182:183]
	v_dual_mov_b32 v19, v17 :: v_dual_mov_b32 v18, v16
	s_delay_alu instid0(VALU_DEP_3) | instskip(NEXT) | instid1(VALU_DEP_3)
	v_fma_f64 v[4:5], s[38:39], v[180:181], -v[4:5]
	v_fma_f64 v[6:7], s[40:41], v[180:181], v[6:7]
	s_wait_loadcnt 0x1
	v_lshlrev_b64_e32 v[0:1], 4, v[0:1]
	s_wait_loadcnt 0x0
	s_wait_alu 0xfffe
	v_add_co_u32 v14, vcc_lo, v2, s28
	scratch_load_b32 v2, off, off offset:372 ; 4-byte Folded Reload
	s_wait_loadcnt 0x0
	s_wait_alu 0xfffd
	v_add_co_ci_u32_e64 v15, null, s29, v2, vcc_lo
	v_add_co_u32 v2, vcc_lo, v14, v0
	s_wait_alu 0xfffd
	s_delay_alu instid0(VALU_DEP_2) | instskip(SKIP_4) | instid1(VALU_DEP_2)
	v_add_co_ci_u32_e64 v3, null, v15, v1, vcc_lo
	global_load_b128 v[72:75], v[2:3], off
	s_wait_loadcnt 0x0
	v_mul_f64_e32 v[8:9], s[8:9], v[74:75]
	v_mul_f64_e32 v[10:11], s[6:7], v[74:75]
	v_fma_f64 v[8:9], s[6:7], v[72:73], -v[8:9]
	s_delay_alu instid0(VALU_DEP_2) | instskip(NEXT) | instid1(VALU_DEP_2)
	v_fma_f64 v[10:11], s[8:9], v[72:73], v[10:11]
	v_add_f64_e32 v[68:69], v[4:5], v[8:9]
	scratch_load_b64 v[4:5], off, off offset:336 ; 8-byte Folded Reload
	v_add_f64_e32 v[70:71], v[6:7], v[10:11]
	v_mul_f64_e32 v[6:7], s[40:41], v[208:209]
	v_mul_f64_e32 v[8:9], s[38:39], v[208:209]
	s_delay_alu instid0(VALU_DEP_2) | instskip(NEXT) | instid1(VALU_DEP_2)
	v_fma_f64 v[6:7], s[38:39], v[172:173], -v[6:7]
	v_fma_f64 v[8:9], s[40:41], v[172:173], v[8:9]
	s_wait_loadcnt 0x0
	v_lshlrev_b64_e32 v[4:5], 4, v[4:5]
	s_delay_alu instid0(VALU_DEP_1) | instskip(SKIP_1) | instid1(VALU_DEP_2)
	v_add_co_u32 v16, vcc_lo, s24, v4
	s_wait_alu 0xfffd
	v_add_co_ci_u32_e64 v17, null, s25, v5, vcc_lo
	s_delay_alu instid0(VALU_DEP_2) | instskip(SKIP_1) | instid1(VALU_DEP_2)
	v_add_co_u32 v4, vcc_lo, v16, v0
	s_wait_alu 0xfffd
	v_add_co_ci_u32_e64 v5, null, v17, v1, vcc_lo
	v_add_co_u32 v14, vcc_lo, v14, s18
	s_wait_alu 0xfffd
	v_add_co_ci_u32_e64 v15, null, s19, v15, vcc_lo
	global_store_b128 v[4:5], v[68:71], off
	global_load_b128 v[68:71], v[2:3], off offset:256
	s_wait_loadcnt 0x0
	v_mul_f64_e32 v[10:11], s[8:9], v[70:71]
	v_mul_f64_e32 v[12:13], s[6:7], v[70:71]
	s_delay_alu instid0(VALU_DEP_2) | instskip(NEXT) | instid1(VALU_DEP_2)
	v_fma_f64 v[10:11], s[6:7], v[68:69], -v[10:11]
	v_fma_f64 v[12:13], s[8:9], v[68:69], v[12:13]
	s_delay_alu instid0(VALU_DEP_2) | instskip(NEXT) | instid1(VALU_DEP_2)
	v_add_f64_e32 v[64:65], v[6:7], v[10:11]
	v_add_f64_e32 v[66:67], v[8:9], v[12:13]
	v_mul_f64_e32 v[6:7], s[40:41], v[248:249]
	v_mul_f64_e32 v[8:9], s[38:39], v[248:249]
	global_store_b128 v[4:5], v[64:67], off offset:256
	global_load_b128 v[64:67], v[2:3], off offset:512
	v_fma_f64 v[6:7], s[38:39], v[246:247], -v[6:7]
	v_fma_f64 v[8:9], s[40:41], v[246:247], v[8:9]
	s_wait_loadcnt 0x0
	v_mul_f64_e32 v[10:11], s[8:9], v[66:67]
	v_mul_f64_e32 v[12:13], s[6:7], v[66:67]
	s_delay_alu instid0(VALU_DEP_2) | instskip(NEXT) | instid1(VALU_DEP_2)
	v_fma_f64 v[10:11], s[6:7], v[64:65], -v[10:11]
	v_fma_f64 v[12:13], s[8:9], v[64:65], v[12:13]
	s_delay_alu instid0(VALU_DEP_2) | instskip(NEXT) | instid1(VALU_DEP_2)
	v_add_f64_e32 v[60:61], v[6:7], v[10:11]
	v_add_f64_e32 v[62:63], v[8:9], v[12:13]
	v_mul_f64_e32 v[6:7], s[38:39], v[252:253]
	global_store_b128 v[4:5], v[60:63], off offset:512
	global_load_b128 v[60:63], v[2:3], off offset:768
	v_mul_f64_e32 v[2:3], s[40:41], v[252:253]
	v_fma_f64 v[6:7], s[40:41], v[250:251], v[6:7]
	s_delay_alu instid0(VALU_DEP_2) | instskip(SKIP_3) | instid1(VALU_DEP_2)
	v_fma_f64 v[2:3], s[38:39], v[250:251], -v[2:3]
	s_wait_loadcnt 0x0
	v_mul_f64_e32 v[8:9], s[8:9], v[62:63]
	v_mul_f64_e32 v[10:11], s[6:7], v[62:63]
	v_fma_f64 v[8:9], s[6:7], v[60:61], -v[8:9]
	s_delay_alu instid0(VALU_DEP_2) | instskip(NEXT) | instid1(VALU_DEP_2)
	v_fma_f64 v[10:11], s[8:9], v[60:61], v[10:11]
	v_add_f64_e32 v[56:57], v[2:3], v[8:9]
	s_delay_alu instid0(VALU_DEP_2)
	v_add_f64_e32 v[58:59], v[6:7], v[10:11]
	v_add_co_u32 v2, vcc_lo, v14, v0
	s_wait_alu 0xfffd
	v_add_co_ci_u32_e64 v3, null, v15, v1, vcc_lo
	v_mul_f64_e32 v[6:7], s[38:39], v[170:171]
	v_add_co_u32 v16, vcc_lo, v16, s22
	s_wait_alu 0xfffd
	v_add_co_ci_u32_e64 v17, null, s23, v17, vcc_lo
	global_store_b128 v[4:5], v[56:59], off offset:768
	global_load_b128 v[56:59], v[2:3], off
	v_mul_f64_e32 v[4:5], s[40:41], v[170:171]
	v_fma_f64 v[6:7], s[40:41], v[168:169], v[6:7]
	s_delay_alu instid0(VALU_DEP_2) | instskip(SKIP_3) | instid1(VALU_DEP_2)
	v_fma_f64 v[4:5], s[38:39], v[168:169], -v[4:5]
	s_wait_loadcnt 0x0
	v_mul_f64_e32 v[8:9], s[8:9], v[58:59]
	v_mul_f64_e32 v[10:11], s[6:7], v[58:59]
	v_fma_f64 v[8:9], s[6:7], v[56:57], -v[8:9]
	s_delay_alu instid0(VALU_DEP_2) | instskip(NEXT) | instid1(VALU_DEP_2)
	v_fma_f64 v[10:11], s[8:9], v[56:57], v[10:11]
	v_add_f64_e32 v[52:53], v[4:5], v[8:9]
	s_delay_alu instid0(VALU_DEP_2)
	v_add_f64_e32 v[54:55], v[6:7], v[10:11]
	v_add_co_u32 v4, vcc_lo, v16, v0
	s_wait_alu 0xfffd
	v_add_co_ci_u32_e64 v5, null, v17, v1, vcc_lo
	v_mul_f64_e32 v[6:7], s[40:41], v[166:167]
	v_mul_f64_e32 v[8:9], s[38:39], v[166:167]
	v_add_co_u32 v14, vcc_lo, v14, s18
	s_wait_alu 0xfffd
	v_add_co_ci_u32_e64 v15, null, s19, v15, vcc_lo
	global_store_b128 v[4:5], v[52:55], off
	global_load_b128 v[52:55], v[2:3], off offset:256
	v_fma_f64 v[6:7], s[38:39], v[164:165], -v[6:7]
	v_fma_f64 v[8:9], s[40:41], v[164:165], v[8:9]
	s_wait_loadcnt 0x0
	v_mul_f64_e32 v[10:11], s[8:9], v[54:55]
	v_mul_f64_e32 v[12:13], s[6:7], v[54:55]
	s_delay_alu instid0(VALU_DEP_2) | instskip(NEXT) | instid1(VALU_DEP_2)
	v_fma_f64 v[10:11], s[6:7], v[52:53], -v[10:11]
	v_fma_f64 v[12:13], s[8:9], v[52:53], v[12:13]
	s_delay_alu instid0(VALU_DEP_2) | instskip(NEXT) | instid1(VALU_DEP_2)
	v_add_f64_e32 v[48:49], v[6:7], v[10:11]
	v_add_f64_e32 v[50:51], v[8:9], v[12:13]
	v_mul_f64_e32 v[6:7], s[40:41], v[162:163]
	v_mul_f64_e32 v[8:9], s[38:39], v[162:163]
	global_store_b128 v[4:5], v[48:51], off offset:256
	global_load_b128 v[48:51], v[2:3], off offset:512
	v_fma_f64 v[6:7], s[38:39], v[160:161], -v[6:7]
	v_fma_f64 v[8:9], s[40:41], v[160:161], v[8:9]
	s_wait_loadcnt 0x0
	v_mul_f64_e32 v[10:11], s[8:9], v[50:51]
	v_mul_f64_e32 v[12:13], s[6:7], v[50:51]
	s_delay_alu instid0(VALU_DEP_2) | instskip(NEXT) | instid1(VALU_DEP_2)
	v_fma_f64 v[10:11], s[6:7], v[48:49], -v[10:11]
	v_fma_f64 v[12:13], s[8:9], v[48:49], v[12:13]
	s_delay_alu instid0(VALU_DEP_2) | instskip(NEXT) | instid1(VALU_DEP_2)
	v_add_f64_e32 v[44:45], v[6:7], v[10:11]
	v_add_f64_e32 v[46:47], v[8:9], v[12:13]
	v_mul_f64_e32 v[6:7], s[38:39], v[158:159]
	global_store_b128 v[4:5], v[44:47], off offset:512
	global_load_b128 v[44:47], v[2:3], off offset:768
	v_mul_f64_e32 v[2:3], s[40:41], v[158:159]
	v_fma_f64 v[6:7], s[40:41], v[156:157], v[6:7]
	s_delay_alu instid0(VALU_DEP_2) | instskip(SKIP_3) | instid1(VALU_DEP_2)
	v_fma_f64 v[2:3], s[38:39], v[156:157], -v[2:3]
	s_wait_loadcnt 0x0
	v_mul_f64_e32 v[8:9], s[8:9], v[46:47]
	v_mul_f64_e32 v[10:11], s[6:7], v[46:47]
	v_fma_f64 v[8:9], s[6:7], v[44:45], -v[8:9]
	s_delay_alu instid0(VALU_DEP_2) | instskip(NEXT) | instid1(VALU_DEP_2)
	v_fma_f64 v[10:11], s[8:9], v[44:45], v[10:11]
	v_add_f64_e32 v[40:41], v[2:3], v[8:9]
	s_delay_alu instid0(VALU_DEP_2)
	v_add_f64_e32 v[42:43], v[6:7], v[10:11]
	v_add_co_u32 v2, vcc_lo, v14, v0
	s_wait_alu 0xfffd
	v_add_co_ci_u32_e64 v3, null, v15, v1, vcc_lo
	v_mul_f64_e32 v[6:7], s[38:39], v[154:155]
	v_add_co_u32 v16, vcc_lo, v16, s22
	s_wait_alu 0xfffd
	v_add_co_ci_u32_e64 v17, null, s23, v17, vcc_lo
	global_store_b128 v[4:5], v[40:43], off offset:768
	global_load_b128 v[40:43], v[2:3], off
	v_mul_f64_e32 v[4:5], s[40:41], v[154:155]
	v_fma_f64 v[6:7], s[40:41], v[18:19], v[6:7]
	s_delay_alu instid0(VALU_DEP_2) | instskip(SKIP_4) | instid1(VALU_DEP_2)
	v_fma_f64 v[4:5], s[38:39], v[18:19], -v[4:5]
	scratch_load_b64 v[18:19], off, off offset:8 th:TH_LOAD_LU ; 8-byte Folded Reload
	s_wait_loadcnt 0x1
	v_mul_f64_e32 v[8:9], s[8:9], v[42:43]
	v_mul_f64_e32 v[10:11], s[6:7], v[42:43]
	v_fma_f64 v[8:9], s[6:7], v[40:41], -v[8:9]
	s_delay_alu instid0(VALU_DEP_2) | instskip(NEXT) | instid1(VALU_DEP_2)
	v_fma_f64 v[10:11], s[8:9], v[40:41], v[10:11]
	v_add_f64_e32 v[36:37], v[4:5], v[8:9]
	s_delay_alu instid0(VALU_DEP_2)
	v_add_f64_e32 v[38:39], v[6:7], v[10:11]
	v_add_co_u32 v4, vcc_lo, v16, v0
	s_wait_alu 0xfffd
	v_add_co_ci_u32_e64 v5, null, v17, v1, vcc_lo
	v_mul_f64_e32 v[6:7], s[40:41], v[152:153]
	v_mul_f64_e32 v[8:9], s[38:39], v[152:153]
	global_store_b128 v[4:5], v[36:39], off
	global_load_b128 v[36:39], v[2:3], off offset:256
	v_fma_f64 v[6:7], s[38:39], v[20:21], -v[6:7]
	v_fma_f64 v[8:9], s[40:41], v[20:21], v[8:9]
	s_wait_loadcnt 0x0
	v_mul_f64_e32 v[10:11], s[8:9], v[38:39]
	v_mul_f64_e32 v[12:13], s[6:7], v[38:39]
	s_delay_alu instid0(VALU_DEP_2) | instskip(NEXT) | instid1(VALU_DEP_2)
	v_fma_f64 v[10:11], s[6:7], v[36:37], -v[10:11]
	v_fma_f64 v[12:13], s[8:9], v[36:37], v[12:13]
	s_delay_alu instid0(VALU_DEP_2) | instskip(NEXT) | instid1(VALU_DEP_2)
	v_add_f64_e32 v[32:33], v[6:7], v[10:11]
	v_add_f64_e32 v[34:35], v[8:9], v[12:13]
	v_mul_f64_e32 v[6:7], s[40:41], v[150:151]
	v_mul_f64_e32 v[8:9], s[38:39], v[150:151]
	global_store_b128 v[4:5], v[32:35], off offset:256
	global_load_b128 v[32:35], v[2:3], off offset:512
	v_fma_f64 v[6:7], s[38:39], v[18:19], -v[6:7]
	v_fma_f64 v[8:9], s[40:41], v[18:19], v[8:9]
	scratch_load_b64 v[18:19], off, off th:TH_LOAD_LU ; 8-byte Folded Reload
	s_wait_loadcnt 0x1
	v_mul_f64_e32 v[10:11], s[8:9], v[34:35]
	v_mul_f64_e32 v[12:13], s[6:7], v[34:35]
	s_delay_alu instid0(VALU_DEP_2) | instskip(NEXT) | instid1(VALU_DEP_2)
	v_fma_f64 v[10:11], s[6:7], v[32:33], -v[10:11]
	v_fma_f64 v[12:13], s[8:9], v[32:33], v[12:13]
	s_delay_alu instid0(VALU_DEP_2) | instskip(NEXT) | instid1(VALU_DEP_2)
	v_add_f64_e32 v[28:29], v[6:7], v[10:11]
	v_add_f64_e32 v[30:31], v[8:9], v[12:13]
	v_mul_f64_e32 v[6:7], s[38:39], v[148:149]
	global_store_b128 v[4:5], v[28:31], off offset:512
	global_load_b128 v[28:31], v[2:3], off offset:768
	v_mul_f64_e32 v[2:3], s[40:41], v[148:149]
	s_wait_loadcnt 0x1
	v_fma_f64 v[6:7], s[40:41], v[18:19], v[6:7]
	s_delay_alu instid0(VALU_DEP_2) | instskip(SKIP_3) | instid1(VALU_DEP_2)
	v_fma_f64 v[2:3], s[38:39], v[18:19], -v[2:3]
	s_wait_loadcnt 0x0
	v_mul_f64_e32 v[8:9], s[8:9], v[30:31]
	v_mul_f64_e32 v[10:11], s[6:7], v[30:31]
	v_fma_f64 v[8:9], s[6:7], v[28:29], -v[8:9]
	s_delay_alu instid0(VALU_DEP_2) | instskip(NEXT) | instid1(VALU_DEP_2)
	v_fma_f64 v[10:11], s[8:9], v[28:29], v[10:11]
	v_add_f64_e32 v[24:25], v[2:3], v[8:9]
	s_delay_alu instid0(VALU_DEP_2) | instskip(SKIP_4) | instid1(VALU_DEP_3)
	v_add_f64_e32 v[26:27], v[6:7], v[10:11]
	v_add_co_u32 v2, vcc_lo, v14, s18
	s_wait_alu 0xfffd
	v_add_co_ci_u32_e64 v3, null, s19, v15, vcc_lo
	v_mul_f64_e32 v[6:7], s[38:39], v[146:147]
	v_add_co_u32 v2, vcc_lo, v2, v0
	s_wait_alu 0xfffd
	s_delay_alu instid0(VALU_DEP_3) | instskip(SKIP_4) | instid1(VALU_DEP_2)
	v_add_co_ci_u32_e64 v3, null, v3, v1, vcc_lo
	global_store_b128 v[4:5], v[24:27], off offset:768
	global_load_b128 v[24:27], v[2:3], off
	v_mul_f64_e32 v[4:5], s[40:41], v[146:147]
	v_fma_f64 v[6:7], s[40:41], v[178:179], v[6:7]
	v_fma_f64 v[4:5], s[38:39], v[178:179], -v[4:5]
	s_wait_loadcnt 0x0
	v_mul_f64_e32 v[8:9], s[8:9], v[26:27]
	v_mul_f64_e32 v[10:11], s[6:7], v[26:27]
	s_delay_alu instid0(VALU_DEP_2) | instskip(NEXT) | instid1(VALU_DEP_2)
	v_fma_f64 v[8:9], s[6:7], v[24:25], -v[8:9]
	v_fma_f64 v[10:11], s[8:9], v[24:25], v[10:11]
	s_delay_alu instid0(VALU_DEP_2) | instskip(NEXT) | instid1(VALU_DEP_2)
	v_add_f64_e32 v[20:21], v[4:5], v[8:9]
	v_add_f64_e32 v[22:23], v[6:7], v[10:11]
	v_add_co_u32 v4, vcc_lo, v16, s22
	s_wait_alu 0xfffd
	v_add_co_ci_u32_e64 v5, null, s23, v17, vcc_lo
	v_mul_f64_e32 v[6:7], s[38:39], v[206:207]
	s_delay_alu instid0(VALU_DEP_3) | instskip(SKIP_1) | instid1(VALU_DEP_3)
	v_add_co_u32 v0, vcc_lo, v4, v0
	s_wait_alu 0xfffd
	v_add_co_ci_u32_e64 v1, null, v5, v1, vcc_lo
	v_mul_f64_e32 v[4:5], s[40:41], v[206:207]
	s_delay_alu instid0(VALU_DEP_3) | instskip(SKIP_1) | instid1(VALU_DEP_3)
	v_add_co_u32 v74, vcc_lo, 0x300, v0
	s_wait_alu 0xfffd
	v_add_co_ci_u32_e64 v75, null, 0, v1, vcc_lo
	global_store_b128 v[0:1], v[20:23], off
	global_load_b128 v[20:23], v[2:3], off offset:256
	v_fma_f64 v[6:7], s[40:41], v[254:255], v[6:7]
	v_fma_f64 v[4:5], s[38:39], v[254:255], -v[4:5]
	s_wait_loadcnt 0x0
	v_mul_f64_e32 v[8:9], s[8:9], v[22:23]
	v_mul_f64_e32 v[10:11], s[6:7], v[22:23]
	s_delay_alu instid0(VALU_DEP_2) | instskip(NEXT) | instid1(VALU_DEP_2)
	v_fma_f64 v[8:9], s[6:7], v[20:21], -v[8:9]
	v_fma_f64 v[10:11], s[8:9], v[20:21], v[10:11]
	s_delay_alu instid0(VALU_DEP_2) | instskip(NEXT) | instid1(VALU_DEP_2)
	v_add_f64_e32 v[16:17], v[4:5], v[8:9]
	v_add_f64_e32 v[18:19], v[6:7], v[10:11]
	v_mul_f64_e32 v[4:5], s[40:41], v[140:141]
	v_mul_f64_e32 v[6:7], s[38:39], v[140:141]
	global_store_b128 v[0:1], v[16:19], off offset:256
	global_load_b128 v[16:19], v[2:3], off offset:512
	v_fma_f64 v[4:5], s[38:39], v[144:145], -v[4:5]
	v_fma_f64 v[6:7], s[40:41], v[144:145], v[6:7]
	s_wait_loadcnt 0x0
	v_mul_f64_e32 v[8:9], s[8:9], v[18:19]
	v_mul_f64_e32 v[10:11], s[6:7], v[18:19]
	s_delay_alu instid0(VALU_DEP_2) | instskip(NEXT) | instid1(VALU_DEP_2)
	v_fma_f64 v[8:9], s[6:7], v[16:17], -v[8:9]
	v_fma_f64 v[10:11], s[8:9], v[16:17], v[10:11]
	s_delay_alu instid0(VALU_DEP_2) | instskip(NEXT) | instid1(VALU_DEP_2)
	v_add_f64_e32 v[12:13], v[4:5], v[8:9]
	v_add_f64_e32 v[14:15], v[6:7], v[10:11]
	v_mul_f64_e32 v[4:5], s[38:39], v[138:139]
	global_store_b128 v[0:1], v[12:15], off offset:512
	global_load_b128 v[12:15], v[2:3], off offset:768
	v_mul_f64_e32 v[2:3], s[40:41], v[138:139]
	v_fma_f64 v[4:5], s[40:41], v[136:137], v[4:5]
	s_delay_alu instid0(VALU_DEP_2) | instskip(SKIP_3) | instid1(VALU_DEP_2)
	v_fma_f64 v[2:3], s[38:39], v[136:137], -v[2:3]
	s_wait_loadcnt 0x0
	v_mul_f64_e32 v[6:7], s[8:9], v[14:15]
	v_mul_f64_e32 v[8:9], s[6:7], v[14:15]
	v_fma_f64 v[6:7], s[6:7], v[12:13], -v[6:7]
	s_delay_alu instid0(VALU_DEP_2) | instskip(NEXT) | instid1(VALU_DEP_2)
	v_fma_f64 v[8:9], s[8:9], v[12:13], v[8:9]
	v_add_f64_e32 v[2:3], v[2:3], v[6:7]
	s_delay_alu instid0(VALU_DEP_2)
	v_add_f64_e32 v[72:73], v[4:5], v[8:9]
	global_store_b64 v[0:1], v[2:3], off offset:768
	s_branch .LBB124_2
.LBB124_11:
	s_nop 0
	s_sendmsg sendmsg(MSG_DEALLOC_VGPRS)
	s_endpgm
	.section	.rodata,"a",@progbits
	.p2align	6, 0x0
	.amdhsa_kernel _ZN12_GLOBAL__N_127rocblas_gemm_batched_kernelI19rocblas_complex_numIdELi16ELi16ELi64ELi64ELi4ELi64ELi4ELi4ELi64ELc67ELc84EKS2_S3_S2_EEvlllT_PT11_llS6_llS4_PT12_llPT13_lli
		.amdhsa_group_segment_fixed_size 8192
		.amdhsa_private_segment_fixed_size 380
		.amdhsa_kernarg_size 156
		.amdhsa_user_sgpr_count 2
		.amdhsa_user_sgpr_dispatch_ptr 0
		.amdhsa_user_sgpr_queue_ptr 0
		.amdhsa_user_sgpr_kernarg_segment_ptr 1
		.amdhsa_user_sgpr_dispatch_id 0
		.amdhsa_user_sgpr_private_segment_size 0
		.amdhsa_wavefront_size32 1
		.amdhsa_uses_dynamic_stack 0
		.amdhsa_enable_private_segment 1
		.amdhsa_system_sgpr_workgroup_id_x 1
		.amdhsa_system_sgpr_workgroup_id_y 1
		.amdhsa_system_sgpr_workgroup_id_z 1
		.amdhsa_system_sgpr_workgroup_info 0
		.amdhsa_system_vgpr_workitem_id 1
		.amdhsa_next_free_vgpr 256
		.amdhsa_next_free_sgpr 52
		.amdhsa_reserve_vcc 1
		.amdhsa_float_round_mode_32 0
		.amdhsa_float_round_mode_16_64 0
		.amdhsa_float_denorm_mode_32 3
		.amdhsa_float_denorm_mode_16_64 3
		.amdhsa_fp16_overflow 0
		.amdhsa_workgroup_processor_mode 1
		.amdhsa_memory_ordered 1
		.amdhsa_forward_progress 1
		.amdhsa_inst_pref_size 68
		.amdhsa_round_robin_scheduling 0
		.amdhsa_exception_fp_ieee_invalid_op 0
		.amdhsa_exception_fp_denorm_src 0
		.amdhsa_exception_fp_ieee_div_zero 0
		.amdhsa_exception_fp_ieee_overflow 0
		.amdhsa_exception_fp_ieee_underflow 0
		.amdhsa_exception_fp_ieee_inexact 0
		.amdhsa_exception_int_div_zero 0
	.end_amdhsa_kernel
	.section	.text._ZN12_GLOBAL__N_127rocblas_gemm_batched_kernelI19rocblas_complex_numIdELi16ELi16ELi64ELi64ELi4ELi64ELi4ELi4ELi64ELc67ELc84EKS2_S3_S2_EEvlllT_PT11_llS6_llS4_PT12_llPT13_lli,"axG",@progbits,_ZN12_GLOBAL__N_127rocblas_gemm_batched_kernelI19rocblas_complex_numIdELi16ELi16ELi64ELi64ELi4ELi64ELi4ELi4ELi64ELc67ELc84EKS2_S3_S2_EEvlllT_PT11_llS6_llS4_PT12_llPT13_lli,comdat
.Lfunc_end124:
	.size	_ZN12_GLOBAL__N_127rocblas_gemm_batched_kernelI19rocblas_complex_numIdELi16ELi16ELi64ELi64ELi4ELi64ELi4ELi4ELi64ELc67ELc84EKS2_S3_S2_EEvlllT_PT11_llS6_llS4_PT12_llPT13_lli, .Lfunc_end124-_ZN12_GLOBAL__N_127rocblas_gemm_batched_kernelI19rocblas_complex_numIdELi16ELi16ELi64ELi64ELi4ELi64ELi4ELi4ELi64ELc67ELc84EKS2_S3_S2_EEvlllT_PT11_llS6_llS4_PT12_llPT13_lli
                                        ; -- End function
	.set _ZN12_GLOBAL__N_127rocblas_gemm_batched_kernelI19rocblas_complex_numIdELi16ELi16ELi64ELi64ELi4ELi64ELi4ELi4ELi64ELc67ELc84EKS2_S3_S2_EEvlllT_PT11_llS6_llS4_PT12_llPT13_lli.num_vgpr, 256
	.set _ZN12_GLOBAL__N_127rocblas_gemm_batched_kernelI19rocblas_complex_numIdELi16ELi16ELi64ELi64ELi4ELi64ELi4ELi4ELi64ELc67ELc84EKS2_S3_S2_EEvlllT_PT11_llS6_llS4_PT12_llPT13_lli.num_agpr, 0
	.set _ZN12_GLOBAL__N_127rocblas_gemm_batched_kernelI19rocblas_complex_numIdELi16ELi16ELi64ELi64ELi4ELi64ELi4ELi4ELi64ELc67ELc84EKS2_S3_S2_EEvlllT_PT11_llS6_llS4_PT12_llPT13_lli.numbered_sgpr, 52
	.set _ZN12_GLOBAL__N_127rocblas_gemm_batched_kernelI19rocblas_complex_numIdELi16ELi16ELi64ELi64ELi4ELi64ELi4ELi4ELi64ELc67ELc84EKS2_S3_S2_EEvlllT_PT11_llS6_llS4_PT12_llPT13_lli.num_named_barrier, 0
	.set _ZN12_GLOBAL__N_127rocblas_gemm_batched_kernelI19rocblas_complex_numIdELi16ELi16ELi64ELi64ELi4ELi64ELi4ELi4ELi64ELc67ELc84EKS2_S3_S2_EEvlllT_PT11_llS6_llS4_PT12_llPT13_lli.private_seg_size, 380
	.set _ZN12_GLOBAL__N_127rocblas_gemm_batched_kernelI19rocblas_complex_numIdELi16ELi16ELi64ELi64ELi4ELi64ELi4ELi4ELi64ELc67ELc84EKS2_S3_S2_EEvlllT_PT11_llS6_llS4_PT12_llPT13_lli.uses_vcc, 1
	.set _ZN12_GLOBAL__N_127rocblas_gemm_batched_kernelI19rocblas_complex_numIdELi16ELi16ELi64ELi64ELi4ELi64ELi4ELi4ELi64ELc67ELc84EKS2_S3_S2_EEvlllT_PT11_llS6_llS4_PT12_llPT13_lli.uses_flat_scratch, 1
	.set _ZN12_GLOBAL__N_127rocblas_gemm_batched_kernelI19rocblas_complex_numIdELi16ELi16ELi64ELi64ELi4ELi64ELi4ELi4ELi64ELc67ELc84EKS2_S3_S2_EEvlllT_PT11_llS6_llS4_PT12_llPT13_lli.has_dyn_sized_stack, 0
	.set _ZN12_GLOBAL__N_127rocblas_gemm_batched_kernelI19rocblas_complex_numIdELi16ELi16ELi64ELi64ELi4ELi64ELi4ELi4ELi64ELc67ELc84EKS2_S3_S2_EEvlllT_PT11_llS6_llS4_PT12_llPT13_lli.has_recursion, 0
	.set _ZN12_GLOBAL__N_127rocblas_gemm_batched_kernelI19rocblas_complex_numIdELi16ELi16ELi64ELi64ELi4ELi64ELi4ELi4ELi64ELc67ELc84EKS2_S3_S2_EEvlllT_PT11_llS6_llS4_PT12_llPT13_lli.has_indirect_call, 0
	.section	.AMDGPU.csdata,"",@progbits
; Kernel info:
; codeLenInByte = 8588
; TotalNumSgprs: 54
; NumVgprs: 256
; ScratchSize: 380
; MemoryBound: 0
; FloatMode: 240
; IeeeMode: 1
; LDSByteSize: 8192 bytes/workgroup (compile time only)
; SGPRBlocks: 0
; VGPRBlocks: 31
; NumSGPRsForWavesPerEU: 54
; NumVGPRsForWavesPerEU: 256
; Occupancy: 5
; WaveLimiterHint : 1
; COMPUTE_PGM_RSRC2:SCRATCH_EN: 1
; COMPUTE_PGM_RSRC2:USER_SGPR: 2
; COMPUTE_PGM_RSRC2:TRAP_HANDLER: 0
; COMPUTE_PGM_RSRC2:TGID_X_EN: 1
; COMPUTE_PGM_RSRC2:TGID_Y_EN: 1
; COMPUTE_PGM_RSRC2:TGID_Z_EN: 1
; COMPUTE_PGM_RSRC2:TIDIG_COMP_CNT: 1
	.section	.text._ZN12_GLOBAL__N_127rocblas_gemm_batched_kernelI19rocblas_complex_numIdELi16ELi16ELi64ELi64ELi4ELi64ELi4ELi4ELi64ELc78ELc67EKS2_S3_S2_EEvlllT_PT11_llS6_llS4_PT12_llPT13_lli,"axG",@progbits,_ZN12_GLOBAL__N_127rocblas_gemm_batched_kernelI19rocblas_complex_numIdELi16ELi16ELi64ELi64ELi4ELi64ELi4ELi4ELi64ELc78ELc67EKS2_S3_S2_EEvlllT_PT11_llS6_llS4_PT12_llPT13_lli,comdat
	.globl	_ZN12_GLOBAL__N_127rocblas_gemm_batched_kernelI19rocblas_complex_numIdELi16ELi16ELi64ELi64ELi4ELi64ELi4ELi4ELi64ELc78ELc67EKS2_S3_S2_EEvlllT_PT11_llS6_llS4_PT12_llPT13_lli ; -- Begin function _ZN12_GLOBAL__N_127rocblas_gemm_batched_kernelI19rocblas_complex_numIdELi16ELi16ELi64ELi64ELi4ELi64ELi4ELi4ELi64ELc78ELc67EKS2_S3_S2_EEvlllT_PT11_llS6_llS4_PT12_llPT13_lli
	.p2align	8
	.type	_ZN12_GLOBAL__N_127rocblas_gemm_batched_kernelI19rocblas_complex_numIdELi16ELi16ELi64ELi64ELi4ELi64ELi4ELi4ELi64ELc78ELc67EKS2_S3_S2_EEvlllT_PT11_llS6_llS4_PT12_llPT13_lli,@function
_ZN12_GLOBAL__N_127rocblas_gemm_batched_kernelI19rocblas_complex_numIdELi16ELi16ELi64ELi64ELi4ELi64ELi4ELi4ELi64ELc78ELc67EKS2_S3_S2_EEvlllT_PT11_llS6_llS4_PT12_llPT13_lli: ; @_ZN12_GLOBAL__N_127rocblas_gemm_batched_kernelI19rocblas_complex_numIdELi16ELi16ELi64ELi64ELi4ELi64ELi4ELi4ELi64ELc78ELc67EKS2_S3_S2_EEvlllT_PT11_llS6_llS4_PT12_llPT13_lli
; %bb.0:
	s_load_b32 s28, s[0:1], 0x98
	s_lshr_b32 s2, ttmp7, 16
	s_wait_kmcnt 0x0
	s_cmp_ge_i32 s2, s28
	s_cbranch_scc1 .LBB125_11
; %bb.1:
	v_and_b32_e32 v1, 0x3ff, v0
	v_bfe_u32 v2, v0, 10, 10
	s_clause 0x2
	s_load_b512 s[4:19], s[0:1], 0x50
	s_load_b512 s[36:51], s[0:1], 0x10
	s_load_b64 s[20:21], s[0:1], 0x90
	s_mov_b32 s22, ttmp9
	s_ashr_i32 s23, ttmp9, 31
	s_lshl_b32 s24, ttmp7, 6
	v_lshl_add_u32 v4, v2, 4, v1
	s_lshl_b64 s[0:1], s[22:23], 6
	s_and_b32 s22, s24, 0x3fffc0
	v_lshl_add_u32 v205, v2, 6, 0x1000
	v_add_nc_u32_e32 v14, s22, v2
	v_lshrrev_b32_e32 v11, 2, v4
	v_lshrrev_b32_e32 v13, 6, v4
	v_lshlrev_b32_e32 v204, 4, v1
	s_mov_b32 s3, 0
	s_delay_alu instid0(VALU_DEP_3)
	v_add_co_u32 v2, s22, v11, s22
	s_wait_alu 0xf1ff
	v_add_co_ci_u32_e64 v3, null, 0, 0, s22
	v_add_co_u32 v5, s22, s0, v1
	s_wait_alu 0xf1ff
	v_add_co_ci_u32_e64 v6, null, s1, 0, s22
	s_wait_kmcnt 0x0
	v_mad_co_u64_u32 v[16:17], null, v14, s18, 0
	v_and_b32_e32 v0, 3, v0
	scratch_store_b64 off, v[5:6], off offset:336 ; 8-byte Folded Spill
	v_and_b32_e32 v1, 63, v4
	v_mad_co_u64_u32 v[6:7], null, v14, s12, 0
	v_mad_co_u64_u32 v[4:5], null, s50, v0, v[2:3]
	;; [unrolled: 1-line block ×3, first 2 shown]
	v_dual_mov_b32 v3, v17 :: v_dual_lshlrev_b32 v10, 4, v0
	v_lshlrev_b32_e32 v2, 4, v1
	v_cmp_eq_f64_e64 s23, s[6:7], 0
	v_cmp_eq_f64_e64 s24, s[8:9], 0
	v_cmp_gt_i64_e64 s0, s[36:37], 0
	v_lshl_or_b32 v15, v11, 6, v10
	v_mad_co_u64_u32 v[10:11], null, s51, v0, v[5:6]
	v_mad_co_u64_u32 v[11:12], null, v14, s13, v[7:8]
	v_lshl_or_b32 v134, v13, 10, v2
	v_add_co_u32 v8, vcc_lo, v8, v1
	s_wait_alu 0xf1ff
	v_cndmask_b32_e64 v2, 0, 1, s0
	v_mad_co_u64_u32 v[12:13], null, s45, v13, v[9:10]
	v_mov_b32_e32 v7, v11
	v_mad_co_u64_u32 v[13:14], null, v14, s19, v[3:4]
	v_mov_b32_e32 v5, v10
	v_add_nc_u32_e32 v135, 0x1000, v15
	s_delay_alu instid0(VALU_DEP_4)
	v_lshlrev_b64_e32 v[6:7], 4, v[6:7]
	v_add_co_ci_u32_e64 v9, null, 0, v12, vcc_lo
	v_cmp_ne_u32_e64 s0, 1, v2
	v_mov_b32_e32 v17, v13
	s_lshl_b64 s[4:5], s[4:5], 4
	v_add_co_u32 v0, vcc_lo, s10, v6
	v_lshlrev_b64_e32 v[8:9], 4, v[8:9]
	scratch_store_b32 off, v0, off offset:368 ; 4-byte Folded Spill
	s_wait_alu 0xfffd
	v_add_co_ci_u32_e64 v0, null, s11, v7, vcc_lo
	v_lshlrev_b64_e32 v[6:7], 4, v[4:5]
	s_lshl_b64 s[10:11], s[46:47], 4
	scratch_store_b32 off, v0, off offset:372 ; 4-byte Folded Spill
	v_add_co_u32 v0, vcc_lo, s42, v8
	s_wait_alu 0xfffd
	v_add_co_ci_u32_e64 v1, null, s43, v9, vcc_lo
	scratch_store_b64 off, v[16:17], off offset:344 ; 8-byte Folded Spill
	s_and_b32 s29, s23, s24
	s_lshl_b64 s[24:25], s[18:19], 4
	scratch_store_b64 off, v[0:1], off offset:352 ; 8-byte Folded Spill
	v_add_co_u32 v0, vcc_lo, s48, v6
	s_wait_alu 0xfffd
	v_add_co_ci_u32_e64 v1, null, s49, v7, vcc_lo
	s_lshl_b64 s[22:23], s[12:13], 4
	v_add_co_u32 v0, vcc_lo, v0, 8
	s_wait_alu 0xfffd
	v_add_co_ci_u32_e64 v1, null, 0, v1, vcc_lo
	s_lshl_b64 s[12:13], s[44:45], 6
	s_lshl_b64 s[18:19], s[50:51], 6
	s_wait_alu 0xfffe
	s_lshl_b64 s[22:23], s[22:23], 4
	s_lshl_b64 s[24:25], s[24:25], 4
	s_clause 0x2
	scratch_store_b64 off, v[0:1], off offset:360
	scratch_store_b32 off, v134, off offset:328
	scratch_store_b32 off, v135, off offset:332
	s_branch .LBB125_3
.LBB125_2:                              ;   in Loop: Header=BB125_3 Depth=1
	s_add_co_i32 s2, s2, 0x10000
	global_store_b64 v[74:75], v[72:73], off offset:8
	s_wait_alu 0xfffe
	s_cmp_lt_i32 s2, s28
	s_cbranch_scc0 .LBB125_11
.LBB125_3:                              ; =>This Loop Header: Depth=1
                                        ;     Child Loop BB125_5 Depth 2
	s_and_b32 vcc_lo, exec_lo, s0
	s_wait_alu 0xfffe
	s_cbranch_vccnz .LBB125_6
; %bb.4:                                ;   in Loop: Header=BB125_3 Depth=1
	scratch_load_b64 v[0:1], off, off offset:352 ; 8-byte Folded Reload
	v_mov_b32_e32 v144, 0
	v_mov_b32_e32 v30, 0
	v_dual_mov_b32 v31, 0 :: v_dual_mov_b32 v26, 0
	v_mov_b32_e32 v138, 0
	v_dual_mov_b32 v139, 0 :: v_dual_mov_b32 v140, 0
	v_mov_b32_e32 v206, 0
	v_mov_b32_e32 v254, 0
	v_dual_mov_b32 v72, 0 :: v_dual_mov_b32 v141, 0
	v_mov_b32_e32 v207, 0
	v_mov_b32_e32 v255, 0
	;; [unrolled: 1-line block ×4, first 2 shown]
	s_mov_b64 s[26:27], 0
	v_mov_b32_e32 v22, 0
	v_dual_mov_b32 v23, 0 :: v_dual_mov_b32 v18, 0
	v_dual_mov_b32 v19, 0 :: v_dual_mov_b32 v16, 0
	;; [unrolled: 1-line block ×17, first 2 shown]
	v_mov_b32_e32 v181, 0
	s_wait_loadcnt 0x0
	v_mad_co_u64_u32 v[24:25], null, s10, s2, v[0:1]
	scratch_load_b64 v[0:1], off, off offset:360 ; 8-byte Folded Reload
	v_dual_mov_b32 v145, 0 :: v_dual_mov_b32 v20, v25
	s_delay_alu instid0(VALU_DEP_1) | instskip(SKIP_2) | instid1(VALU_DEP_3)
	v_mad_co_u64_u32 v[28:29], null, s11, s2, v[20:21]
	v_mov_b32_e32 v20, 0
	v_mov_b32_e32 v21, 0
	;; [unrolled: 1-line block ×3, first 2 shown]
	s_wait_loadcnt 0x0
	v_mad_co_u64_u32 v[32:33], null, s4, s2, v[0:1]
	v_mov_b32_e32 v0, 0
	v_dual_mov_b32 v1, 0 :: v_dual_mov_b32 v178, 0
	v_mov_b32_e32 v179, 0
	scratch_store_b64 off, v[0:1], off      ; 8-byte Folded Spill
	v_mov_b32_e32 v0, 0
	v_mov_b32_e32 v1, 0
	;; [unrolled: 1-line block ×3, first 2 shown]
	scratch_store_b64 off, v[0:1], off offset:8 ; 8-byte Folded Spill
	v_mov_b32_e32 v0, 0
	v_mad_co_u64_u32 v[75:76], null, s5, s2, v[29:30]
	v_mov_b32_e32 v1, 0
	s_delay_alu instid0(VALU_DEP_2)
	v_dual_mov_b32 v33, v75 :: v_dual_mov_b32 v74, 0
	v_mov_b32_e32 v75, 0
.LBB125_5:                              ;   Parent Loop BB125_3 Depth=1
                                        ; =>  This Inner Loop Header: Depth=2
	s_clause 0x4
	scratch_store_b64 off, v[144:145], off offset:200
	scratch_store_b64 off, v[140:141], off offset:40
	;; [unrolled: 1-line block ×5, first 2 shown]
	global_load_b128 v[76:79], v[32:33], off offset:-8
	global_load_b128 v[80:83], v[24:25], off
	v_dual_mov_b32 v36, v172 :: v_dual_mov_b32 v37, v173
	v_dual_mov_b32 v28, v180 :: v_dual_mov_b32 v29, v181
	;; [unrolled: 1-line block ×3, first 2 shown]
	s_wait_alu 0xfffe
	s_add_nc_u64 s[26:27], s[26:27], 4
	s_wait_loadcnt 0x1
	v_xor_b32_e32 v79, 0x80000000, v79
	s_wait_loadcnt 0x0
	ds_store_2addr_b64 v134, v[80:81], v[82:83] offset1:1
	ds_store_b128 v135, v[76:79]
	s_wait_storecnt_dscnt 0x0
	s_barrier_signal -1
	s_barrier_wait -1
	global_inv scope:SCOPE_SE
	ds_load_b128 v[90:93], v205
	ds_load_b128 v[126:129], v204
	ds_load_b128 v[130:133], v204 offset:256
	ds_load_b128 v[154:157], v205 offset:16
	s_wait_dscnt 0x2
	v_mul_f64_e32 v[76:77], v[92:93], v[128:129]
	v_mul_f64_e32 v[78:79], v[90:91], v[128:129]
	s_wait_dscnt 0x1
	v_mul_f64_e32 v[80:81], v[92:93], v[132:133]
	v_mul_f64_e32 v[82:83], v[90:91], v[132:133]
	s_delay_alu instid0(VALU_DEP_4)
	v_fma_f64 v[24:25], v[90:91], v[126:127], -v[76:77]
	scratch_store_b64 off, v[24:25], off offset:48 ; 8-byte Folded Spill
	v_fma_f64 v[24:25], v[92:93], v[126:127], v[78:79]
	scratch_store_b64 off, v[24:25], off offset:56 ; 8-byte Folded Spill
	v_fma_f64 v[24:25], v[90:91], v[130:131], -v[80:81]
	scratch_store_b64 off, v[24:25], off offset:64 ; 8-byte Folded Spill
	v_fma_f64 v[24:25], v[92:93], v[130:131], v[82:83]
	scratch_store_b64 off, v[24:25], off offset:72 ; 8-byte Folded Spill
	ds_load_b128 v[134:137], v204 offset:512
	ds_load_b128 v[138:141], v204 offset:768
	;; [unrolled: 1-line block ×4, first 2 shown]
	s_wait_dscnt 0x3
	v_mul_f64_e32 v[84:85], v[92:93], v[136:137]
	v_mul_f64_e32 v[86:87], v[90:91], v[136:137]
	s_wait_dscnt 0x2
	v_mul_f64_e32 v[88:89], v[92:93], v[140:141]
	s_wait_dscnt 0x1
	v_mul_f64_e32 v[94:95], v[106:107], v[128:129]
	v_mul_f64_e32 v[96:97], v[108:109], v[132:133]
	v_mul_f64_e32 v[98:99], v[106:107], v[132:133]
	v_mul_f64_e32 v[100:101], v[108:109], v[136:137]
	v_mul_f64_e32 v[102:103], v[106:107], v[136:137]
	v_mul_f64_e32 v[104:105], v[108:109], v[140:141]
	v_fma_f64 v[24:25], v[90:91], v[134:135], -v[84:85]
	scratch_store_b64 off, v[24:25], off offset:80 ; 8-byte Folded Spill
	v_fma_f64 v[24:25], v[92:93], v[134:135], v[86:87]
	scratch_store_b64 off, v[24:25], off offset:88 ; 8-byte Folded Spill
	v_fma_f64 v[24:25], v[90:91], v[138:139], -v[88:89]
	v_mul_f64_e32 v[90:91], v[90:91], v[140:141]
	scratch_store_b64 off, v[24:25], off offset:96 ; 8-byte Folded Spill
	v_fma_f64 v[24:25], v[92:93], v[138:139], v[90:91]
	v_mul_f64_e32 v[92:93], v[108:109], v[128:129]
	scratch_store_b64 off, v[24:25], off offset:104 ; 8-byte Folded Spill
	v_fma_f64 v[24:25], v[106:107], v[126:127], -v[92:93]
	scratch_store_b64 off, v[24:25], off offset:112 ; 8-byte Folded Spill
	v_fma_f64 v[24:25], v[108:109], v[126:127], v[94:95]
	scratch_store_b64 off, v[24:25], off offset:120 ; 8-byte Folded Spill
	v_fma_f64 v[24:25], v[106:107], v[130:131], -v[96:97]
	scratch_store_b64 off, v[24:25], off offset:128 ; 8-byte Folded Spill
	v_fma_f64 v[24:25], v[108:109], v[130:131], v[98:99]
	;; [unrolled: 4-line block ×3, first 2 shown]
	scratch_store_b64 off, v[24:25], off offset:152 ; 8-byte Folded Spill
	v_fma_f64 v[24:25], v[106:107], v[138:139], -v[104:105]
	v_mul_f64_e32 v[106:107], v[106:107], v[140:141]
	scratch_store_b64 off, v[24:25], off offset:160 ; 8-byte Folded Spill
	v_fma_f64 v[24:25], v[108:109], v[138:139], v[106:107]
	scratch_store_b64 off, v[24:25], off offset:168 ; 8-byte Folded Spill
	ds_load_b128 v[122:125], v205 offset:2048
	ds_load_b128 v[186:189], v205 offset:2064
	s_wait_dscnt 0x1
	v_mul_f64_e32 v[108:109], v[124:125], v[128:129]
	v_mul_f64_e32 v[110:111], v[122:123], v[128:129]
	;; [unrolled: 1-line block ×7, first 2 shown]
	v_fma_f64 v[24:25], v[122:123], v[126:127], -v[108:109]
	scratch_store_b64 off, v[24:25], off offset:176 ; 8-byte Folded Spill
	v_fma_f64 v[24:25], v[124:125], v[126:127], v[110:111]
	scratch_store_b64 off, v[24:25], off offset:184 ; 8-byte Folded Spill
	v_fma_f64 v[24:25], v[122:123], v[130:131], -v[112:113]
	scratch_store_b64 off, v[24:25], off offset:192 ; 8-byte Folded Spill
	v_fma_f64 v[24:25], v[124:125], v[130:131], v[114:115]
	scratch_store_b64 off, v[24:25], off offset:208 ; 8-byte Folded Spill
	;; [unrolled: 4-line block ×3, first 2 shown]
	v_fma_f64 v[24:25], v[122:123], v[138:139], -v[120:121]
	v_mul_f64_e32 v[122:123], v[122:123], v[140:141]
	scratch_store_b64 off, v[24:25], off offset:232 ; 8-byte Folded Spill
	v_fma_f64 v[24:25], v[124:125], v[138:139], v[122:123]
	scratch_store_b64 off, v[24:25], off offset:240 ; 8-byte Folded Spill
	ds_load_b128 v[142:145], v205 offset:3072
	ds_load_b128 v[210:213], v205 offset:3088
	s_wait_dscnt 0x1
	v_mul_f64_e32 v[124:125], v[144:145], v[128:129]
	v_mul_f64_e32 v[128:129], v[142:143], v[128:129]
	s_delay_alu instid0(VALU_DEP_2)
	v_fma_f64 v[24:25], v[142:143], v[126:127], -v[124:125]
	scratch_store_b64 off, v[24:25], off offset:248 ; 8-byte Folded Spill
	v_fma_f64 v[24:25], v[144:145], v[126:127], v[128:129]
	v_mul_f64_e32 v[128:129], v[144:145], v[132:133]
	v_mul_f64_e32 v[132:133], v[142:143], v[132:133]
	scratch_store_b64 off, v[24:25], off offset:256 ; 8-byte Folded Spill
	v_fma_f64 v[24:25], v[142:143], v[130:131], -v[128:129]
	scratch_store_b64 off, v[24:25], off offset:264 ; 8-byte Folded Spill
	v_fma_f64 v[24:25], v[144:145], v[130:131], v[132:133]
	v_mul_f64_e32 v[132:133], v[144:145], v[136:137]
	v_mul_f64_e32 v[136:137], v[142:143], v[136:137]
	scratch_store_b64 off, v[24:25], off offset:272 ; 8-byte Folded Spill
	;; [unrolled: 6-line block ×3, first 2 shown]
	v_fma_f64 v[24:25], v[142:143], v[138:139], -v[136:137]
	scratch_store_b64 off, v[24:25], off offset:296 ; 8-byte Folded Spill
	v_fma_f64 v[24:25], v[144:145], v[138:139], v[140:141]
	scratch_store_b64 off, v[24:25], off offset:304 ; 8-byte Folded Spill
	ds_load_b128 v[190:193], v204 offset:1024
	ds_load_b128 v[194:197], v204 offset:1280
	s_wait_dscnt 0x1
	v_mul_f64_e32 v[140:141], v[156:157], v[192:193]
	s_wait_dscnt 0x0
	v_mul_f64_e32 v[144:145], v[156:157], v[196:197]
	v_mul_f64_e32 v[142:143], v[154:155], v[192:193]
	;; [unrolled: 1-line block ×9, first 2 shown]
	v_fma_f64 v[24:25], v[154:155], v[190:191], -v[140:141]
	v_fma_f64 v[144:145], v[154:155], v[194:195], -v[144:145]
	v_fma_f64 v[142:143], v[156:157], v[190:191], v[142:143]
	v_fma_f64 v[146:147], v[156:157], v[194:195], v[146:147]
	v_fma_f64 v[160:161], v[170:171], v[194:195], -v[160:161]
	v_fma_f64 v[158:159], v[172:173], v[190:191], v[158:159]
	v_fma_f64 v[176:177], v[186:187], v[194:195], -v[176:177]
	v_fma_f64 v[174:175], v[188:189], v[190:191], v[174:175]
	v_fma_f64 v[178:179], v[188:189], v[194:195], v[178:179]
	scratch_store_b64 off, v[24:25], off offset:312 ; 8-byte Folded Spill
	ds_load_b128 v[198:201], v204 offset:1536
	ds_load_b128 v[214:217], v204 offset:1792
	s_wait_dscnt 0x1
	v_mul_f64_e32 v[148:149], v[156:157], v[200:201]
	s_wait_dscnt 0x0
	v_mul_f64_e32 v[152:153], v[156:157], v[216:217]
	v_mul_f64_e32 v[150:151], v[154:155], v[200:201]
	;; [unrolled: 1-line block ×8, first 2 shown]
	v_fma_f64 v[148:149], v[154:155], v[198:199], -v[148:149]
	v_fma_f64 v[152:153], v[154:155], v[214:215], -v[152:153]
	v_mul_f64_e32 v[154:155], v[154:155], v[216:217]
	v_fma_f64 v[150:151], v[156:157], v[198:199], v[150:151]
	v_fma_f64 v[164:165], v[170:171], v[198:199], -v[164:165]
	v_fma_f64 v[168:169], v[170:171], v[214:215], -v[168:169]
	v_fma_f64 v[166:167], v[172:173], v[198:199], v[166:167]
	v_fma_f64 v[180:181], v[186:187], v[198:199], -v[180:181]
	v_fma_f64 v[184:185], v[186:187], v[214:215], -v[184:185]
	v_fma_f64 v[202:203], v[212:213], v[214:215], v[202:203]
	v_fma_f64 v[154:155], v[156:157], v[214:215], v[154:155]
	v_mul_f64_e32 v[156:157], v[172:173], v[192:193]
	s_delay_alu instid0(VALU_DEP_1)
	v_fma_f64 v[24:25], v[170:171], v[190:191], -v[156:157]
	v_mul_f64_e32 v[170:171], v[170:171], v[216:217]
	v_fma_f64 v[156:157], v[172:173], v[194:195], v[162:163]
	scratch_store_b64 off, v[24:25], off offset:320 ; 8-byte Folded Spill
	v_fma_f64 v[170:171], v[172:173], v[214:215], v[170:171]
	v_mul_f64_e32 v[172:173], v[188:189], v[192:193]
	v_dual_mov_b32 v24, v182 :: v_dual_mov_b32 v25, v183
	v_mul_f64_e32 v[182:183], v[186:187], v[200:201]
	s_delay_alu instid0(VALU_DEP_3) | instskip(SKIP_1) | instid1(VALU_DEP_3)
	v_fma_f64 v[172:173], v[186:187], v[190:191], -v[172:173]
	v_mul_f64_e32 v[186:187], v[186:187], v[216:217]
	v_fma_f64 v[182:183], v[188:189], v[198:199], v[182:183]
	s_delay_alu instid0(VALU_DEP_2) | instskip(SKIP_2) | instid1(VALU_DEP_2)
	v_fma_f64 v[186:187], v[188:189], v[214:215], v[186:187]
	v_mul_f64_e32 v[188:189], v[212:213], v[192:193]
	v_mul_f64_e32 v[192:193], v[210:211], v[192:193]
	v_fma_f64 v[188:189], v[210:211], v[190:191], -v[188:189]
	s_delay_alu instid0(VALU_DEP_2) | instskip(SKIP_2) | instid1(VALU_DEP_2)
	v_fma_f64 v[190:191], v[212:213], v[190:191], v[192:193]
	v_mul_f64_e32 v[192:193], v[212:213], v[196:197]
	v_mul_f64_e32 v[196:197], v[210:211], v[196:197]
	v_fma_f64 v[192:193], v[210:211], v[194:195], -v[192:193]
	;; [unrolled: 5-line block ×3, first 2 shown]
	s_delay_alu instid0(VALU_DEP_2) | instskip(SKIP_1) | instid1(VALU_DEP_1)
	v_fma_f64 v[198:199], v[212:213], v[198:199], v[200:201]
	v_mul_f64_e32 v[200:201], v[212:213], v[216:217]
	v_fma_f64 v[200:201], v[210:211], v[214:215], -v[200:201]
	ds_load_b128 v[210:213], v205 offset:32
	ds_load_b128 v[214:217], v204 offset:2048
	ds_load_b128 v[218:221], v204 offset:2304
	ds_load_b128 v[222:225], v205 offset:48
	s_wait_dscnt 0x2
	v_mul_f64_e32 v[226:227], v[212:213], v[216:217]
	s_delay_alu instid0(VALU_DEP_1) | instskip(SKIP_1) | instid1(VALU_DEP_1)
	v_fma_f64 v[136:137], v[210:211], v[214:215], -v[226:227]
	v_mul_f64_e32 v[226:227], v[210:211], v[216:217]
	v_fma_f64 v[134:135], v[212:213], v[214:215], v[226:227]
	s_wait_dscnt 0x1
	v_mul_f64_e32 v[226:227], v[212:213], v[220:221]
	s_delay_alu instid0(VALU_DEP_1) | instskip(SKIP_1) | instid1(VALU_DEP_1)
	v_fma_f64 v[132:133], v[210:211], v[218:219], -v[226:227]
	v_mul_f64_e32 v[226:227], v[210:211], v[220:221]
	v_fma_f64 v[130:131], v[212:213], v[218:219], v[226:227]
	ds_load_b128 v[226:229], v204 offset:2560
	ds_load_b128 v[230:233], v204 offset:2816
	s_wait_dscnt 0x1
	v_mul_f64_e32 v[234:235], v[212:213], v[228:229]
	s_delay_alu instid0(VALU_DEP_1) | instskip(SKIP_1) | instid1(VALU_DEP_1)
	v_fma_f64 v[128:129], v[210:211], v[226:227], -v[234:235]
	v_mul_f64_e32 v[234:235], v[210:211], v[228:229]
	v_fma_f64 v[126:127], v[212:213], v[226:227], v[234:235]
	s_wait_dscnt 0x0
	v_mul_f64_e32 v[234:235], v[212:213], v[232:233]
	s_delay_alu instid0(VALU_DEP_1) | instskip(SKIP_1) | instid1(VALU_DEP_1)
	v_fma_f64 v[124:125], v[210:211], v[230:231], -v[234:235]
	v_mul_f64_e32 v[210:211], v[210:211], v[232:233]
	v_fma_f64 v[122:123], v[212:213], v[230:231], v[210:211]
	ds_load_b128 v[210:213], v205 offset:1056
	ds_load_b128 v[234:237], v205 offset:1072
	s_wait_dscnt 0x1
	v_mul_f64_e32 v[238:239], v[212:213], v[216:217]
	s_delay_alu instid0(VALU_DEP_1) | instskip(SKIP_1) | instid1(VALU_DEP_1)
	v_fma_f64 v[162:163], v[210:211], v[214:215], -v[238:239]
	v_mul_f64_e32 v[238:239], v[210:211], v[216:217]
	v_fma_f64 v[120:121], v[212:213], v[214:215], v[238:239]
	v_mul_f64_e32 v[238:239], v[212:213], v[220:221]
	s_delay_alu instid0(VALU_DEP_1) | instskip(SKIP_1) | instid1(VALU_DEP_1)
	v_fma_f64 v[118:119], v[210:211], v[218:219], -v[238:239]
	v_mul_f64_e32 v[238:239], v[210:211], v[220:221]
	v_fma_f64 v[116:117], v[212:213], v[218:219], v[238:239]
	;; [unrolled: 5-line block ×4, first 2 shown]
	ds_load_b128 v[210:213], v205 offset:2080
	ds_load_b128 v[238:241], v205 offset:2096
	s_wait_dscnt 0x1
	v_mul_f64_e32 v[242:243], v[212:213], v[216:217]
	s_delay_alu instid0(VALU_DEP_1) | instskip(SKIP_1) | instid1(VALU_DEP_1)
	v_fma_f64 v[106:107], v[210:211], v[214:215], -v[242:243]
	v_mul_f64_e32 v[242:243], v[210:211], v[216:217]
	v_fma_f64 v[104:105], v[212:213], v[214:215], v[242:243]
	v_mul_f64_e32 v[242:243], v[212:213], v[220:221]
	s_delay_alu instid0(VALU_DEP_1) | instskip(SKIP_1) | instid1(VALU_DEP_1)
	v_fma_f64 v[102:103], v[210:211], v[218:219], -v[242:243]
	v_mul_f64_e32 v[242:243], v[210:211], v[220:221]
	v_fma_f64 v[100:101], v[212:213], v[218:219], v[242:243]
	;; [unrolled: 5-line block ×4, first 2 shown]
	ds_load_b128 v[210:213], v205 offset:3104
	ds_load_b128 v[242:245], v205 offset:3120
	s_wait_dscnt 0x1
	v_mul_f64_e32 v[34:35], v[212:213], v[216:217]
	v_mul_f64_e32 v[216:217], v[210:211], v[216:217]
	s_delay_alu instid0(VALU_DEP_2) | instskip(NEXT) | instid1(VALU_DEP_2)
	v_fma_f64 v[90:91], v[210:211], v[214:215], -v[34:35]
	v_fma_f64 v[88:89], v[212:213], v[214:215], v[216:217]
	v_mul_f64_e32 v[214:215], v[212:213], v[220:221]
	s_delay_alu instid0(VALU_DEP_1) | instskip(SKIP_1) | instid1(VALU_DEP_1)
	v_fma_f64 v[38:39], v[210:211], v[218:219], -v[214:215]
	v_mul_f64_e32 v[214:215], v[210:211], v[220:221]
	v_fma_f64 v[40:41], v[212:213], v[218:219], v[214:215]
	v_mul_f64_e32 v[214:215], v[212:213], v[228:229]
	s_delay_alu instid0(VALU_DEP_1) | instskip(SKIP_1) | instid1(VALU_DEP_1)
	v_fma_f64 v[42:43], v[210:211], v[226:227], -v[214:215]
	v_mul_f64_e32 v[214:215], v[210:211], v[228:229]
	;; [unrolled: 5-line block ×3, first 2 shown]
	v_fma_f64 v[230:231], v[212:213], v[230:231], v[210:211]
	ds_load_b128 v[210:213], v204 offset:3072
	ds_load_b128 v[214:217], v204 offset:3328
	s_wait_dscnt 0x1
	v_mul_f64_e32 v[218:219], v[224:225], v[212:213]
	s_wait_dscnt 0x0
	v_mul_f64_e32 v[62:63], v[236:237], v[216:217]
	v_mul_f64_e32 v[60:61], v[234:235], v[212:213]
	;; [unrolled: 1-line block ×6, first 2 shown]
	v_fma_f64 v[232:233], v[222:223], v[210:211], -v[218:219]
	v_mul_f64_e32 v[218:219], v[222:223], v[212:213]
	v_fma_f64 v[62:63], v[234:235], v[214:215], -v[62:63]
	v_fma_f64 v[60:61], v[236:237], v[210:211], v[60:61]
	v_fma_f64 v[64:65], v[236:237], v[214:215], v[64:65]
	v_fma_f64 v[78:79], v[238:239], v[214:215], -v[78:79]
	v_fma_f64 v[76:77], v[240:241], v[210:211], v[76:77]
	v_fma_f64 v[80:81], v[240:241], v[214:215], v[80:81]
	;; [unrolled: 1-line block ×3, first 2 shown]
	v_mul_f64_e32 v[218:219], v[224:225], v[216:217]
	s_delay_alu instid0(VALU_DEP_1) | instskip(SKIP_1) | instid1(VALU_DEP_1)
	v_fma_f64 v[50:51], v[222:223], v[214:215], -v[218:219]
	v_mul_f64_e32 v[218:219], v[222:223], v[216:217]
	v_fma_f64 v[52:53], v[224:225], v[214:215], v[218:219]
	ds_load_b128 v[218:221], v204 offset:3584
	ds_load_b128 v[226:229], v204 offset:3840
	scratch_load_b64 v[34:35], off, off offset:48 th:TH_LOAD_LU ; 8-byte Folded Reload
	s_wait_dscnt 0x1
	v_mul_f64_e32 v[54:55], v[224:225], v[220:221]
	s_wait_dscnt 0x0
	v_mul_f64_e32 v[58:59], v[224:225], v[228:229]
	v_mul_f64_e32 v[56:57], v[222:223], v[220:221]
	;; [unrolled: 1-line block ×8, first 2 shown]
	v_fma_f64 v[54:55], v[222:223], v[218:219], -v[54:55]
	v_fma_f64 v[58:59], v[222:223], v[226:227], -v[58:59]
	v_mul_f64_e32 v[222:223], v[222:223], v[228:229]
	v_fma_f64 v[56:57], v[224:225], v[218:219], v[56:57]
	v_fma_f64 v[66:67], v[234:235], v[218:219], -v[66:67]
	v_fma_f64 v[70:71], v[234:235], v[226:227], -v[70:71]
	v_fma_f64 v[68:69], v[236:237], v[218:219], v[68:69]
	v_fma_f64 v[82:83], v[238:239], v[218:219], -v[82:83]
	v_fma_f64 v[86:87], v[238:239], v[226:227], -v[86:87]
	v_fma_f64 v[84:85], v[240:241], v[218:219], v[84:85]
	v_fma_f64 v[222:223], v[224:225], v[226:227], v[222:223]
	v_mul_f64_e32 v[224:225], v[236:237], v[212:213]
	s_delay_alu instid0(VALU_DEP_1) | instskip(SKIP_1) | instid1(VALU_DEP_1)
	v_fma_f64 v[224:225], v[234:235], v[210:211], -v[224:225]
	v_mul_f64_e32 v[234:235], v[234:235], v[228:229]
	v_fma_f64 v[234:235], v[236:237], v[226:227], v[234:235]
	v_mul_f64_e32 v[236:237], v[240:241], v[212:213]
	s_delay_alu instid0(VALU_DEP_1) | instskip(SKIP_1) | instid1(VALU_DEP_1)
	v_fma_f64 v[236:237], v[238:239], v[210:211], -v[236:237]
	v_mul_f64_e32 v[238:239], v[238:239], v[228:229]
	v_fma_f64 v[238:239], v[240:241], v[226:227], v[238:239]
	v_mul_f64_e32 v[240:241], v[244:245], v[212:213]
	v_mul_f64_e32 v[212:213], v[242:243], v[212:213]
	s_delay_alu instid0(VALU_DEP_2) | instskip(NEXT) | instid1(VALU_DEP_2)
	v_fma_f64 v[240:241], v[242:243], v[210:211], -v[240:241]
	v_fma_f64 v[210:211], v[244:245], v[210:211], v[212:213]
	v_mul_f64_e32 v[212:213], v[244:245], v[216:217]
	v_mul_f64_e32 v[216:217], v[242:243], v[216:217]
	s_delay_alu instid0(VALU_DEP_2) | instskip(NEXT) | instid1(VALU_DEP_2)
	v_fma_f64 v[212:213], v[242:243], v[214:215], -v[212:213]
	;; [unrolled: 5-line block ×4, first 2 shown]
	v_fma_f64 v[226:227], v[244:245], v[226:227], v[228:229]
	s_wait_loadcnt 0x0
	v_add_f64_e32 v[228:229], v[28:29], v[34:35]
	scratch_load_b64 v[28:29], off, off offset:56 th:TH_LOAD_LU ; 8-byte Folded Reload
	s_wait_loadcnt 0x0
	v_add_f64_e32 v[242:243], v[28:29], v[24:25]
	scratch_load_b64 v[24:25], off, off offset:64 th:TH_LOAD_LU ; 8-byte Folded Reload
	v_add_f64_e32 v[142:143], v[142:143], v[242:243]
	s_delay_alu instid0(VALU_DEP_1)
	v_add_f64_e32 v[134:135], v[134:135], v[142:143]
	s_wait_loadcnt 0x0
	v_add_f64_e32 v[244:245], v[36:37], v[24:25]
	scratch_load_b64 v[24:25], off, off offset:72 th:TH_LOAD_LU ; 8-byte Folded Reload
	v_dual_mov_b32 v36, v204 :: v_dual_mov_b32 v37, v205
	v_add_f64_e32 v[144:145], v[244:245], v[144:145]
	s_delay_alu instid0(VALU_DEP_1)
	v_add_f64_e32 v[132:133], v[144:145], v[132:133]
	s_wait_loadcnt 0x0
	v_add_f64_e32 v[204:205], v[24:25], v[208:209]
	scratch_load_b64 v[24:25], off, off offset:80 th:TH_LOAD_LU ; 8-byte Folded Reload
	v_add_f64_e32 v[146:147], v[146:147], v[204:205]
	v_dual_mov_b32 v205, v37 :: v_dual_mov_b32 v204, v36
	s_delay_alu instid0(VALU_DEP_2) | instskip(SKIP_4) | instid1(VALU_DEP_1)
	v_add_f64_e32 v[130:131], v[130:131], v[146:147]
	s_wait_loadcnt 0x0
	v_add_f64_e32 v[246:247], v[246:247], v[24:25]
	scratch_load_b64 v[24:25], off, off offset:88 th:TH_LOAD_LU ; 8-byte Folded Reload
	v_add_f64_e32 v[148:149], v[246:247], v[148:149]
	v_add_f64_e32 v[128:129], v[148:149], v[128:129]
	s_delay_alu instid0(VALU_DEP_1) | instskip(SKIP_4) | instid1(VALU_DEP_1)
	v_add_f64_e32 v[246:247], v[128:129], v[54:55]
	s_wait_loadcnt 0x0
	v_add_f64_e32 v[248:249], v[24:25], v[248:249]
	scratch_load_b64 v[24:25], off, off offset:96 th:TH_LOAD_LU ; 8-byte Folded Reload
	v_add_f64_e32 v[150:151], v[150:151], v[248:249]
	v_add_f64_e32 v[126:127], v[126:127], v[150:151]
	s_delay_alu instid0(VALU_DEP_1) | instskip(SKIP_4) | instid1(VALU_DEP_1)
	v_add_f64_e32 v[248:249], v[56:57], v[126:127]
	s_wait_loadcnt 0x0
	v_add_f64_e32 v[250:251], v[250:251], v[24:25]
	scratch_load_b64 v[24:25], off, off offset:104 th:TH_LOAD_LU ; 8-byte Folded Reload
	v_add_f64_e32 v[152:153], v[250:251], v[152:153]
	v_add_f64_e32 v[124:125], v[152:153], v[124:125]
	s_delay_alu instid0(VALU_DEP_1) | instskip(SKIP_4) | instid1(VALU_DEP_1)
	v_add_f64_e32 v[250:251], v[124:125], v[58:59]
	s_wait_loadcnt 0x0
	v_add_f64_e32 v[252:253], v[24:25], v[252:253]
	scratch_load_b64 v[24:25], off, off offset:112 th:TH_LOAD_LU ; 8-byte Folded Reload
	v_add_f64_e32 v[154:155], v[154:155], v[252:253]
	v_add_f64_e32 v[122:123], v[122:123], v[154:155]
	s_delay_alu instid0(VALU_DEP_1)
	v_add_f64_e32 v[252:253], v[222:223], v[122:123]
	s_wait_loadcnt 0x0
	v_add_f64_e32 v[0:1], v[0:1], v[24:25]
	scratch_load_b64 v[24:25], off, off offset:120 th:TH_LOAD_LU ; 8-byte Folded Reload
	s_wait_loadcnt 0x0
	v_add_f64_e32 v[2:3], v[24:25], v[2:3]
	scratch_load_b64 v[24:25], off, off offset:128 th:TH_LOAD_LU ; 8-byte Folded Reload
	v_add_f64_e32 v[2:3], v[158:159], v[2:3]
	s_delay_alu instid0(VALU_DEP_1) | instskip(NEXT) | instid1(VALU_DEP_1)
	v_add_f64_e32 v[2:3], v[120:121], v[2:3]
	v_add_f64_e32 v[2:3], v[60:61], v[2:3]
	s_wait_loadcnt 0x0
	v_add_f64_e32 v[4:5], v[4:5], v[24:25]
	scratch_load_b64 v[24:25], off, off offset:136 th:TH_LOAD_LU ; 8-byte Folded Reload
	v_add_f64_e32 v[4:5], v[4:5], v[160:161]
	s_delay_alu instid0(VALU_DEP_1) | instskip(NEXT) | instid1(VALU_DEP_1)
	v_add_f64_e32 v[4:5], v[4:5], v[118:119]
	v_add_f64_e32 v[4:5], v[4:5], v[62:63]
	s_wait_loadcnt 0x0
	v_add_f64_e32 v[6:7], v[24:25], v[6:7]
	scratch_load_b64 v[24:25], off, off offset:144 th:TH_LOAD_LU ; 8-byte Folded Reload
	v_add_f64_e32 v[6:7], v[156:157], v[6:7]
	s_delay_alu instid0(VALU_DEP_1) | instskip(NEXT) | instid1(VALU_DEP_1)
	v_add_f64_e32 v[6:7], v[116:117], v[6:7]
	v_add_f64_e32 v[6:7], v[64:65], v[6:7]
	s_wait_loadcnt 0x0
	v_add_f64_e32 v[8:9], v[8:9], v[24:25]
	scratch_load_b64 v[24:25], off, off offset:152 th:TH_LOAD_LU ; 8-byte Folded Reload
	v_add_f64_e32 v[8:9], v[8:9], v[164:165]
	s_delay_alu instid0(VALU_DEP_1) | instskip(NEXT) | instid1(VALU_DEP_1)
	v_add_f64_e32 v[8:9], v[8:9], v[114:115]
	v_add_f64_e32 v[8:9], v[8:9], v[66:67]
	s_wait_loadcnt 0x0
	v_add_f64_e32 v[10:11], v[24:25], v[10:11]
	scratch_load_b64 v[24:25], off, off offset:160 th:TH_LOAD_LU ; 8-byte Folded Reload
	v_add_f64_e32 v[10:11], v[166:167], v[10:11]
	s_delay_alu instid0(VALU_DEP_1) | instskip(NEXT) | instid1(VALU_DEP_1)
	v_add_f64_e32 v[10:11], v[112:113], v[10:11]
	v_add_f64_e32 v[10:11], v[68:69], v[10:11]
	s_wait_loadcnt 0x0
	v_add_f64_e32 v[12:13], v[12:13], v[24:25]
	scratch_load_b64 v[24:25], off, off offset:168 th:TH_LOAD_LU ; 8-byte Folded Reload
	v_add_f64_e32 v[12:13], v[12:13], v[168:169]
	s_delay_alu instid0(VALU_DEP_1) | instskip(NEXT) | instid1(VALU_DEP_1)
	v_add_f64_e32 v[12:13], v[12:13], v[110:111]
	v_add_f64_e32 v[12:13], v[12:13], v[70:71]
	s_wait_loadcnt 0x0
	v_add_f64_e32 v[14:15], v[24:25], v[14:15]
	scratch_load_b64 v[24:25], off, off offset:176 th:TH_LOAD_LU ; 8-byte Folded Reload
	v_add_f64_e32 v[14:15], v[170:171], v[14:15]
	s_delay_alu instid0(VALU_DEP_1) | instskip(NEXT) | instid1(VALU_DEP_1)
	v_add_f64_e32 v[14:15], v[108:109], v[14:15]
	v_add_f64_e32 v[14:15], v[234:235], v[14:15]
	s_wait_loadcnt 0x0
	v_add_f64_e32 v[16:17], v[16:17], v[24:25]
	scratch_load_b64 v[24:25], off, off offset:184 th:TH_LOAD_LU ; 8-byte Folded Reload
	v_add_f64_e32 v[16:17], v[16:17], v[172:173]
	v_add_f64_e32 v[172:173], v[132:133], v[50:51]
	s_delay_alu instid0(VALU_DEP_2) | instskip(NEXT) | instid1(VALU_DEP_1)
	v_add_f64_e32 v[16:17], v[16:17], v[106:107]
	v_add_f64_e32 v[16:17], v[16:17], v[236:237]
	s_wait_loadcnt 0x0
	v_add_f64_e32 v[18:19], v[24:25], v[18:19]
	scratch_load_b64 v[24:25], off, off offset:192 th:TH_LOAD_LU ; 8-byte Folded Reload
	v_add_f64_e32 v[18:19], v[174:175], v[18:19]
	s_delay_alu instid0(VALU_DEP_1) | instskip(NEXT) | instid1(VALU_DEP_1)
	v_add_f64_e32 v[18:19], v[104:105], v[18:19]
	v_add_f64_e32 v[18:19], v[76:77], v[18:19]
	s_wait_loadcnt 0x0
	v_add_f64_e32 v[20:21], v[20:21], v[24:25]
	scratch_load_b64 v[24:25], off, off offset:208 th:TH_LOAD_LU ; 8-byte Folded Reload
	v_add_f64_e32 v[20:21], v[20:21], v[176:177]
	s_delay_alu instid0(VALU_DEP_1) | instskip(NEXT) | instid1(VALU_DEP_1)
	v_add_f64_e32 v[20:21], v[20:21], v[102:103]
	v_add_f64_e32 v[20:21], v[20:21], v[78:79]
	s_wait_loadcnt 0x0
	v_add_f64_e32 v[22:23], v[24:25], v[22:23]
	s_clause 0x1
	scratch_load_b64 v[24:25], off, off offset:8 th:TH_LOAD_LU
	scratch_load_b64 v[28:29], off, off offset:216 th:TH_LOAD_LU
	v_add_f64_e32 v[22:23], v[178:179], v[22:23]
	s_delay_alu instid0(VALU_DEP_1) | instskip(NEXT) | instid1(VALU_DEP_1)
	v_add_f64_e32 v[22:23], v[100:101], v[22:23]
	v_add_f64_e32 v[22:23], v[80:81], v[22:23]
	s_wait_loadcnt 0x0
	v_add_f64_e32 v[24:25], v[24:25], v[28:29]
	scratch_load_b64 v[28:29], off, off offset:224 th:TH_LOAD_LU ; 8-byte Folded Reload
	v_add_f64_e32 v[24:25], v[24:25], v[180:181]
	s_delay_alu instid0(VALU_DEP_1) | instskip(NEXT) | instid1(VALU_DEP_1)
	v_add_f64_e32 v[24:25], v[24:25], v[98:99]
	v_add_f64_e32 v[24:25], v[24:25], v[82:83]
	s_wait_loadcnt 0x0
	v_add_f64_e32 v[26:27], v[28:29], v[26:27]
	s_clause 0x1
	scratch_load_b64 v[28:29], off, off th:TH_LOAD_LU
	scratch_load_b64 v[34:35], off, off offset:232 th:TH_LOAD_LU
	v_add_f64_e32 v[26:27], v[182:183], v[26:27]
	v_add_f64_e32 v[182:183], v[48:49], v[134:135]
	s_delay_alu instid0(VALU_DEP_2) | instskip(NEXT) | instid1(VALU_DEP_1)
	v_add_f64_e32 v[26:27], v[96:97], v[26:27]
	v_add_f64_e32 v[26:27], v[84:85], v[26:27]
	s_wait_loadcnt 0x0
	v_add_f64_e32 v[28:29], v[28:29], v[34:35]
	scratch_load_b64 v[34:35], off, off offset:240 th:TH_LOAD_LU ; 8-byte Folded Reload
	v_add_f64_e32 v[28:29], v[28:29], v[184:185]
	s_delay_alu instid0(VALU_DEP_1) | instskip(NEXT) | instid1(VALU_DEP_1)
	v_add_f64_e32 v[28:29], v[28:29], v[94:95]
	v_add_f64_e32 v[28:29], v[28:29], v[86:87]
	s_wait_loadcnt 0x0
	v_add_f64_e32 v[30:31], v[34:35], v[30:31]
	scratch_load_b64 v[34:35], off, off offset:248 th:TH_LOAD_LU ; 8-byte Folded Reload
	v_add_f64_e32 v[30:31], v[186:187], v[30:31]
	s_delay_alu instid0(VALU_DEP_1) | instskip(NEXT) | instid1(VALU_DEP_1)
	;; [unrolled: 7-line block ×3, first 2 shown]
	v_add_f64_e32 v[32:33], v[32:33], v[90:91]
	v_add_f64_e32 v[178:179], v[32:33], v[240:241]
	s_wait_loadcnt 0x0
	v_add_f64_e32 v[72:73], v[34:35], v[72:73]
	scratch_load_b64 v[34:35], off, off offset:264 th:TH_LOAD_LU ; 8-byte Folded Reload
	v_add_f64_e32 v[72:73], v[190:191], v[72:73]
	s_wait_loadcnt 0x0
	v_add_f64_e32 v[254:255], v[254:255], v[34:35]
	scratch_load_b64 v[34:35], off, off offset:272 th:TH_LOAD_LU ; 8-byte Folded Reload
	v_add_f64_e32 v[156:157], v[254:255], v[192:193]
	s_delay_alu instid0(VALU_DEP_1) | instskip(NEXT) | instid1(VALU_DEP_1)
	v_add_f64_e32 v[38:39], v[156:157], v[38:39]
	v_add_f64_e32 v[254:255], v[38:39], v[212:213]
	s_wait_loadcnt 0x0
	v_add_f64_e32 v[208:209], v[34:35], v[206:207]
	s_clause 0x1
	scratch_load_b64 v[34:35], off, off offset:200 th:TH_LOAD_LU
	scratch_load_b64 v[138:139], off, off offset:280 th:TH_LOAD_LU
	v_add_f64_e32 v[158:159], v[194:195], v[208:209]
	v_add_f64_e32 v[208:209], v[52:53], v[130:131]
	s_delay_alu instid0(VALU_DEP_2)
	v_add_f64_e32 v[40:41], v[40:41], v[158:159]
	s_wait_loadcnt 0x0
	v_add_f64_e32 v[206:207], v[34:35], v[138:139]
	s_clause 0x1
	scratch_load_b64 v[34:35], off, off offset:40 th:TH_LOAD_LU
	scratch_load_b64 v[138:139], off, off offset:288 th:TH_LOAD_LU
	v_add_f64_e32 v[160:161], v[206:207], v[196:197]
	v_add_f64_e32 v[206:207], v[214:215], v[40:41]
	s_delay_alu instid0(VALU_DEP_2) | instskip(NEXT) | instid1(VALU_DEP_1)
	v_add_f64_e32 v[42:43], v[160:161], v[42:43]
	v_add_f64_e32 v[144:145], v[42:43], v[216:217]
	s_wait_loadcnt 0x0
	v_add_f64_e32 v[34:35], v[138:139], v[34:35]
	scratch_load_b64 v[138:139], off, off offset:296 th:TH_LOAD_LU ; 8-byte Folded Reload
	v_add_f64_e32 v[34:35], v[198:199], v[34:35]
	s_delay_alu instid0(VALU_DEP_1)
	v_add_f64_e32 v[34:35], v[44:45], v[34:35]
	s_wait_loadcnt 0x0
	v_add_f64_e32 v[74:75], v[74:75], v[138:139]
	s_clause 0x2
	scratch_load_b64 v[138:139], off, off offset:32 th:TH_LOAD_LU
	scratch_load_b64 v[140:141], off, off offset:304 th:TH_LOAD_LU
	scratch_load_b64 v[36:37], off, off offset:320 th:TH_LOAD_LU
	v_add_f64_e32 v[74:75], v[74:75], v[200:201]
	s_delay_alu instid0(VALU_DEP_1) | instskip(NEXT) | instid1(VALU_DEP_1)
	v_add_f64_e32 v[44:45], v[74:75], v[46:47]
	v_add_f64_e32 v[74:75], v[44:45], v[220:221]
	s_wait_loadcnt 0x1
	v_add_f64_e32 v[138:139], v[140:141], v[138:139]
	s_clause 0x2
	scratch_load_b64 v[140:141], off, off offset:312 th:TH_LOAD_LU
	scratch_load_b32 v135, off, off offset:332
	scratch_load_b32 v134, off, off offset:328
	s_clause 0x1
	scratch_store_b64 off, v[24:25], off offset:8
	scratch_store_b64 off, v[28:29], off
	s_clause 0x1
	scratch_load_b64 v[24:25], off, off offset:16 th:TH_LOAD_LU
	scratch_load_b64 v[32:33], off, off offset:24 th:TH_LOAD_LU
	s_wait_loadcnt 0x0
	s_wait_storecnt 0x0
	s_barrier_signal -1
	s_barrier_wait -1
	global_inv scope:SCOPE_SE
	v_add_f64_e32 v[0:1], v[0:1], v[36:37]
	v_add_f64_e32 v[36:37], v[88:89], v[72:73]
	;; [unrolled: 1-line block ×3, first 2 shown]
	s_delay_alu instid0(VALU_DEP_3) | instskip(NEXT) | instid1(VALU_DEP_3)
	v_add_f64_e32 v[0:1], v[0:1], v[162:163]
	v_add_f64_e32 v[72:73], v[210:211], v[36:37]
	s_delay_alu instid0(VALU_DEP_3) | instskip(NEXT) | instid1(VALU_DEP_3)
	v_add_f64_e32 v[46:47], v[230:231], v[138:139]
	v_add_f64_e32 v[0:1], v[0:1], v[224:225]
	s_delay_alu instid0(VALU_DEP_2)
	v_add_f64_e32 v[138:139], v[226:227], v[46:47]
	v_add_f64_e32 v[140:141], v[228:229], v[140:141]
	v_add_co_u32 v24, s1, v24, s12
	s_wait_alu 0xf1ff
	v_add_co_ci_u32_e64 v25, null, s13, v25, s1
	s_wait_alu 0xfffe
	v_cmp_lt_i64_e64 s1, s[26:27], s[36:37]
	v_add_co_u32 v32, vcc_lo, v32, s18
	s_wait_alu 0xfffd
	v_add_co_ci_u32_e64 v33, null, s19, v33, vcc_lo
	s_and_b32 vcc_lo, exec_lo, s1
	v_add_f64_e32 v[136:137], v[140:141], v[136:137]
	v_add_f64_e32 v[140:141], v[218:219], v[34:35]
	s_delay_alu instid0(VALU_DEP_2)
	v_add_f64_e32 v[180:181], v[136:137], v[232:233]
	s_wait_alu 0xfffe
	s_cbranch_vccnz .LBB125_5
	s_branch .LBB125_7
.LBB125_6:                              ;   in Loop: Header=BB125_3 Depth=1
	v_mov_b32_e32 v24, 0
	v_dual_mov_b32 v28, 0 :: v_dual_mov_b32 v25, 0
	v_dual_mov_b32 v26, 0 :: v_dual_mov_b32 v29, 0
	v_mov_b32_e32 v30, 0
	v_mov_b32_e32 v180, 0
	;; [unrolled: 1-line block ×14, first 2 shown]
	v_dual_mov_b32 v74, 0 :: v_dual_mov_b32 v181, 0
	v_dual_mov_b32 v182, 0 :: v_dual_mov_b32 v173, 0
	;; [unrolled: 1-line block ×15, first 2 shown]
	v_mov_b32_e32 v209, 0
	v_mov_b32_e32 v249, 0
	;; [unrolled: 1-line block ×9, first 2 shown]
	s_clause 0x1
	scratch_store_b64 off, v[24:25], off offset:8
	scratch_store_b64 off, v[28:29], off
	v_mov_b32_e32 v27, 0
	v_mov_b32_e32 v31, 0
	;; [unrolled: 1-line block ×6, first 2 shown]
.LBB125_7:                              ;   in Loop: Header=BB125_3 Depth=1
	s_mul_u64 s[26:27], s[20:21], s[2:3]
	v_dual_mov_b32 v153, v23 :: v_dual_mov_b32 v152, v22
	v_dual_mov_b32 v151, v27 :: v_dual_mov_b32 v150, v26
	v_dual_mov_b32 v147, v73 :: v_dual_mov_b32 v146, v72
	v_dual_mov_b32 v137, v75 :: v_dual_mov_b32 v136, v74
	v_dual_mov_b32 v171, v3 :: v_dual_mov_b32 v170, v2
	v_dual_mov_b32 v169, v1 :: v_dual_mov_b32 v168, v0
	v_dual_mov_b32 v167, v7 :: v_dual_mov_b32 v166, v6
	v_dual_mov_b32 v165, v5 :: v_dual_mov_b32 v164, v4
	v_dual_mov_b32 v163, v11 :: v_dual_mov_b32 v162, v10
	v_dual_mov_b32 v161, v9 :: v_dual_mov_b32 v160, v8
	v_dual_mov_b32 v159, v15 :: v_dual_mov_b32 v158, v14
	v_dual_mov_b32 v157, v13 :: v_dual_mov_b32 v156, v12
	v_dual_mov_b32 v155, v19 :: v_dual_mov_b32 v154, v18
	v_dual_mov_b32 v149, v31 :: v_dual_mov_b32 v148, v30
	s_wait_alu 0xfffe
	s_lshl_b64 s[26:27], s[26:27], 4
	s_and_not1_b32 vcc_lo, exec_lo, s29
	s_wait_alu 0xfffe
	s_add_nc_u64 s[26:27], s[16:17], s[26:27]
	s_mov_b32 s1, -1
                                        ; implicit-def: $vgpr72_vgpr73
                                        ; implicit-def: $vgpr74_vgpr75
	s_cbranch_vccz .LBB125_9
; %bb.8:                                ;   in Loop: Header=BB125_3 Depth=1
	s_wait_alu 0xfffe
	s_and_not1_b32 vcc_lo, exec_lo, s1
	s_wait_alu 0xfffe
	s_cbranch_vccnz .LBB125_2
	s_branch .LBB125_10
.LBB125_9:                              ;   in Loop: Header=BB125_3 Depth=1
	v_mul_f64_e32 v[10:11], s[38:39], v[248:249]
	v_dual_mov_b32 v18, v170 :: v_dual_mov_b32 v19, v171
	v_dual_mov_b32 v65, v17 :: v_dual_mov_b32 v64, v16
	v_mul_f64_e32 v[12:13], s[40:41], v[252:253]
	s_clause 0x1
	scratch_load_b64 v[32:33], off, off offset:344
	scratch_load_b64 v[34:35], off, off offset:336
	v_mul_f64_e32 v[16:17], s[40:41], v[18:19]
	v_mul_f64_e32 v[18:19], s[38:39], v[18:19]
	;; [unrolled: 1-line block ×7, first 2 shown]
	v_dual_mov_b32 v22, v166 :: v_dual_mov_b32 v23, v167
	v_dual_mov_b32 v63, v21 :: v_dual_mov_b32 v62, v20
	;; [unrolled: 1-line block ×3, first 2 shown]
	s_delay_alu instid0(VALU_DEP_3)
	v_mul_f64_e32 v[20:21], s[40:41], v[22:23]
	v_mul_f64_e32 v[22:23], s[38:39], v[22:23]
	v_dual_mov_b32 v38, v154 :: v_dual_mov_b32 v39, v155
	v_dual_mov_b32 v46, v150 :: v_dual_mov_b32 v47, v151
	v_dual_mov_b32 v54, v146 :: v_dual_mov_b32 v55, v147
	v_mul_f64_e32 v[14:15], s[38:39], v[252:253]
	v_mul_f64_e32 v[24:25], s[40:41], v[26:27]
	;; [unrolled: 1-line block ×3, first 2 shown]
	v_dual_mov_b32 v30, v158 :: v_dual_mov_b32 v31, v159
	v_dual_mov_b32 v42, v152 :: v_dual_mov_b32 v43, v153
	;; [unrolled: 1-line block ×3, first 2 shown]
	v_fma_f64 v[84:85], s[40:41], v[246:247], v[10:11]
	v_dual_mov_b32 v10, v168 :: v_dual_mov_b32 v11, v169
	v_mul_f64_e32 v[36:37], s[40:41], v[38:39]
	v_mul_f64_e32 v[38:39], s[38:39], v[38:39]
	v_fma_f64 v[86:87], s[38:39], v[250:251], -v[12:13]
	scratch_load_b64 v[12:13], off, off     ; 8-byte Folded Reload
	v_mul_f64_e32 v[44:45], s[40:41], v[46:47]
	v_mul_f64_e32 v[46:47], s[38:39], v[46:47]
	v_fma_f64 v[92:93], s[40:41], v[10:11], v[18:19]
	scratch_load_b64 v[18:19], off, off offset:8 ; 8-byte Folded Reload
	v_fma_f64 v[76:77], s[40:41], v[180:181], v[2:3]
	v_mul_f64_e32 v[2:3], s[40:41], v[140:141]
	v_mul_f64_e32 v[52:53], s[40:41], v[54:55]
	;; [unrolled: 1-line block ×3, first 2 shown]
	v_fma_f64 v[78:79], s[38:39], v[172:173], -v[4:5]
	v_fma_f64 v[82:83], s[38:39], v[246:247], -v[8:9]
	v_mul_f64_e32 v[4:5], s[38:39], v[140:141]
	v_mul_f64_e32 v[8:9], s[38:39], v[138:139]
	;; [unrolled: 1-line block ×9, first 2 shown]
	v_fma_f64 v[74:75], s[38:39], v[180:181], -v[0:1]
	v_fma_f64 v[80:81], s[40:41], v[172:173], v[6:7]
	v_mul_f64_e32 v[0:1], s[38:39], v[206:207]
	v_mul_f64_e32 v[6:7], s[40:41], v[138:139]
	v_fma_f64 v[90:91], s[38:39], v[10:11], -v[16:17]
	v_dual_mov_b32 v10, v164 :: v_dual_mov_b32 v11, v165
	v_dual_mov_b32 v16, v64 :: v_dual_mov_b32 v17, v65
	v_fma_f64 v[88:89], s[40:41], v[250:251], v[14:15]
	s_delay_alu instid0(VALU_DEP_3)
	v_fma_f64 v[94:95], s[38:39], v[10:11], -v[20:21]
	v_fma_f64 v[96:97], s[40:41], v[10:11], v[22:23]
	v_dual_mov_b32 v10, v160 :: v_dual_mov_b32 v11, v161
	v_dual_mov_b32 v20, v62 :: v_dual_mov_b32 v21, v63
	v_fma_f64 v[106:107], s[38:39], v[16:17], -v[36:37]
	v_fma_f64 v[108:109], s[40:41], v[16:17], v[38:39]
	s_delay_alu instid0(VALU_DEP_4)
	v_fma_f64 v[98:99], s[38:39], v[10:11], -v[24:25]
	v_fma_f64 v[100:101], s[40:41], v[10:11], v[26:27]
	v_dual_mov_b32 v10, v156 :: v_dual_mov_b32 v11, v157
	v_fma_f64 v[130:131], s[38:39], v[144:145], -v[2:3]
	v_dual_mov_b32 v2, v136 :: v_dual_mov_b32 v3, v137
	v_fma_f64 v[122:123], s[38:39], v[178:179], -v[52:53]
	v_fma_f64 v[124:125], s[40:41], v[178:179], v[54:55]
	v_fma_f64 v[132:133], s[40:41], v[144:145], v[4:5]
	s_delay_alu instid0(VALU_DEP_4)
	v_fma_f64 v[72:73], s[40:41], v[2:3], v[8:9]
	v_fma_f64 v[102:103], s[38:39], v[10:11], -v[28:29]
	v_fma_f64 v[104:105], s[40:41], v[10:11], v[30:31]
	v_fma_f64 v[110:111], s[38:39], v[20:21], -v[40:41]
	v_fma_f64 v[112:113], s[40:41], v[20:21], v[42:43]
	v_fma_f64 v[126:127], s[38:39], v[254:255], -v[56:57]
	v_fma_f64 v[128:129], s[40:41], v[254:255], v[0:1]
	v_fma_f64 v[0:1], s[38:39], v[2:3], -v[6:7]
	s_wait_loadcnt 0x3
	v_lshlrev_b64_e32 v[32:33], 4, v[32:33]
	s_wait_loadcnt 0x2
	v_lshlrev_b64_e32 v[34:35], 4, v[34:35]
	s_wait_alu 0xfffe
	s_delay_alu instid0(VALU_DEP_2) | instskip(SKIP_2) | instid1(VALU_DEP_2)
	v_add_co_u32 v32, vcc_lo, s26, v32
	s_wait_alu 0xfffd
	v_add_co_ci_u32_e64 v33, null, s27, v33, vcc_lo
	v_add_co_u32 v10, vcc_lo, v32, v34
	s_wait_alu 0xfffd
	s_delay_alu instid0(VALU_DEP_2)
	v_add_co_ci_u32_e64 v11, null, v33, v35, vcc_lo
	v_add_co_u32 v14, vcc_lo, v32, s24
	s_wait_alu 0xfffd
	v_add_co_ci_u32_e64 v15, null, s25, v33, vcc_lo
	s_wait_loadcnt 0x1
	v_fma_f64 v[118:119], s[38:39], v[12:13], -v[48:49]
	v_fma_f64 v[120:121], s[40:41], v[12:13], v[50:51]
	v_add_co_u32 v12, vcc_lo, v14, v34
	s_wait_loadcnt 0x0
	v_fma_f64 v[114:115], s[38:39], v[18:19], -v[44:45]
	v_fma_f64 v[116:117], s[40:41], v[18:19], v[46:47]
	s_wait_alu 0xfffd
	v_add_co_ci_u32_e64 v13, null, v15, v35, vcc_lo
	v_add_co_u32 v4, vcc_lo, v14, s24
	s_wait_alu 0xfffd
	v_add_co_ci_u32_e64 v5, null, s25, v15, vcc_lo
	s_clause 0x5
	global_store_b128 v[10:11], v[74:77], off
	global_store_b128 v[10:11], v[78:81], off offset:256
	global_store_b128 v[10:11], v[82:85], off offset:512
	;; [unrolled: 1-line block ×3, first 2 shown]
	global_store_b128 v[12:13], v[90:93], off
	global_store_b128 v[12:13], v[94:97], off offset:256
	v_add_co_u32 v2, vcc_lo, v4, v34
	s_wait_alu 0xfffd
	v_add_co_ci_u32_e64 v3, null, v5, v35, vcc_lo
	v_add_co_u32 v4, vcc_lo, v4, s24
	s_wait_alu 0xfffd
	v_add_co_ci_u32_e64 v5, null, s25, v5, vcc_lo
	s_clause 0x1
	global_store_b128 v[12:13], v[98:101], off offset:512
	global_store_b128 v[12:13], v[102:105], off offset:768
	v_add_co_u32 v4, vcc_lo, v4, v34
	s_wait_alu 0xfffd
	v_add_co_ci_u32_e64 v5, null, v5, v35, vcc_lo
	s_clause 0x1
	global_store_b128 v[2:3], v[106:109], off
	global_store_b128 v[2:3], v[110:113], off offset:256
	v_add_co_u32 v74, vcc_lo, 0x300, v4
	s_wait_alu 0xfffd
	v_add_co_ci_u32_e64 v75, null, 0, v5, vcc_lo
	s_clause 0x5
	global_store_b128 v[2:3], v[114:117], off offset:512
	global_store_b128 v[2:3], v[118:121], off offset:768
	global_store_b128 v[4:5], v[122:125], off
	global_store_b128 v[4:5], v[126:129], off offset:256
	global_store_b128 v[4:5], v[130:133], off offset:512
	global_store_b64 v[4:5], v[0:1], off offset:768
	s_cbranch_execnz .LBB125_2
.LBB125_10:                             ;   in Loop: Header=BB125_3 Depth=1
	s_clause 0x1
	scratch_load_b64 v[0:1], off, off offset:336
	scratch_load_b32 v2, off, off offset:368
	s_mul_u64 s[30:31], s[14:15], s[2:3]
	v_mul_f64_e32 v[4:5], s[40:41], v[182:183]
	s_wait_alu 0xfffe
	s_lshl_b64 s[30:31], s[30:31], 4
	v_mul_f64_e32 v[6:7], s[38:39], v[182:183]
	v_dual_mov_b32 v19, v17 :: v_dual_mov_b32 v18, v16
	s_delay_alu instid0(VALU_DEP_3) | instskip(NEXT) | instid1(VALU_DEP_3)
	v_fma_f64 v[4:5], s[38:39], v[180:181], -v[4:5]
	v_fma_f64 v[6:7], s[40:41], v[180:181], v[6:7]
	s_wait_loadcnt 0x1
	v_lshlrev_b64_e32 v[0:1], 4, v[0:1]
	s_wait_loadcnt 0x0
	s_wait_alu 0xfffe
	v_add_co_u32 v14, vcc_lo, v2, s30
	scratch_load_b32 v2, off, off offset:372 ; 4-byte Folded Reload
	s_wait_loadcnt 0x0
	s_wait_alu 0xfffd
	v_add_co_ci_u32_e64 v15, null, s31, v2, vcc_lo
	v_add_co_u32 v2, vcc_lo, v14, v0
	s_wait_alu 0xfffd
	s_delay_alu instid0(VALU_DEP_2) | instskip(SKIP_4) | instid1(VALU_DEP_2)
	v_add_co_ci_u32_e64 v3, null, v15, v1, vcc_lo
	global_load_b128 v[72:75], v[2:3], off
	s_wait_loadcnt 0x0
	v_mul_f64_e32 v[8:9], s[8:9], v[74:75]
	v_mul_f64_e32 v[10:11], s[6:7], v[74:75]
	v_fma_f64 v[8:9], s[6:7], v[72:73], -v[8:9]
	s_delay_alu instid0(VALU_DEP_2) | instskip(NEXT) | instid1(VALU_DEP_2)
	v_fma_f64 v[10:11], s[8:9], v[72:73], v[10:11]
	v_add_f64_e32 v[68:69], v[4:5], v[8:9]
	scratch_load_b64 v[4:5], off, off offset:344 ; 8-byte Folded Reload
	v_add_f64_e32 v[70:71], v[6:7], v[10:11]
	v_mul_f64_e32 v[6:7], s[40:41], v[208:209]
	v_mul_f64_e32 v[8:9], s[38:39], v[208:209]
	s_delay_alu instid0(VALU_DEP_2) | instskip(NEXT) | instid1(VALU_DEP_2)
	v_fma_f64 v[6:7], s[38:39], v[172:173], -v[6:7]
	v_fma_f64 v[8:9], s[40:41], v[172:173], v[8:9]
	s_wait_loadcnt 0x0
	v_lshlrev_b64_e32 v[4:5], 4, v[4:5]
	s_delay_alu instid0(VALU_DEP_1) | instskip(SKIP_1) | instid1(VALU_DEP_2)
	v_add_co_u32 v16, vcc_lo, s26, v4
	s_wait_alu 0xfffd
	v_add_co_ci_u32_e64 v17, null, s27, v5, vcc_lo
	s_delay_alu instid0(VALU_DEP_2) | instskip(SKIP_1) | instid1(VALU_DEP_2)
	v_add_co_u32 v4, vcc_lo, v16, v0
	s_wait_alu 0xfffd
	v_add_co_ci_u32_e64 v5, null, v17, v1, vcc_lo
	v_add_co_u32 v14, vcc_lo, v14, s22
	s_wait_alu 0xfffd
	v_add_co_ci_u32_e64 v15, null, s23, v15, vcc_lo
	global_store_b128 v[4:5], v[68:71], off
	global_load_b128 v[68:71], v[2:3], off offset:256
	s_wait_loadcnt 0x0
	v_mul_f64_e32 v[10:11], s[8:9], v[70:71]
	v_mul_f64_e32 v[12:13], s[6:7], v[70:71]
	s_delay_alu instid0(VALU_DEP_2) | instskip(NEXT) | instid1(VALU_DEP_2)
	v_fma_f64 v[10:11], s[6:7], v[68:69], -v[10:11]
	v_fma_f64 v[12:13], s[8:9], v[68:69], v[12:13]
	s_delay_alu instid0(VALU_DEP_2) | instskip(NEXT) | instid1(VALU_DEP_2)
	v_add_f64_e32 v[64:65], v[6:7], v[10:11]
	v_add_f64_e32 v[66:67], v[8:9], v[12:13]
	v_mul_f64_e32 v[6:7], s[40:41], v[248:249]
	v_mul_f64_e32 v[8:9], s[38:39], v[248:249]
	global_store_b128 v[4:5], v[64:67], off offset:256
	global_load_b128 v[64:67], v[2:3], off offset:512
	v_fma_f64 v[6:7], s[38:39], v[246:247], -v[6:7]
	v_fma_f64 v[8:9], s[40:41], v[246:247], v[8:9]
	s_wait_loadcnt 0x0
	v_mul_f64_e32 v[10:11], s[8:9], v[66:67]
	v_mul_f64_e32 v[12:13], s[6:7], v[66:67]
	s_delay_alu instid0(VALU_DEP_2) | instskip(NEXT) | instid1(VALU_DEP_2)
	v_fma_f64 v[10:11], s[6:7], v[64:65], -v[10:11]
	v_fma_f64 v[12:13], s[8:9], v[64:65], v[12:13]
	s_delay_alu instid0(VALU_DEP_2) | instskip(NEXT) | instid1(VALU_DEP_2)
	v_add_f64_e32 v[60:61], v[6:7], v[10:11]
	v_add_f64_e32 v[62:63], v[8:9], v[12:13]
	v_mul_f64_e32 v[6:7], s[38:39], v[252:253]
	global_store_b128 v[4:5], v[60:63], off offset:512
	global_load_b128 v[60:63], v[2:3], off offset:768
	v_mul_f64_e32 v[2:3], s[40:41], v[252:253]
	v_fma_f64 v[6:7], s[40:41], v[250:251], v[6:7]
	s_delay_alu instid0(VALU_DEP_2) | instskip(SKIP_3) | instid1(VALU_DEP_2)
	v_fma_f64 v[2:3], s[38:39], v[250:251], -v[2:3]
	s_wait_loadcnt 0x0
	v_mul_f64_e32 v[8:9], s[8:9], v[62:63]
	v_mul_f64_e32 v[10:11], s[6:7], v[62:63]
	v_fma_f64 v[8:9], s[6:7], v[60:61], -v[8:9]
	s_delay_alu instid0(VALU_DEP_2) | instskip(NEXT) | instid1(VALU_DEP_2)
	v_fma_f64 v[10:11], s[8:9], v[60:61], v[10:11]
	v_add_f64_e32 v[56:57], v[2:3], v[8:9]
	s_delay_alu instid0(VALU_DEP_2)
	v_add_f64_e32 v[58:59], v[6:7], v[10:11]
	v_add_co_u32 v2, vcc_lo, v14, v0
	s_wait_alu 0xfffd
	v_add_co_ci_u32_e64 v3, null, v15, v1, vcc_lo
	v_mul_f64_e32 v[6:7], s[38:39], v[170:171]
	v_add_co_u32 v16, vcc_lo, v16, s24
	s_wait_alu 0xfffd
	v_add_co_ci_u32_e64 v17, null, s25, v17, vcc_lo
	global_store_b128 v[4:5], v[56:59], off offset:768
	global_load_b128 v[56:59], v[2:3], off
	v_mul_f64_e32 v[4:5], s[40:41], v[170:171]
	v_fma_f64 v[6:7], s[40:41], v[168:169], v[6:7]
	s_delay_alu instid0(VALU_DEP_2) | instskip(SKIP_3) | instid1(VALU_DEP_2)
	v_fma_f64 v[4:5], s[38:39], v[168:169], -v[4:5]
	s_wait_loadcnt 0x0
	v_mul_f64_e32 v[8:9], s[8:9], v[58:59]
	v_mul_f64_e32 v[10:11], s[6:7], v[58:59]
	v_fma_f64 v[8:9], s[6:7], v[56:57], -v[8:9]
	s_delay_alu instid0(VALU_DEP_2) | instskip(NEXT) | instid1(VALU_DEP_2)
	v_fma_f64 v[10:11], s[8:9], v[56:57], v[10:11]
	v_add_f64_e32 v[52:53], v[4:5], v[8:9]
	s_delay_alu instid0(VALU_DEP_2)
	v_add_f64_e32 v[54:55], v[6:7], v[10:11]
	v_add_co_u32 v4, vcc_lo, v16, v0
	s_wait_alu 0xfffd
	v_add_co_ci_u32_e64 v5, null, v17, v1, vcc_lo
	v_mul_f64_e32 v[6:7], s[40:41], v[166:167]
	v_mul_f64_e32 v[8:9], s[38:39], v[166:167]
	v_add_co_u32 v14, vcc_lo, v14, s22
	s_wait_alu 0xfffd
	v_add_co_ci_u32_e64 v15, null, s23, v15, vcc_lo
	global_store_b128 v[4:5], v[52:55], off
	global_load_b128 v[52:55], v[2:3], off offset:256
	v_fma_f64 v[6:7], s[38:39], v[164:165], -v[6:7]
	v_fma_f64 v[8:9], s[40:41], v[164:165], v[8:9]
	s_wait_loadcnt 0x0
	v_mul_f64_e32 v[10:11], s[8:9], v[54:55]
	v_mul_f64_e32 v[12:13], s[6:7], v[54:55]
	s_delay_alu instid0(VALU_DEP_2) | instskip(NEXT) | instid1(VALU_DEP_2)
	v_fma_f64 v[10:11], s[6:7], v[52:53], -v[10:11]
	v_fma_f64 v[12:13], s[8:9], v[52:53], v[12:13]
	s_delay_alu instid0(VALU_DEP_2) | instskip(NEXT) | instid1(VALU_DEP_2)
	v_add_f64_e32 v[48:49], v[6:7], v[10:11]
	v_add_f64_e32 v[50:51], v[8:9], v[12:13]
	v_mul_f64_e32 v[6:7], s[40:41], v[162:163]
	v_mul_f64_e32 v[8:9], s[38:39], v[162:163]
	global_store_b128 v[4:5], v[48:51], off offset:256
	global_load_b128 v[48:51], v[2:3], off offset:512
	v_fma_f64 v[6:7], s[38:39], v[160:161], -v[6:7]
	v_fma_f64 v[8:9], s[40:41], v[160:161], v[8:9]
	s_wait_loadcnt 0x0
	v_mul_f64_e32 v[10:11], s[8:9], v[50:51]
	v_mul_f64_e32 v[12:13], s[6:7], v[50:51]
	s_delay_alu instid0(VALU_DEP_2) | instskip(NEXT) | instid1(VALU_DEP_2)
	v_fma_f64 v[10:11], s[6:7], v[48:49], -v[10:11]
	v_fma_f64 v[12:13], s[8:9], v[48:49], v[12:13]
	s_delay_alu instid0(VALU_DEP_2) | instskip(NEXT) | instid1(VALU_DEP_2)
	v_add_f64_e32 v[44:45], v[6:7], v[10:11]
	v_add_f64_e32 v[46:47], v[8:9], v[12:13]
	v_mul_f64_e32 v[6:7], s[38:39], v[158:159]
	global_store_b128 v[4:5], v[44:47], off offset:512
	global_load_b128 v[44:47], v[2:3], off offset:768
	v_mul_f64_e32 v[2:3], s[40:41], v[158:159]
	v_fma_f64 v[6:7], s[40:41], v[156:157], v[6:7]
	s_delay_alu instid0(VALU_DEP_2) | instskip(SKIP_3) | instid1(VALU_DEP_2)
	v_fma_f64 v[2:3], s[38:39], v[156:157], -v[2:3]
	s_wait_loadcnt 0x0
	v_mul_f64_e32 v[8:9], s[8:9], v[46:47]
	v_mul_f64_e32 v[10:11], s[6:7], v[46:47]
	v_fma_f64 v[8:9], s[6:7], v[44:45], -v[8:9]
	s_delay_alu instid0(VALU_DEP_2) | instskip(NEXT) | instid1(VALU_DEP_2)
	v_fma_f64 v[10:11], s[8:9], v[44:45], v[10:11]
	v_add_f64_e32 v[40:41], v[2:3], v[8:9]
	s_delay_alu instid0(VALU_DEP_2)
	v_add_f64_e32 v[42:43], v[6:7], v[10:11]
	v_add_co_u32 v2, vcc_lo, v14, v0
	s_wait_alu 0xfffd
	v_add_co_ci_u32_e64 v3, null, v15, v1, vcc_lo
	v_mul_f64_e32 v[6:7], s[38:39], v[154:155]
	v_add_co_u32 v16, vcc_lo, v16, s24
	s_wait_alu 0xfffd
	v_add_co_ci_u32_e64 v17, null, s25, v17, vcc_lo
	global_store_b128 v[4:5], v[40:43], off offset:768
	global_load_b128 v[40:43], v[2:3], off
	v_mul_f64_e32 v[4:5], s[40:41], v[154:155]
	v_fma_f64 v[6:7], s[40:41], v[18:19], v[6:7]
	s_delay_alu instid0(VALU_DEP_2) | instskip(SKIP_4) | instid1(VALU_DEP_2)
	v_fma_f64 v[4:5], s[38:39], v[18:19], -v[4:5]
	scratch_load_b64 v[18:19], off, off offset:8 th:TH_LOAD_LU ; 8-byte Folded Reload
	s_wait_loadcnt 0x1
	v_mul_f64_e32 v[8:9], s[8:9], v[42:43]
	v_mul_f64_e32 v[10:11], s[6:7], v[42:43]
	v_fma_f64 v[8:9], s[6:7], v[40:41], -v[8:9]
	s_delay_alu instid0(VALU_DEP_2) | instskip(NEXT) | instid1(VALU_DEP_2)
	v_fma_f64 v[10:11], s[8:9], v[40:41], v[10:11]
	v_add_f64_e32 v[36:37], v[4:5], v[8:9]
	s_delay_alu instid0(VALU_DEP_2)
	v_add_f64_e32 v[38:39], v[6:7], v[10:11]
	v_add_co_u32 v4, vcc_lo, v16, v0
	s_wait_alu 0xfffd
	v_add_co_ci_u32_e64 v5, null, v17, v1, vcc_lo
	v_mul_f64_e32 v[6:7], s[40:41], v[152:153]
	v_mul_f64_e32 v[8:9], s[38:39], v[152:153]
	global_store_b128 v[4:5], v[36:39], off
	global_load_b128 v[36:39], v[2:3], off offset:256
	v_fma_f64 v[6:7], s[38:39], v[20:21], -v[6:7]
	v_fma_f64 v[8:9], s[40:41], v[20:21], v[8:9]
	s_wait_loadcnt 0x0
	v_mul_f64_e32 v[10:11], s[8:9], v[38:39]
	v_mul_f64_e32 v[12:13], s[6:7], v[38:39]
	s_delay_alu instid0(VALU_DEP_2) | instskip(NEXT) | instid1(VALU_DEP_2)
	v_fma_f64 v[10:11], s[6:7], v[36:37], -v[10:11]
	v_fma_f64 v[12:13], s[8:9], v[36:37], v[12:13]
	s_delay_alu instid0(VALU_DEP_2) | instskip(NEXT) | instid1(VALU_DEP_2)
	v_add_f64_e32 v[32:33], v[6:7], v[10:11]
	v_add_f64_e32 v[34:35], v[8:9], v[12:13]
	v_mul_f64_e32 v[6:7], s[40:41], v[150:151]
	v_mul_f64_e32 v[8:9], s[38:39], v[150:151]
	global_store_b128 v[4:5], v[32:35], off offset:256
	global_load_b128 v[32:35], v[2:3], off offset:512
	v_fma_f64 v[6:7], s[38:39], v[18:19], -v[6:7]
	v_fma_f64 v[8:9], s[40:41], v[18:19], v[8:9]
	scratch_load_b64 v[18:19], off, off th:TH_LOAD_LU ; 8-byte Folded Reload
	s_wait_loadcnt 0x1
	v_mul_f64_e32 v[10:11], s[8:9], v[34:35]
	v_mul_f64_e32 v[12:13], s[6:7], v[34:35]
	s_delay_alu instid0(VALU_DEP_2) | instskip(NEXT) | instid1(VALU_DEP_2)
	v_fma_f64 v[10:11], s[6:7], v[32:33], -v[10:11]
	v_fma_f64 v[12:13], s[8:9], v[32:33], v[12:13]
	s_delay_alu instid0(VALU_DEP_2) | instskip(NEXT) | instid1(VALU_DEP_2)
	v_add_f64_e32 v[28:29], v[6:7], v[10:11]
	v_add_f64_e32 v[30:31], v[8:9], v[12:13]
	v_mul_f64_e32 v[6:7], s[38:39], v[148:149]
	global_store_b128 v[4:5], v[28:31], off offset:512
	global_load_b128 v[28:31], v[2:3], off offset:768
	v_mul_f64_e32 v[2:3], s[40:41], v[148:149]
	s_wait_loadcnt 0x1
	v_fma_f64 v[6:7], s[40:41], v[18:19], v[6:7]
	s_delay_alu instid0(VALU_DEP_2) | instskip(SKIP_3) | instid1(VALU_DEP_2)
	v_fma_f64 v[2:3], s[38:39], v[18:19], -v[2:3]
	s_wait_loadcnt 0x0
	v_mul_f64_e32 v[8:9], s[8:9], v[30:31]
	v_mul_f64_e32 v[10:11], s[6:7], v[30:31]
	v_fma_f64 v[8:9], s[6:7], v[28:29], -v[8:9]
	s_delay_alu instid0(VALU_DEP_2) | instskip(NEXT) | instid1(VALU_DEP_2)
	v_fma_f64 v[10:11], s[8:9], v[28:29], v[10:11]
	v_add_f64_e32 v[24:25], v[2:3], v[8:9]
	s_delay_alu instid0(VALU_DEP_2) | instskip(SKIP_4) | instid1(VALU_DEP_3)
	v_add_f64_e32 v[26:27], v[6:7], v[10:11]
	v_add_co_u32 v2, vcc_lo, v14, s22
	s_wait_alu 0xfffd
	v_add_co_ci_u32_e64 v3, null, s23, v15, vcc_lo
	v_mul_f64_e32 v[6:7], s[38:39], v[146:147]
	v_add_co_u32 v2, vcc_lo, v2, v0
	s_wait_alu 0xfffd
	s_delay_alu instid0(VALU_DEP_3) | instskip(SKIP_4) | instid1(VALU_DEP_2)
	v_add_co_ci_u32_e64 v3, null, v3, v1, vcc_lo
	global_store_b128 v[4:5], v[24:27], off offset:768
	global_load_b128 v[24:27], v[2:3], off
	v_mul_f64_e32 v[4:5], s[40:41], v[146:147]
	v_fma_f64 v[6:7], s[40:41], v[178:179], v[6:7]
	v_fma_f64 v[4:5], s[38:39], v[178:179], -v[4:5]
	s_wait_loadcnt 0x0
	v_mul_f64_e32 v[8:9], s[8:9], v[26:27]
	v_mul_f64_e32 v[10:11], s[6:7], v[26:27]
	s_delay_alu instid0(VALU_DEP_2) | instskip(NEXT) | instid1(VALU_DEP_2)
	v_fma_f64 v[8:9], s[6:7], v[24:25], -v[8:9]
	v_fma_f64 v[10:11], s[8:9], v[24:25], v[10:11]
	s_delay_alu instid0(VALU_DEP_2) | instskip(NEXT) | instid1(VALU_DEP_2)
	v_add_f64_e32 v[20:21], v[4:5], v[8:9]
	v_add_f64_e32 v[22:23], v[6:7], v[10:11]
	v_add_co_u32 v4, vcc_lo, v16, s24
	s_wait_alu 0xfffd
	v_add_co_ci_u32_e64 v5, null, s25, v17, vcc_lo
	v_mul_f64_e32 v[6:7], s[38:39], v[206:207]
	s_delay_alu instid0(VALU_DEP_3) | instskip(SKIP_1) | instid1(VALU_DEP_3)
	v_add_co_u32 v0, vcc_lo, v4, v0
	s_wait_alu 0xfffd
	v_add_co_ci_u32_e64 v1, null, v5, v1, vcc_lo
	v_mul_f64_e32 v[4:5], s[40:41], v[206:207]
	s_delay_alu instid0(VALU_DEP_3) | instskip(SKIP_1) | instid1(VALU_DEP_3)
	v_add_co_u32 v74, vcc_lo, 0x300, v0
	s_wait_alu 0xfffd
	v_add_co_ci_u32_e64 v75, null, 0, v1, vcc_lo
	global_store_b128 v[0:1], v[20:23], off
	global_load_b128 v[20:23], v[2:3], off offset:256
	v_fma_f64 v[6:7], s[40:41], v[254:255], v[6:7]
	v_fma_f64 v[4:5], s[38:39], v[254:255], -v[4:5]
	s_wait_loadcnt 0x0
	v_mul_f64_e32 v[8:9], s[8:9], v[22:23]
	v_mul_f64_e32 v[10:11], s[6:7], v[22:23]
	s_delay_alu instid0(VALU_DEP_2) | instskip(NEXT) | instid1(VALU_DEP_2)
	v_fma_f64 v[8:9], s[6:7], v[20:21], -v[8:9]
	v_fma_f64 v[10:11], s[8:9], v[20:21], v[10:11]
	s_delay_alu instid0(VALU_DEP_2) | instskip(NEXT) | instid1(VALU_DEP_2)
	v_add_f64_e32 v[16:17], v[4:5], v[8:9]
	v_add_f64_e32 v[18:19], v[6:7], v[10:11]
	v_mul_f64_e32 v[4:5], s[40:41], v[140:141]
	v_mul_f64_e32 v[6:7], s[38:39], v[140:141]
	global_store_b128 v[0:1], v[16:19], off offset:256
	global_load_b128 v[16:19], v[2:3], off offset:512
	v_fma_f64 v[4:5], s[38:39], v[144:145], -v[4:5]
	v_fma_f64 v[6:7], s[40:41], v[144:145], v[6:7]
	s_wait_loadcnt 0x0
	v_mul_f64_e32 v[8:9], s[8:9], v[18:19]
	v_mul_f64_e32 v[10:11], s[6:7], v[18:19]
	s_delay_alu instid0(VALU_DEP_2) | instskip(NEXT) | instid1(VALU_DEP_2)
	v_fma_f64 v[8:9], s[6:7], v[16:17], -v[8:9]
	v_fma_f64 v[10:11], s[8:9], v[16:17], v[10:11]
	s_delay_alu instid0(VALU_DEP_2) | instskip(NEXT) | instid1(VALU_DEP_2)
	v_add_f64_e32 v[12:13], v[4:5], v[8:9]
	v_add_f64_e32 v[14:15], v[6:7], v[10:11]
	v_mul_f64_e32 v[4:5], s[38:39], v[138:139]
	global_store_b128 v[0:1], v[12:15], off offset:512
	global_load_b128 v[12:15], v[2:3], off offset:768
	v_mul_f64_e32 v[2:3], s[40:41], v[138:139]
	v_fma_f64 v[4:5], s[40:41], v[136:137], v[4:5]
	s_delay_alu instid0(VALU_DEP_2) | instskip(SKIP_3) | instid1(VALU_DEP_2)
	v_fma_f64 v[2:3], s[38:39], v[136:137], -v[2:3]
	s_wait_loadcnt 0x0
	v_mul_f64_e32 v[6:7], s[8:9], v[14:15]
	v_mul_f64_e32 v[8:9], s[6:7], v[14:15]
	v_fma_f64 v[6:7], s[6:7], v[12:13], -v[6:7]
	s_delay_alu instid0(VALU_DEP_2) | instskip(NEXT) | instid1(VALU_DEP_2)
	v_fma_f64 v[8:9], s[8:9], v[12:13], v[8:9]
	v_add_f64_e32 v[2:3], v[2:3], v[6:7]
	s_delay_alu instid0(VALU_DEP_2)
	v_add_f64_e32 v[72:73], v[4:5], v[8:9]
	global_store_b64 v[0:1], v[2:3], off offset:768
	s_branch .LBB125_2
.LBB125_11:
	s_nop 0
	s_sendmsg sendmsg(MSG_DEALLOC_VGPRS)
	s_endpgm
	.section	.rodata,"a",@progbits
	.p2align	6, 0x0
	.amdhsa_kernel _ZN12_GLOBAL__N_127rocblas_gemm_batched_kernelI19rocblas_complex_numIdELi16ELi16ELi64ELi64ELi4ELi64ELi4ELi4ELi64ELc78ELc67EKS2_S3_S2_EEvlllT_PT11_llS6_llS4_PT12_llPT13_lli
		.amdhsa_group_segment_fixed_size 8192
		.amdhsa_private_segment_fixed_size 380
		.amdhsa_kernarg_size 156
		.amdhsa_user_sgpr_count 2
		.amdhsa_user_sgpr_dispatch_ptr 0
		.amdhsa_user_sgpr_queue_ptr 0
		.amdhsa_user_sgpr_kernarg_segment_ptr 1
		.amdhsa_user_sgpr_dispatch_id 0
		.amdhsa_user_sgpr_private_segment_size 0
		.amdhsa_wavefront_size32 1
		.amdhsa_uses_dynamic_stack 0
		.amdhsa_enable_private_segment 1
		.amdhsa_system_sgpr_workgroup_id_x 1
		.amdhsa_system_sgpr_workgroup_id_y 1
		.amdhsa_system_sgpr_workgroup_id_z 1
		.amdhsa_system_sgpr_workgroup_info 0
		.amdhsa_system_vgpr_workitem_id 1
		.amdhsa_next_free_vgpr 256
		.amdhsa_next_free_sgpr 52
		.amdhsa_reserve_vcc 1
		.amdhsa_float_round_mode_32 0
		.amdhsa_float_round_mode_16_64 0
		.amdhsa_float_denorm_mode_32 3
		.amdhsa_float_denorm_mode_16_64 3
		.amdhsa_fp16_overflow 0
		.amdhsa_workgroup_processor_mode 1
		.amdhsa_memory_ordered 1
		.amdhsa_forward_progress 1
		.amdhsa_inst_pref_size 67
		.amdhsa_round_robin_scheduling 0
		.amdhsa_exception_fp_ieee_invalid_op 0
		.amdhsa_exception_fp_denorm_src 0
		.amdhsa_exception_fp_ieee_div_zero 0
		.amdhsa_exception_fp_ieee_overflow 0
		.amdhsa_exception_fp_ieee_underflow 0
		.amdhsa_exception_fp_ieee_inexact 0
		.amdhsa_exception_int_div_zero 0
	.end_amdhsa_kernel
	.section	.text._ZN12_GLOBAL__N_127rocblas_gemm_batched_kernelI19rocblas_complex_numIdELi16ELi16ELi64ELi64ELi4ELi64ELi4ELi4ELi64ELc78ELc67EKS2_S3_S2_EEvlllT_PT11_llS6_llS4_PT12_llPT13_lli,"axG",@progbits,_ZN12_GLOBAL__N_127rocblas_gemm_batched_kernelI19rocblas_complex_numIdELi16ELi16ELi64ELi64ELi4ELi64ELi4ELi4ELi64ELc78ELc67EKS2_S3_S2_EEvlllT_PT11_llS6_llS4_PT12_llPT13_lli,comdat
.Lfunc_end125:
	.size	_ZN12_GLOBAL__N_127rocblas_gemm_batched_kernelI19rocblas_complex_numIdELi16ELi16ELi64ELi64ELi4ELi64ELi4ELi4ELi64ELc78ELc67EKS2_S3_S2_EEvlllT_PT11_llS6_llS4_PT12_llPT13_lli, .Lfunc_end125-_ZN12_GLOBAL__N_127rocblas_gemm_batched_kernelI19rocblas_complex_numIdELi16ELi16ELi64ELi64ELi4ELi64ELi4ELi4ELi64ELc78ELc67EKS2_S3_S2_EEvlllT_PT11_llS6_llS4_PT12_llPT13_lli
                                        ; -- End function
	.set _ZN12_GLOBAL__N_127rocblas_gemm_batched_kernelI19rocblas_complex_numIdELi16ELi16ELi64ELi64ELi4ELi64ELi4ELi4ELi64ELc78ELc67EKS2_S3_S2_EEvlllT_PT11_llS6_llS4_PT12_llPT13_lli.num_vgpr, 256
	.set _ZN12_GLOBAL__N_127rocblas_gemm_batched_kernelI19rocblas_complex_numIdELi16ELi16ELi64ELi64ELi4ELi64ELi4ELi4ELi64ELc78ELc67EKS2_S3_S2_EEvlllT_PT11_llS6_llS4_PT12_llPT13_lli.num_agpr, 0
	.set _ZN12_GLOBAL__N_127rocblas_gemm_batched_kernelI19rocblas_complex_numIdELi16ELi16ELi64ELi64ELi4ELi64ELi4ELi4ELi64ELc78ELc67EKS2_S3_S2_EEvlllT_PT11_llS6_llS4_PT12_llPT13_lli.numbered_sgpr, 52
	.set _ZN12_GLOBAL__N_127rocblas_gemm_batched_kernelI19rocblas_complex_numIdELi16ELi16ELi64ELi64ELi4ELi64ELi4ELi4ELi64ELc78ELc67EKS2_S3_S2_EEvlllT_PT11_llS6_llS4_PT12_llPT13_lli.num_named_barrier, 0
	.set _ZN12_GLOBAL__N_127rocblas_gemm_batched_kernelI19rocblas_complex_numIdELi16ELi16ELi64ELi64ELi4ELi64ELi4ELi4ELi64ELc78ELc67EKS2_S3_S2_EEvlllT_PT11_llS6_llS4_PT12_llPT13_lli.private_seg_size, 380
	.set _ZN12_GLOBAL__N_127rocblas_gemm_batched_kernelI19rocblas_complex_numIdELi16ELi16ELi64ELi64ELi4ELi64ELi4ELi4ELi64ELc78ELc67EKS2_S3_S2_EEvlllT_PT11_llS6_llS4_PT12_llPT13_lli.uses_vcc, 1
	.set _ZN12_GLOBAL__N_127rocblas_gemm_batched_kernelI19rocblas_complex_numIdELi16ELi16ELi64ELi64ELi4ELi64ELi4ELi4ELi64ELc78ELc67EKS2_S3_S2_EEvlllT_PT11_llS6_llS4_PT12_llPT13_lli.uses_flat_scratch, 1
	.set _ZN12_GLOBAL__N_127rocblas_gemm_batched_kernelI19rocblas_complex_numIdELi16ELi16ELi64ELi64ELi4ELi64ELi4ELi4ELi64ELc78ELc67EKS2_S3_S2_EEvlllT_PT11_llS6_llS4_PT12_llPT13_lli.has_dyn_sized_stack, 0
	.set _ZN12_GLOBAL__N_127rocblas_gemm_batched_kernelI19rocblas_complex_numIdELi16ELi16ELi64ELi64ELi4ELi64ELi4ELi4ELi64ELc78ELc67EKS2_S3_S2_EEvlllT_PT11_llS6_llS4_PT12_llPT13_lli.has_recursion, 0
	.set _ZN12_GLOBAL__N_127rocblas_gemm_batched_kernelI19rocblas_complex_numIdELi16ELi16ELi64ELi64ELi4ELi64ELi4ELi4ELi64ELc78ELc67EKS2_S3_S2_EEvlllT_PT11_llS6_llS4_PT12_llPT13_lli.has_indirect_call, 0
	.section	.AMDGPU.csdata,"",@progbits
; Kernel info:
; codeLenInByte = 8552
; TotalNumSgprs: 54
; NumVgprs: 256
; ScratchSize: 380
; MemoryBound: 0
; FloatMode: 240
; IeeeMode: 1
; LDSByteSize: 8192 bytes/workgroup (compile time only)
; SGPRBlocks: 0
; VGPRBlocks: 31
; NumSGPRsForWavesPerEU: 54
; NumVGPRsForWavesPerEU: 256
; Occupancy: 5
; WaveLimiterHint : 1
; COMPUTE_PGM_RSRC2:SCRATCH_EN: 1
; COMPUTE_PGM_RSRC2:USER_SGPR: 2
; COMPUTE_PGM_RSRC2:TRAP_HANDLER: 0
; COMPUTE_PGM_RSRC2:TGID_X_EN: 1
; COMPUTE_PGM_RSRC2:TGID_Y_EN: 1
; COMPUTE_PGM_RSRC2:TGID_Z_EN: 1
; COMPUTE_PGM_RSRC2:TIDIG_COMP_CNT: 1
	.section	.text._ZN12_GLOBAL__N_127rocblas_gemm_batched_kernelI19rocblas_complex_numIdELi16ELi16ELi64ELi64ELi4ELi64ELi4ELi4ELi64ELc84ELc67EKS2_S3_S2_EEvlllT_PT11_llS6_llS4_PT12_llPT13_lli,"axG",@progbits,_ZN12_GLOBAL__N_127rocblas_gemm_batched_kernelI19rocblas_complex_numIdELi16ELi16ELi64ELi64ELi4ELi64ELi4ELi4ELi64ELc84ELc67EKS2_S3_S2_EEvlllT_PT11_llS6_llS4_PT12_llPT13_lli,comdat
	.globl	_ZN12_GLOBAL__N_127rocblas_gemm_batched_kernelI19rocblas_complex_numIdELi16ELi16ELi64ELi64ELi4ELi64ELi4ELi4ELi64ELc84ELc67EKS2_S3_S2_EEvlllT_PT11_llS6_llS4_PT12_llPT13_lli ; -- Begin function _ZN12_GLOBAL__N_127rocblas_gemm_batched_kernelI19rocblas_complex_numIdELi16ELi16ELi64ELi64ELi4ELi64ELi4ELi4ELi64ELc84ELc67EKS2_S3_S2_EEvlllT_PT11_llS6_llS4_PT12_llPT13_lli
	.p2align	8
	.type	_ZN12_GLOBAL__N_127rocblas_gemm_batched_kernelI19rocblas_complex_numIdELi16ELi16ELi64ELi64ELi4ELi64ELi4ELi4ELi64ELc84ELc67EKS2_S3_S2_EEvlllT_PT11_llS6_llS4_PT12_llPT13_lli,@function
_ZN12_GLOBAL__N_127rocblas_gemm_batched_kernelI19rocblas_complex_numIdELi16ELi16ELi64ELi64ELi4ELi64ELi4ELi4ELi64ELc84ELc67EKS2_S3_S2_EEvlllT_PT11_llS6_llS4_PT12_llPT13_lli: ; @_ZN12_GLOBAL__N_127rocblas_gemm_batched_kernelI19rocblas_complex_numIdELi16ELi16ELi64ELi64ELi4ELi64ELi4ELi4ELi64ELc84ELc67EKS2_S3_S2_EEvlllT_PT11_llS6_llS4_PT12_llPT13_lli
; %bb.0:
	s_load_b32 s26, s[0:1], 0x98
	s_lshr_b32 s2, ttmp7, 16
	s_wait_kmcnt 0x0
	s_cmp_ge_i32 s2, s26
	s_cbranch_scc1 .LBB126_11
; %bb.1:
	s_clause 0x2
	s_load_b512 s[4:19], s[0:1], 0x50
	s_load_b512 s[36:51], s[0:1], 0x10
	s_load_b64 s[20:21], s[0:1], 0x90
	v_and_b32_e32 v13, 0x3ff, v0
	v_bfe_u32 v2, v0, 10, 10
	s_mov_b32 s22, ttmp9
	s_ashr_i32 s23, ttmp9, 31
	s_lshl_b32 s24, ttmp7, 6
	s_lshl_b64 s[0:1], s[22:23], 6
	v_lshl_add_u32 v3, v2, 4, v13
	s_and_b32 s22, s24, 0x3fffc0
	v_lshl_add_u32 v205, v2, 6, 0x1000
	v_add_nc_u32_e32 v12, s22, v2
	s_mov_b32 s3, 0
	v_lshrrev_b32_e32 v9, 2, v3
	v_and_b32_e32 v11, 63, v3
	v_lshrrev_b32_e32 v14, 6, v3
	s_delay_alu instid0(VALU_DEP_2) | instskip(SKIP_4) | instid1(VALU_DEP_1)
	v_or_b32_e32 v3, s0, v11
	s_wait_kmcnt 0x0
	v_mad_co_u64_u32 v[17:18], null, v12, s18, 0
	v_and_b32_e32 v10, 3, v0
	v_add_co_u32 v0, s25, v9, s22
	v_add_co_ci_u32_e64 v1, null, 0, 0, s25
	v_mad_co_u64_u32 v[6:7], null, v12, s12, 0
	v_mul_lo_u32 v16, s45, v3
	s_delay_alu instid0(VALU_DEP_3)
	v_mad_co_u64_u32 v[4:5], null, s50, v10, v[0:1]
	v_dual_mov_b32 v1, v18 :: v_dual_lshlrev_b32 v8, 4, v10
	v_lshlrev_b32_e32 v0, 4, v11
	v_cmp_eq_f64_e64 s23, s[6:7], 0
	v_cmp_eq_f64_e64 s24, s[8:9], 0
	s_lshl_b64 s[4:5], s[4:5], 4
	v_lshl_or_b32 v15, v9, 6, v8
	v_mov_b32_e32 v2, v5
	v_mad_co_u64_u32 v[8:9], null, s44, v3, 0
	v_mov_b32_e32 v3, v7
	v_lshl_or_b32 v134, v14, 10, v0
	v_lshlrev_b32_e32 v0, 4, v14
	v_add_nc_u32_e32 v135, 0x1000, v15
	s_delay_alu instid0(VALU_DEP_4) | instskip(NEXT) | instid1(VALU_DEP_1)
	v_mad_co_u64_u32 v[10:11], null, s51, v10, v[2:3]
	v_mov_b32_e32 v5, v10
	v_mad_co_u64_u32 v[1:2], null, v12, s19, v[1:2]
	v_mad_co_u64_u32 v[11:12], null, v12, s13, v[3:4]
	v_lshlrev_b32_e32 v204, 4, v13
	v_add_co_u32 v2, s0, s0, v13
	s_wait_alu 0xf1ff
	v_add_co_ci_u32_e64 v3, null, s1, 0, s0
	s_mul_i32 s0, s44, s1
	v_mov_b32_e32 v7, v11
	s_wait_alu 0xfffe
	v_add3_u32 v9, v9, s0, v16
	v_mov_b32_e32 v18, v1
	v_cmp_gt_i64_e64 s0, s[36:37], 0
	v_lshlrev_b64_e32 v[6:7], 4, v[6:7]
	s_delay_alu instid0(VALU_DEP_4)
	v_lshlrev_b64_e32 v[8:9], 4, v[8:9]
	scratch_store_b64 off, v[17:18], off offset:336 ; 8-byte Folded Spill
	s_and_b32 s27, s23, s24
	s_lshl_b64 s[22:23], s[18:19], 4
	s_lshl_b64 s[18:19], s[12:13], 4
	v_add_co_u32 v1, vcc_lo, s10, v6
	s_lshl_b64 s[12:13], s[50:51], 6
	s_wait_alu 0xfffe
	s_lshl_b64 s[18:19], s[18:19], 4
	s_lshl_b64 s[22:23], s[22:23], 4
	scratch_store_b32 off, v1, off offset:368 ; 4-byte Folded Spill
	v_add_co_ci_u32_e64 v1, null, s11, v7, vcc_lo
	v_add_co_u32 v0, vcc_lo, v8, v0
	v_lshlrev_b64_e32 v[6:7], 4, v[4:5]
	scratch_store_b32 off, v1, off offset:372 ; 4-byte Folded Spill
	s_wait_alu 0xfffd
	v_add_co_ci_u32_e64 v1, null, 0, v9, vcc_lo
	v_add_co_u32 v0, vcc_lo, s42, v0
	s_lshl_b64 s[10:11], s[46:47], 4
	s_wait_alu 0xfffd
	v_add_co_ci_u32_e64 v1, null, s43, v1, vcc_lo
	scratch_store_b64 off, v[2:3], off offset:344 ; 8-byte Folded Spill
	v_cndmask_b32_e64 v2, 0, 1, s0
	scratch_store_b64 off, v[0:1], off offset:352 ; 8-byte Folded Spill
	v_add_co_u32 v0, vcc_lo, s48, v6
	s_wait_alu 0xfffd
	v_add_co_ci_u32_e64 v1, null, s49, v7, vcc_lo
	v_cmp_ne_u32_e64 s0, 1, v2
	s_delay_alu instid0(VALU_DEP_3) | instskip(SKIP_1) | instid1(VALU_DEP_3)
	v_add_co_u32 v0, vcc_lo, v0, 8
	s_wait_alu 0xfffd
	v_add_co_ci_u32_e64 v1, null, 0, v1, vcc_lo
	s_clause 0x2
	scratch_store_b64 off, v[0:1], off offset:360
	scratch_store_b32 off, v134, off offset:328
	scratch_store_b32 off, v135, off offset:332
	s_branch .LBB126_3
.LBB126_2:                              ;   in Loop: Header=BB126_3 Depth=1
	s_add_co_i32 s2, s2, 0x10000
	global_store_b64 v[74:75], v[72:73], off offset:8
	s_wait_alu 0xfffe
	s_cmp_lt_i32 s2, s26
	s_cbranch_scc0 .LBB126_11
.LBB126_3:                              ; =>This Loop Header: Depth=1
                                        ;     Child Loop BB126_5 Depth 2
	s_and_b32 vcc_lo, exec_lo, s0
	s_wait_alu 0xfffe
	s_cbranch_vccnz .LBB126_6
; %bb.4:                                ;   in Loop: Header=BB126_3 Depth=1
	scratch_load_b64 v[0:1], off, off offset:352 ; 8-byte Folded Reload
	v_mov_b32_e32 v144, 0
	v_mov_b32_e32 v30, 0
	v_dual_mov_b32 v31, 0 :: v_dual_mov_b32 v26, 0
	v_mov_b32_e32 v138, 0
	v_dual_mov_b32 v139, 0 :: v_dual_mov_b32 v140, 0
	v_mov_b32_e32 v206, 0
	v_mov_b32_e32 v254, 0
	v_dual_mov_b32 v72, 0 :: v_dual_mov_b32 v141, 0
	v_mov_b32_e32 v207, 0
	v_mov_b32_e32 v255, 0
	;; [unrolled: 1-line block ×4, first 2 shown]
	s_mov_b64 s[24:25], 0
	v_mov_b32_e32 v22, 0
	v_dual_mov_b32 v23, 0 :: v_dual_mov_b32 v18, 0
	v_dual_mov_b32 v19, 0 :: v_dual_mov_b32 v16, 0
	;; [unrolled: 1-line block ×17, first 2 shown]
	v_mov_b32_e32 v181, 0
	s_wait_loadcnt 0x0
	v_mad_co_u64_u32 v[24:25], null, s10, s2, v[0:1]
	scratch_load_b64 v[0:1], off, off offset:360 ; 8-byte Folded Reload
	v_dual_mov_b32 v145, 0 :: v_dual_mov_b32 v20, v25
	s_delay_alu instid0(VALU_DEP_1) | instskip(SKIP_2) | instid1(VALU_DEP_3)
	v_mad_co_u64_u32 v[28:29], null, s11, s2, v[20:21]
	v_mov_b32_e32 v20, 0
	v_mov_b32_e32 v21, 0
	;; [unrolled: 1-line block ×3, first 2 shown]
	s_wait_loadcnt 0x0
	v_mad_co_u64_u32 v[32:33], null, s4, s2, v[0:1]
	v_mov_b32_e32 v0, 0
	v_dual_mov_b32 v1, 0 :: v_dual_mov_b32 v178, 0
	v_mov_b32_e32 v179, 0
	scratch_store_b64 off, v[0:1], off      ; 8-byte Folded Spill
	v_mov_b32_e32 v0, 0
	v_mov_b32_e32 v1, 0
	;; [unrolled: 1-line block ×3, first 2 shown]
	scratch_store_b64 off, v[0:1], off offset:8 ; 8-byte Folded Spill
	v_mov_b32_e32 v0, 0
	v_mad_co_u64_u32 v[75:76], null, s5, s2, v[29:30]
	v_mov_b32_e32 v1, 0
	s_delay_alu instid0(VALU_DEP_2)
	v_dual_mov_b32 v33, v75 :: v_dual_mov_b32 v74, 0
	v_mov_b32_e32 v75, 0
.LBB126_5:                              ;   Parent Loop BB126_3 Depth=1
                                        ; =>  This Inner Loop Header: Depth=2
	s_clause 0x4
	scratch_store_b64 off, v[144:145], off offset:200
	scratch_store_b64 off, v[140:141], off offset:40
	;; [unrolled: 1-line block ×5, first 2 shown]
	global_load_b128 v[76:79], v[32:33], off offset:-8
	global_load_b128 v[80:83], v[24:25], off
	v_dual_mov_b32 v36, v172 :: v_dual_mov_b32 v37, v173
	v_dual_mov_b32 v28, v180 :: v_dual_mov_b32 v29, v181
	;; [unrolled: 1-line block ×3, first 2 shown]
	s_wait_alu 0xfffe
	s_add_nc_u64 s[24:25], s[24:25], 4
	s_wait_loadcnt 0x1
	v_xor_b32_e32 v79, 0x80000000, v79
	s_wait_loadcnt 0x0
	ds_store_2addr_b64 v134, v[80:81], v[82:83] offset1:1
	ds_store_b128 v135, v[76:79]
	s_wait_storecnt_dscnt 0x0
	s_barrier_signal -1
	s_barrier_wait -1
	global_inv scope:SCOPE_SE
	ds_load_b128 v[90:93], v205
	ds_load_b128 v[126:129], v204
	ds_load_b128 v[130:133], v204 offset:256
	ds_load_b128 v[154:157], v205 offset:16
	s_wait_dscnt 0x2
	v_mul_f64_e32 v[76:77], v[92:93], v[128:129]
	v_mul_f64_e32 v[78:79], v[90:91], v[128:129]
	s_wait_dscnt 0x1
	v_mul_f64_e32 v[80:81], v[92:93], v[132:133]
	v_mul_f64_e32 v[82:83], v[90:91], v[132:133]
	s_delay_alu instid0(VALU_DEP_4)
	v_fma_f64 v[24:25], v[90:91], v[126:127], -v[76:77]
	scratch_store_b64 off, v[24:25], off offset:48 ; 8-byte Folded Spill
	v_fma_f64 v[24:25], v[92:93], v[126:127], v[78:79]
	scratch_store_b64 off, v[24:25], off offset:56 ; 8-byte Folded Spill
	v_fma_f64 v[24:25], v[90:91], v[130:131], -v[80:81]
	scratch_store_b64 off, v[24:25], off offset:64 ; 8-byte Folded Spill
	v_fma_f64 v[24:25], v[92:93], v[130:131], v[82:83]
	scratch_store_b64 off, v[24:25], off offset:72 ; 8-byte Folded Spill
	ds_load_b128 v[134:137], v204 offset:512
	ds_load_b128 v[138:141], v204 offset:768
	;; [unrolled: 1-line block ×4, first 2 shown]
	s_wait_dscnt 0x3
	v_mul_f64_e32 v[84:85], v[92:93], v[136:137]
	v_mul_f64_e32 v[86:87], v[90:91], v[136:137]
	s_wait_dscnt 0x2
	v_mul_f64_e32 v[88:89], v[92:93], v[140:141]
	s_wait_dscnt 0x1
	v_mul_f64_e32 v[94:95], v[106:107], v[128:129]
	v_mul_f64_e32 v[96:97], v[108:109], v[132:133]
	;; [unrolled: 1-line block ×6, first 2 shown]
	v_fma_f64 v[24:25], v[90:91], v[134:135], -v[84:85]
	scratch_store_b64 off, v[24:25], off offset:80 ; 8-byte Folded Spill
	v_fma_f64 v[24:25], v[92:93], v[134:135], v[86:87]
	scratch_store_b64 off, v[24:25], off offset:88 ; 8-byte Folded Spill
	v_fma_f64 v[24:25], v[90:91], v[138:139], -v[88:89]
	v_mul_f64_e32 v[90:91], v[90:91], v[140:141]
	scratch_store_b64 off, v[24:25], off offset:96 ; 8-byte Folded Spill
	v_fma_f64 v[24:25], v[92:93], v[138:139], v[90:91]
	v_mul_f64_e32 v[92:93], v[108:109], v[128:129]
	scratch_store_b64 off, v[24:25], off offset:104 ; 8-byte Folded Spill
	v_fma_f64 v[24:25], v[106:107], v[126:127], -v[92:93]
	scratch_store_b64 off, v[24:25], off offset:112 ; 8-byte Folded Spill
	v_fma_f64 v[24:25], v[108:109], v[126:127], v[94:95]
	scratch_store_b64 off, v[24:25], off offset:120 ; 8-byte Folded Spill
	v_fma_f64 v[24:25], v[106:107], v[130:131], -v[96:97]
	scratch_store_b64 off, v[24:25], off offset:128 ; 8-byte Folded Spill
	v_fma_f64 v[24:25], v[108:109], v[130:131], v[98:99]
	scratch_store_b64 off, v[24:25], off offset:136 ; 8-byte Folded Spill
	v_fma_f64 v[24:25], v[106:107], v[134:135], -v[100:101]
	scratch_store_b64 off, v[24:25], off offset:144 ; 8-byte Folded Spill
	v_fma_f64 v[24:25], v[108:109], v[134:135], v[102:103]
	scratch_store_b64 off, v[24:25], off offset:152 ; 8-byte Folded Spill
	v_fma_f64 v[24:25], v[106:107], v[138:139], -v[104:105]
	v_mul_f64_e32 v[106:107], v[106:107], v[140:141]
	scratch_store_b64 off, v[24:25], off offset:160 ; 8-byte Folded Spill
	v_fma_f64 v[24:25], v[108:109], v[138:139], v[106:107]
	scratch_store_b64 off, v[24:25], off offset:168 ; 8-byte Folded Spill
	ds_load_b128 v[122:125], v205 offset:2048
	ds_load_b128 v[186:189], v205 offset:2064
	s_wait_dscnt 0x1
	v_mul_f64_e32 v[108:109], v[124:125], v[128:129]
	v_mul_f64_e32 v[110:111], v[122:123], v[128:129]
	;; [unrolled: 1-line block ×7, first 2 shown]
	v_fma_f64 v[24:25], v[122:123], v[126:127], -v[108:109]
	scratch_store_b64 off, v[24:25], off offset:176 ; 8-byte Folded Spill
	v_fma_f64 v[24:25], v[124:125], v[126:127], v[110:111]
	scratch_store_b64 off, v[24:25], off offset:184 ; 8-byte Folded Spill
	v_fma_f64 v[24:25], v[122:123], v[130:131], -v[112:113]
	scratch_store_b64 off, v[24:25], off offset:192 ; 8-byte Folded Spill
	v_fma_f64 v[24:25], v[124:125], v[130:131], v[114:115]
	scratch_store_b64 off, v[24:25], off offset:208 ; 8-byte Folded Spill
	;; [unrolled: 4-line block ×3, first 2 shown]
	v_fma_f64 v[24:25], v[122:123], v[138:139], -v[120:121]
	v_mul_f64_e32 v[122:123], v[122:123], v[140:141]
	scratch_store_b64 off, v[24:25], off offset:232 ; 8-byte Folded Spill
	v_fma_f64 v[24:25], v[124:125], v[138:139], v[122:123]
	scratch_store_b64 off, v[24:25], off offset:240 ; 8-byte Folded Spill
	ds_load_b128 v[142:145], v205 offset:3072
	ds_load_b128 v[210:213], v205 offset:3088
	s_wait_dscnt 0x1
	v_mul_f64_e32 v[124:125], v[144:145], v[128:129]
	v_mul_f64_e32 v[128:129], v[142:143], v[128:129]
	s_delay_alu instid0(VALU_DEP_2)
	v_fma_f64 v[24:25], v[142:143], v[126:127], -v[124:125]
	scratch_store_b64 off, v[24:25], off offset:248 ; 8-byte Folded Spill
	v_fma_f64 v[24:25], v[144:145], v[126:127], v[128:129]
	v_mul_f64_e32 v[128:129], v[144:145], v[132:133]
	v_mul_f64_e32 v[132:133], v[142:143], v[132:133]
	scratch_store_b64 off, v[24:25], off offset:256 ; 8-byte Folded Spill
	v_fma_f64 v[24:25], v[142:143], v[130:131], -v[128:129]
	scratch_store_b64 off, v[24:25], off offset:264 ; 8-byte Folded Spill
	v_fma_f64 v[24:25], v[144:145], v[130:131], v[132:133]
	v_mul_f64_e32 v[132:133], v[144:145], v[136:137]
	v_mul_f64_e32 v[136:137], v[142:143], v[136:137]
	scratch_store_b64 off, v[24:25], off offset:272 ; 8-byte Folded Spill
	;; [unrolled: 6-line block ×3, first 2 shown]
	v_fma_f64 v[24:25], v[142:143], v[138:139], -v[136:137]
	scratch_store_b64 off, v[24:25], off offset:296 ; 8-byte Folded Spill
	v_fma_f64 v[24:25], v[144:145], v[138:139], v[140:141]
	scratch_store_b64 off, v[24:25], off offset:304 ; 8-byte Folded Spill
	ds_load_b128 v[190:193], v204 offset:1024
	ds_load_b128 v[194:197], v204 offset:1280
	s_wait_dscnt 0x1
	v_mul_f64_e32 v[140:141], v[156:157], v[192:193]
	s_wait_dscnt 0x0
	v_mul_f64_e32 v[144:145], v[156:157], v[196:197]
	v_mul_f64_e32 v[142:143], v[154:155], v[192:193]
	;; [unrolled: 1-line block ×9, first 2 shown]
	v_fma_f64 v[24:25], v[154:155], v[190:191], -v[140:141]
	v_fma_f64 v[144:145], v[154:155], v[194:195], -v[144:145]
	v_fma_f64 v[142:143], v[156:157], v[190:191], v[142:143]
	v_fma_f64 v[146:147], v[156:157], v[194:195], v[146:147]
	v_fma_f64 v[160:161], v[170:171], v[194:195], -v[160:161]
	v_fma_f64 v[158:159], v[172:173], v[190:191], v[158:159]
	v_fma_f64 v[176:177], v[186:187], v[194:195], -v[176:177]
	v_fma_f64 v[174:175], v[188:189], v[190:191], v[174:175]
	v_fma_f64 v[178:179], v[188:189], v[194:195], v[178:179]
	scratch_store_b64 off, v[24:25], off offset:312 ; 8-byte Folded Spill
	ds_load_b128 v[198:201], v204 offset:1536
	ds_load_b128 v[214:217], v204 offset:1792
	s_wait_dscnt 0x1
	v_mul_f64_e32 v[148:149], v[156:157], v[200:201]
	s_wait_dscnt 0x0
	v_mul_f64_e32 v[152:153], v[156:157], v[216:217]
	v_mul_f64_e32 v[150:151], v[154:155], v[200:201]
	;; [unrolled: 1-line block ×8, first 2 shown]
	v_fma_f64 v[148:149], v[154:155], v[198:199], -v[148:149]
	v_fma_f64 v[152:153], v[154:155], v[214:215], -v[152:153]
	v_mul_f64_e32 v[154:155], v[154:155], v[216:217]
	v_fma_f64 v[150:151], v[156:157], v[198:199], v[150:151]
	v_fma_f64 v[164:165], v[170:171], v[198:199], -v[164:165]
	v_fma_f64 v[168:169], v[170:171], v[214:215], -v[168:169]
	v_fma_f64 v[166:167], v[172:173], v[198:199], v[166:167]
	v_fma_f64 v[180:181], v[186:187], v[198:199], -v[180:181]
	v_fma_f64 v[184:185], v[186:187], v[214:215], -v[184:185]
	v_fma_f64 v[202:203], v[212:213], v[214:215], v[202:203]
	v_fma_f64 v[154:155], v[156:157], v[214:215], v[154:155]
	v_mul_f64_e32 v[156:157], v[172:173], v[192:193]
	s_delay_alu instid0(VALU_DEP_1)
	v_fma_f64 v[24:25], v[170:171], v[190:191], -v[156:157]
	v_mul_f64_e32 v[170:171], v[170:171], v[216:217]
	v_fma_f64 v[156:157], v[172:173], v[194:195], v[162:163]
	scratch_store_b64 off, v[24:25], off offset:320 ; 8-byte Folded Spill
	v_fma_f64 v[170:171], v[172:173], v[214:215], v[170:171]
	v_mul_f64_e32 v[172:173], v[188:189], v[192:193]
	v_dual_mov_b32 v24, v182 :: v_dual_mov_b32 v25, v183
	v_mul_f64_e32 v[182:183], v[186:187], v[200:201]
	s_delay_alu instid0(VALU_DEP_3) | instskip(SKIP_1) | instid1(VALU_DEP_3)
	v_fma_f64 v[172:173], v[186:187], v[190:191], -v[172:173]
	v_mul_f64_e32 v[186:187], v[186:187], v[216:217]
	v_fma_f64 v[182:183], v[188:189], v[198:199], v[182:183]
	s_delay_alu instid0(VALU_DEP_2) | instskip(SKIP_2) | instid1(VALU_DEP_2)
	v_fma_f64 v[186:187], v[188:189], v[214:215], v[186:187]
	v_mul_f64_e32 v[188:189], v[212:213], v[192:193]
	v_mul_f64_e32 v[192:193], v[210:211], v[192:193]
	v_fma_f64 v[188:189], v[210:211], v[190:191], -v[188:189]
	s_delay_alu instid0(VALU_DEP_2) | instskip(SKIP_2) | instid1(VALU_DEP_2)
	v_fma_f64 v[190:191], v[212:213], v[190:191], v[192:193]
	v_mul_f64_e32 v[192:193], v[212:213], v[196:197]
	v_mul_f64_e32 v[196:197], v[210:211], v[196:197]
	v_fma_f64 v[192:193], v[210:211], v[194:195], -v[192:193]
	;; [unrolled: 5-line block ×3, first 2 shown]
	s_delay_alu instid0(VALU_DEP_2) | instskip(SKIP_1) | instid1(VALU_DEP_1)
	v_fma_f64 v[198:199], v[212:213], v[198:199], v[200:201]
	v_mul_f64_e32 v[200:201], v[212:213], v[216:217]
	v_fma_f64 v[200:201], v[210:211], v[214:215], -v[200:201]
	ds_load_b128 v[210:213], v205 offset:32
	ds_load_b128 v[214:217], v204 offset:2048
	;; [unrolled: 1-line block ×4, first 2 shown]
	s_wait_dscnt 0x2
	v_mul_f64_e32 v[226:227], v[212:213], v[216:217]
	s_delay_alu instid0(VALU_DEP_1) | instskip(SKIP_1) | instid1(VALU_DEP_1)
	v_fma_f64 v[136:137], v[210:211], v[214:215], -v[226:227]
	v_mul_f64_e32 v[226:227], v[210:211], v[216:217]
	v_fma_f64 v[134:135], v[212:213], v[214:215], v[226:227]
	s_wait_dscnt 0x1
	v_mul_f64_e32 v[226:227], v[212:213], v[220:221]
	s_delay_alu instid0(VALU_DEP_1) | instskip(SKIP_1) | instid1(VALU_DEP_1)
	v_fma_f64 v[132:133], v[210:211], v[218:219], -v[226:227]
	v_mul_f64_e32 v[226:227], v[210:211], v[220:221]
	v_fma_f64 v[130:131], v[212:213], v[218:219], v[226:227]
	ds_load_b128 v[226:229], v204 offset:2560
	ds_load_b128 v[230:233], v204 offset:2816
	s_wait_dscnt 0x1
	v_mul_f64_e32 v[234:235], v[212:213], v[228:229]
	s_delay_alu instid0(VALU_DEP_1) | instskip(SKIP_1) | instid1(VALU_DEP_1)
	v_fma_f64 v[128:129], v[210:211], v[226:227], -v[234:235]
	v_mul_f64_e32 v[234:235], v[210:211], v[228:229]
	v_fma_f64 v[126:127], v[212:213], v[226:227], v[234:235]
	s_wait_dscnt 0x0
	v_mul_f64_e32 v[234:235], v[212:213], v[232:233]
	s_delay_alu instid0(VALU_DEP_1) | instskip(SKIP_1) | instid1(VALU_DEP_1)
	v_fma_f64 v[124:125], v[210:211], v[230:231], -v[234:235]
	v_mul_f64_e32 v[210:211], v[210:211], v[232:233]
	v_fma_f64 v[122:123], v[212:213], v[230:231], v[210:211]
	ds_load_b128 v[210:213], v205 offset:1056
	ds_load_b128 v[234:237], v205 offset:1072
	s_wait_dscnt 0x1
	v_mul_f64_e32 v[238:239], v[212:213], v[216:217]
	s_delay_alu instid0(VALU_DEP_1) | instskip(SKIP_1) | instid1(VALU_DEP_1)
	v_fma_f64 v[162:163], v[210:211], v[214:215], -v[238:239]
	v_mul_f64_e32 v[238:239], v[210:211], v[216:217]
	v_fma_f64 v[120:121], v[212:213], v[214:215], v[238:239]
	v_mul_f64_e32 v[238:239], v[212:213], v[220:221]
	s_delay_alu instid0(VALU_DEP_1) | instskip(SKIP_1) | instid1(VALU_DEP_1)
	v_fma_f64 v[118:119], v[210:211], v[218:219], -v[238:239]
	v_mul_f64_e32 v[238:239], v[210:211], v[220:221]
	v_fma_f64 v[116:117], v[212:213], v[218:219], v[238:239]
	;; [unrolled: 5-line block ×4, first 2 shown]
	ds_load_b128 v[210:213], v205 offset:2080
	ds_load_b128 v[238:241], v205 offset:2096
	s_wait_dscnt 0x1
	v_mul_f64_e32 v[242:243], v[212:213], v[216:217]
	s_delay_alu instid0(VALU_DEP_1) | instskip(SKIP_1) | instid1(VALU_DEP_1)
	v_fma_f64 v[106:107], v[210:211], v[214:215], -v[242:243]
	v_mul_f64_e32 v[242:243], v[210:211], v[216:217]
	v_fma_f64 v[104:105], v[212:213], v[214:215], v[242:243]
	v_mul_f64_e32 v[242:243], v[212:213], v[220:221]
	s_delay_alu instid0(VALU_DEP_1) | instskip(SKIP_1) | instid1(VALU_DEP_1)
	v_fma_f64 v[102:103], v[210:211], v[218:219], -v[242:243]
	v_mul_f64_e32 v[242:243], v[210:211], v[220:221]
	v_fma_f64 v[100:101], v[212:213], v[218:219], v[242:243]
	v_mul_f64_e32 v[242:243], v[212:213], v[228:229]
	s_delay_alu instid0(VALU_DEP_1) | instskip(SKIP_1) | instid1(VALU_DEP_1)
	v_fma_f64 v[98:99], v[210:211], v[226:227], -v[242:243]
	v_mul_f64_e32 v[242:243], v[210:211], v[228:229]
	v_fma_f64 v[96:97], v[212:213], v[226:227], v[242:243]
	v_mul_f64_e32 v[242:243], v[212:213], v[232:233]
	s_delay_alu instid0(VALU_DEP_1) | instskip(SKIP_1) | instid1(VALU_DEP_1)
	v_fma_f64 v[94:95], v[210:211], v[230:231], -v[242:243]
	v_mul_f64_e32 v[210:211], v[210:211], v[232:233]
	v_fma_f64 v[92:93], v[212:213], v[230:231], v[210:211]
	ds_load_b128 v[210:213], v205 offset:3104
	ds_load_b128 v[242:245], v205 offset:3120
	s_wait_dscnt 0x1
	v_mul_f64_e32 v[34:35], v[212:213], v[216:217]
	v_mul_f64_e32 v[216:217], v[210:211], v[216:217]
	s_delay_alu instid0(VALU_DEP_2) | instskip(NEXT) | instid1(VALU_DEP_2)
	v_fma_f64 v[90:91], v[210:211], v[214:215], -v[34:35]
	v_fma_f64 v[88:89], v[212:213], v[214:215], v[216:217]
	v_mul_f64_e32 v[214:215], v[212:213], v[220:221]
	s_delay_alu instid0(VALU_DEP_1) | instskip(SKIP_1) | instid1(VALU_DEP_1)
	v_fma_f64 v[38:39], v[210:211], v[218:219], -v[214:215]
	v_mul_f64_e32 v[214:215], v[210:211], v[220:221]
	v_fma_f64 v[40:41], v[212:213], v[218:219], v[214:215]
	v_mul_f64_e32 v[214:215], v[212:213], v[228:229]
	s_delay_alu instid0(VALU_DEP_1) | instskip(SKIP_1) | instid1(VALU_DEP_1)
	v_fma_f64 v[42:43], v[210:211], v[226:227], -v[214:215]
	v_mul_f64_e32 v[214:215], v[210:211], v[228:229]
	;; [unrolled: 5-line block ×3, first 2 shown]
	v_fma_f64 v[230:231], v[212:213], v[230:231], v[210:211]
	ds_load_b128 v[210:213], v204 offset:3072
	ds_load_b128 v[214:217], v204 offset:3328
	s_wait_dscnt 0x1
	v_mul_f64_e32 v[218:219], v[224:225], v[212:213]
	s_wait_dscnt 0x0
	v_mul_f64_e32 v[62:63], v[236:237], v[216:217]
	v_mul_f64_e32 v[60:61], v[234:235], v[212:213]
	;; [unrolled: 1-line block ×6, first 2 shown]
	v_fma_f64 v[232:233], v[222:223], v[210:211], -v[218:219]
	v_mul_f64_e32 v[218:219], v[222:223], v[212:213]
	v_fma_f64 v[62:63], v[234:235], v[214:215], -v[62:63]
	v_fma_f64 v[60:61], v[236:237], v[210:211], v[60:61]
	v_fma_f64 v[64:65], v[236:237], v[214:215], v[64:65]
	v_fma_f64 v[78:79], v[238:239], v[214:215], -v[78:79]
	v_fma_f64 v[76:77], v[240:241], v[210:211], v[76:77]
	v_fma_f64 v[80:81], v[240:241], v[214:215], v[80:81]
	;; [unrolled: 1-line block ×3, first 2 shown]
	v_mul_f64_e32 v[218:219], v[224:225], v[216:217]
	s_delay_alu instid0(VALU_DEP_1) | instskip(SKIP_1) | instid1(VALU_DEP_1)
	v_fma_f64 v[50:51], v[222:223], v[214:215], -v[218:219]
	v_mul_f64_e32 v[218:219], v[222:223], v[216:217]
	v_fma_f64 v[52:53], v[224:225], v[214:215], v[218:219]
	ds_load_b128 v[218:221], v204 offset:3584
	ds_load_b128 v[226:229], v204 offset:3840
	scratch_load_b64 v[34:35], off, off offset:48 th:TH_LOAD_LU ; 8-byte Folded Reload
	s_wait_dscnt 0x1
	v_mul_f64_e32 v[54:55], v[224:225], v[220:221]
	s_wait_dscnt 0x0
	v_mul_f64_e32 v[58:59], v[224:225], v[228:229]
	v_mul_f64_e32 v[56:57], v[222:223], v[220:221]
	;; [unrolled: 1-line block ×8, first 2 shown]
	v_fma_f64 v[54:55], v[222:223], v[218:219], -v[54:55]
	v_fma_f64 v[58:59], v[222:223], v[226:227], -v[58:59]
	v_mul_f64_e32 v[222:223], v[222:223], v[228:229]
	v_fma_f64 v[56:57], v[224:225], v[218:219], v[56:57]
	v_fma_f64 v[66:67], v[234:235], v[218:219], -v[66:67]
	v_fma_f64 v[70:71], v[234:235], v[226:227], -v[70:71]
	v_fma_f64 v[68:69], v[236:237], v[218:219], v[68:69]
	v_fma_f64 v[82:83], v[238:239], v[218:219], -v[82:83]
	v_fma_f64 v[86:87], v[238:239], v[226:227], -v[86:87]
	v_fma_f64 v[84:85], v[240:241], v[218:219], v[84:85]
	v_fma_f64 v[222:223], v[224:225], v[226:227], v[222:223]
	v_mul_f64_e32 v[224:225], v[236:237], v[212:213]
	s_delay_alu instid0(VALU_DEP_1) | instskip(SKIP_1) | instid1(VALU_DEP_1)
	v_fma_f64 v[224:225], v[234:235], v[210:211], -v[224:225]
	v_mul_f64_e32 v[234:235], v[234:235], v[228:229]
	v_fma_f64 v[234:235], v[236:237], v[226:227], v[234:235]
	v_mul_f64_e32 v[236:237], v[240:241], v[212:213]
	s_delay_alu instid0(VALU_DEP_1) | instskip(SKIP_1) | instid1(VALU_DEP_1)
	v_fma_f64 v[236:237], v[238:239], v[210:211], -v[236:237]
	v_mul_f64_e32 v[238:239], v[238:239], v[228:229]
	v_fma_f64 v[238:239], v[240:241], v[226:227], v[238:239]
	v_mul_f64_e32 v[240:241], v[244:245], v[212:213]
	v_mul_f64_e32 v[212:213], v[242:243], v[212:213]
	s_delay_alu instid0(VALU_DEP_2) | instskip(NEXT) | instid1(VALU_DEP_2)
	v_fma_f64 v[240:241], v[242:243], v[210:211], -v[240:241]
	v_fma_f64 v[210:211], v[244:245], v[210:211], v[212:213]
	v_mul_f64_e32 v[212:213], v[244:245], v[216:217]
	v_mul_f64_e32 v[216:217], v[242:243], v[216:217]
	s_delay_alu instid0(VALU_DEP_2) | instskip(NEXT) | instid1(VALU_DEP_2)
	v_fma_f64 v[212:213], v[242:243], v[214:215], -v[212:213]
	;; [unrolled: 5-line block ×4, first 2 shown]
	v_fma_f64 v[226:227], v[244:245], v[226:227], v[228:229]
	s_wait_loadcnt 0x0
	v_add_f64_e32 v[228:229], v[28:29], v[34:35]
	scratch_load_b64 v[28:29], off, off offset:56 th:TH_LOAD_LU ; 8-byte Folded Reload
	s_wait_loadcnt 0x0
	v_add_f64_e32 v[242:243], v[28:29], v[24:25]
	scratch_load_b64 v[24:25], off, off offset:64 th:TH_LOAD_LU ; 8-byte Folded Reload
	v_add_f64_e32 v[142:143], v[142:143], v[242:243]
	s_delay_alu instid0(VALU_DEP_1)
	v_add_f64_e32 v[134:135], v[134:135], v[142:143]
	s_wait_loadcnt 0x0
	v_add_f64_e32 v[244:245], v[36:37], v[24:25]
	scratch_load_b64 v[24:25], off, off offset:72 th:TH_LOAD_LU ; 8-byte Folded Reload
	v_dual_mov_b32 v36, v204 :: v_dual_mov_b32 v37, v205
	v_add_f64_e32 v[144:145], v[244:245], v[144:145]
	s_delay_alu instid0(VALU_DEP_1)
	v_add_f64_e32 v[132:133], v[144:145], v[132:133]
	s_wait_loadcnt 0x0
	v_add_f64_e32 v[204:205], v[24:25], v[208:209]
	scratch_load_b64 v[24:25], off, off offset:80 th:TH_LOAD_LU ; 8-byte Folded Reload
	v_add_f64_e32 v[146:147], v[146:147], v[204:205]
	v_dual_mov_b32 v205, v37 :: v_dual_mov_b32 v204, v36
	s_delay_alu instid0(VALU_DEP_2) | instskip(SKIP_4) | instid1(VALU_DEP_1)
	v_add_f64_e32 v[130:131], v[130:131], v[146:147]
	s_wait_loadcnt 0x0
	v_add_f64_e32 v[246:247], v[246:247], v[24:25]
	scratch_load_b64 v[24:25], off, off offset:88 th:TH_LOAD_LU ; 8-byte Folded Reload
	v_add_f64_e32 v[148:149], v[246:247], v[148:149]
	v_add_f64_e32 v[128:129], v[148:149], v[128:129]
	s_delay_alu instid0(VALU_DEP_1) | instskip(SKIP_4) | instid1(VALU_DEP_1)
	v_add_f64_e32 v[246:247], v[128:129], v[54:55]
	s_wait_loadcnt 0x0
	v_add_f64_e32 v[248:249], v[24:25], v[248:249]
	scratch_load_b64 v[24:25], off, off offset:96 th:TH_LOAD_LU ; 8-byte Folded Reload
	v_add_f64_e32 v[150:151], v[150:151], v[248:249]
	v_add_f64_e32 v[126:127], v[126:127], v[150:151]
	s_delay_alu instid0(VALU_DEP_1) | instskip(SKIP_4) | instid1(VALU_DEP_1)
	;; [unrolled: 7-line block ×3, first 2 shown]
	v_add_f64_e32 v[250:251], v[124:125], v[58:59]
	s_wait_loadcnt 0x0
	v_add_f64_e32 v[252:253], v[24:25], v[252:253]
	scratch_load_b64 v[24:25], off, off offset:112 th:TH_LOAD_LU ; 8-byte Folded Reload
	v_add_f64_e32 v[154:155], v[154:155], v[252:253]
	v_add_f64_e32 v[122:123], v[122:123], v[154:155]
	s_delay_alu instid0(VALU_DEP_1)
	v_add_f64_e32 v[252:253], v[222:223], v[122:123]
	s_wait_loadcnt 0x0
	v_add_f64_e32 v[0:1], v[0:1], v[24:25]
	scratch_load_b64 v[24:25], off, off offset:120 th:TH_LOAD_LU ; 8-byte Folded Reload
	s_wait_loadcnt 0x0
	v_add_f64_e32 v[2:3], v[24:25], v[2:3]
	scratch_load_b64 v[24:25], off, off offset:128 th:TH_LOAD_LU ; 8-byte Folded Reload
	v_add_f64_e32 v[2:3], v[158:159], v[2:3]
	s_delay_alu instid0(VALU_DEP_1) | instskip(NEXT) | instid1(VALU_DEP_1)
	v_add_f64_e32 v[2:3], v[120:121], v[2:3]
	v_add_f64_e32 v[2:3], v[60:61], v[2:3]
	s_wait_loadcnt 0x0
	v_add_f64_e32 v[4:5], v[4:5], v[24:25]
	scratch_load_b64 v[24:25], off, off offset:136 th:TH_LOAD_LU ; 8-byte Folded Reload
	v_add_f64_e32 v[4:5], v[4:5], v[160:161]
	s_delay_alu instid0(VALU_DEP_1) | instskip(NEXT) | instid1(VALU_DEP_1)
	v_add_f64_e32 v[4:5], v[4:5], v[118:119]
	v_add_f64_e32 v[4:5], v[4:5], v[62:63]
	;; [unrolled: 7-line block ×7, first 2 shown]
	s_wait_loadcnt 0x0
	v_add_f64_e32 v[16:17], v[16:17], v[24:25]
	scratch_load_b64 v[24:25], off, off offset:184 th:TH_LOAD_LU ; 8-byte Folded Reload
	v_add_f64_e32 v[16:17], v[16:17], v[172:173]
	v_add_f64_e32 v[172:173], v[132:133], v[50:51]
	s_delay_alu instid0(VALU_DEP_2) | instskip(NEXT) | instid1(VALU_DEP_1)
	v_add_f64_e32 v[16:17], v[16:17], v[106:107]
	v_add_f64_e32 v[16:17], v[16:17], v[236:237]
	s_wait_loadcnt 0x0
	v_add_f64_e32 v[18:19], v[24:25], v[18:19]
	scratch_load_b64 v[24:25], off, off offset:192 th:TH_LOAD_LU ; 8-byte Folded Reload
	v_add_f64_e32 v[18:19], v[174:175], v[18:19]
	s_delay_alu instid0(VALU_DEP_1) | instskip(NEXT) | instid1(VALU_DEP_1)
	v_add_f64_e32 v[18:19], v[104:105], v[18:19]
	v_add_f64_e32 v[18:19], v[76:77], v[18:19]
	s_wait_loadcnt 0x0
	v_add_f64_e32 v[20:21], v[20:21], v[24:25]
	scratch_load_b64 v[24:25], off, off offset:208 th:TH_LOAD_LU ; 8-byte Folded Reload
	v_add_f64_e32 v[20:21], v[20:21], v[176:177]
	s_delay_alu instid0(VALU_DEP_1) | instskip(NEXT) | instid1(VALU_DEP_1)
	v_add_f64_e32 v[20:21], v[20:21], v[102:103]
	v_add_f64_e32 v[20:21], v[20:21], v[78:79]
	s_wait_loadcnt 0x0
	v_add_f64_e32 v[22:23], v[24:25], v[22:23]
	s_clause 0x1
	scratch_load_b64 v[24:25], off, off offset:8 th:TH_LOAD_LU
	scratch_load_b64 v[28:29], off, off offset:216 th:TH_LOAD_LU
	v_add_f64_e32 v[22:23], v[178:179], v[22:23]
	s_delay_alu instid0(VALU_DEP_1) | instskip(NEXT) | instid1(VALU_DEP_1)
	v_add_f64_e32 v[22:23], v[100:101], v[22:23]
	v_add_f64_e32 v[22:23], v[80:81], v[22:23]
	s_wait_loadcnt 0x0
	v_add_f64_e32 v[24:25], v[24:25], v[28:29]
	scratch_load_b64 v[28:29], off, off offset:224 th:TH_LOAD_LU ; 8-byte Folded Reload
	v_add_f64_e32 v[24:25], v[24:25], v[180:181]
	s_delay_alu instid0(VALU_DEP_1) | instskip(NEXT) | instid1(VALU_DEP_1)
	v_add_f64_e32 v[24:25], v[24:25], v[98:99]
	v_add_f64_e32 v[24:25], v[24:25], v[82:83]
	s_wait_loadcnt 0x0
	v_add_f64_e32 v[26:27], v[28:29], v[26:27]
	s_clause 0x1
	scratch_load_b64 v[28:29], off, off th:TH_LOAD_LU
	scratch_load_b64 v[34:35], off, off offset:232 th:TH_LOAD_LU
	v_add_f64_e32 v[26:27], v[182:183], v[26:27]
	v_add_f64_e32 v[182:183], v[48:49], v[134:135]
	s_delay_alu instid0(VALU_DEP_2) | instskip(NEXT) | instid1(VALU_DEP_1)
	v_add_f64_e32 v[26:27], v[96:97], v[26:27]
	v_add_f64_e32 v[26:27], v[84:85], v[26:27]
	s_wait_loadcnt 0x0
	v_add_f64_e32 v[28:29], v[28:29], v[34:35]
	scratch_load_b64 v[34:35], off, off offset:240 th:TH_LOAD_LU ; 8-byte Folded Reload
	v_add_f64_e32 v[28:29], v[28:29], v[184:185]
	s_delay_alu instid0(VALU_DEP_1) | instskip(NEXT) | instid1(VALU_DEP_1)
	v_add_f64_e32 v[28:29], v[28:29], v[94:95]
	v_add_f64_e32 v[28:29], v[28:29], v[86:87]
	s_wait_loadcnt 0x0
	v_add_f64_e32 v[30:31], v[34:35], v[30:31]
	scratch_load_b64 v[34:35], off, off offset:248 th:TH_LOAD_LU ; 8-byte Folded Reload
	v_add_f64_e32 v[30:31], v[186:187], v[30:31]
	s_delay_alu instid0(VALU_DEP_1) | instskip(NEXT) | instid1(VALU_DEP_1)
	;; [unrolled: 7-line block ×3, first 2 shown]
	v_add_f64_e32 v[32:33], v[32:33], v[90:91]
	v_add_f64_e32 v[178:179], v[32:33], v[240:241]
	s_wait_loadcnt 0x0
	v_add_f64_e32 v[72:73], v[34:35], v[72:73]
	scratch_load_b64 v[34:35], off, off offset:264 th:TH_LOAD_LU ; 8-byte Folded Reload
	v_add_f64_e32 v[72:73], v[190:191], v[72:73]
	s_wait_loadcnt 0x0
	v_add_f64_e32 v[254:255], v[254:255], v[34:35]
	scratch_load_b64 v[34:35], off, off offset:272 th:TH_LOAD_LU ; 8-byte Folded Reload
	v_add_f64_e32 v[156:157], v[254:255], v[192:193]
	s_delay_alu instid0(VALU_DEP_1) | instskip(NEXT) | instid1(VALU_DEP_1)
	v_add_f64_e32 v[38:39], v[156:157], v[38:39]
	v_add_f64_e32 v[254:255], v[38:39], v[212:213]
	s_wait_loadcnt 0x0
	v_add_f64_e32 v[208:209], v[34:35], v[206:207]
	s_clause 0x1
	scratch_load_b64 v[34:35], off, off offset:200 th:TH_LOAD_LU
	scratch_load_b64 v[138:139], off, off offset:280 th:TH_LOAD_LU
	v_add_f64_e32 v[158:159], v[194:195], v[208:209]
	v_add_f64_e32 v[208:209], v[52:53], v[130:131]
	s_delay_alu instid0(VALU_DEP_2)
	v_add_f64_e32 v[40:41], v[40:41], v[158:159]
	s_wait_loadcnt 0x0
	v_add_f64_e32 v[206:207], v[34:35], v[138:139]
	s_clause 0x1
	scratch_load_b64 v[34:35], off, off offset:40 th:TH_LOAD_LU
	scratch_load_b64 v[138:139], off, off offset:288 th:TH_LOAD_LU
	v_add_f64_e32 v[160:161], v[206:207], v[196:197]
	v_add_f64_e32 v[206:207], v[214:215], v[40:41]
	s_delay_alu instid0(VALU_DEP_2) | instskip(NEXT) | instid1(VALU_DEP_1)
	v_add_f64_e32 v[42:43], v[160:161], v[42:43]
	v_add_f64_e32 v[144:145], v[42:43], v[216:217]
	s_wait_loadcnt 0x0
	v_add_f64_e32 v[34:35], v[138:139], v[34:35]
	scratch_load_b64 v[138:139], off, off offset:296 th:TH_LOAD_LU ; 8-byte Folded Reload
	v_add_f64_e32 v[34:35], v[198:199], v[34:35]
	s_delay_alu instid0(VALU_DEP_1)
	v_add_f64_e32 v[34:35], v[44:45], v[34:35]
	s_wait_loadcnt 0x0
	v_add_f64_e32 v[74:75], v[74:75], v[138:139]
	s_clause 0x2
	scratch_load_b64 v[138:139], off, off offset:32 th:TH_LOAD_LU
	scratch_load_b64 v[140:141], off, off offset:304 th:TH_LOAD_LU
	;; [unrolled: 1-line block ×3, first 2 shown]
	v_add_f64_e32 v[74:75], v[74:75], v[200:201]
	s_delay_alu instid0(VALU_DEP_1) | instskip(NEXT) | instid1(VALU_DEP_1)
	v_add_f64_e32 v[44:45], v[74:75], v[46:47]
	v_add_f64_e32 v[74:75], v[44:45], v[220:221]
	s_wait_loadcnt 0x1
	v_add_f64_e32 v[138:139], v[140:141], v[138:139]
	s_clause 0x2
	scratch_load_b64 v[140:141], off, off offset:312 th:TH_LOAD_LU
	scratch_load_b32 v135, off, off offset:332
	scratch_load_b32 v134, off, off offset:328
	s_clause 0x1
	scratch_store_b64 off, v[24:25], off offset:8
	scratch_store_b64 off, v[28:29], off
	s_clause 0x1
	scratch_load_b64 v[24:25], off, off offset:16 th:TH_LOAD_LU
	scratch_load_b64 v[32:33], off, off offset:24 th:TH_LOAD_LU
	s_wait_loadcnt 0x0
	s_wait_storecnt 0x0
	s_barrier_signal -1
	s_barrier_wait -1
	global_inv scope:SCOPE_SE
	v_add_f64_e32 v[0:1], v[0:1], v[36:37]
	v_add_f64_e32 v[36:37], v[88:89], v[72:73]
	;; [unrolled: 1-line block ×3, first 2 shown]
	s_delay_alu instid0(VALU_DEP_3) | instskip(NEXT) | instid1(VALU_DEP_3)
	v_add_f64_e32 v[0:1], v[0:1], v[162:163]
	v_add_f64_e32 v[72:73], v[210:211], v[36:37]
	s_delay_alu instid0(VALU_DEP_3) | instskip(NEXT) | instid1(VALU_DEP_3)
	v_add_f64_e32 v[46:47], v[230:231], v[138:139]
	v_add_f64_e32 v[0:1], v[0:1], v[224:225]
	s_delay_alu instid0(VALU_DEP_2)
	v_add_f64_e32 v[138:139], v[226:227], v[46:47]
	v_add_f64_e32 v[140:141], v[228:229], v[140:141]
	v_add_co_u32 v24, s1, v24, 64
	s_wait_alu 0xf1ff
	v_add_co_ci_u32_e64 v25, null, 0, v25, s1
	s_wait_alu 0xfffe
	v_cmp_lt_i64_e64 s1, s[24:25], s[36:37]
	v_add_co_u32 v32, vcc_lo, v32, s12
	s_wait_alu 0xfffd
	v_add_co_ci_u32_e64 v33, null, s13, v33, vcc_lo
	s_and_b32 vcc_lo, exec_lo, s1
	v_add_f64_e32 v[136:137], v[140:141], v[136:137]
	v_add_f64_e32 v[140:141], v[218:219], v[34:35]
	s_delay_alu instid0(VALU_DEP_2)
	v_add_f64_e32 v[180:181], v[136:137], v[232:233]
	s_wait_alu 0xfffe
	s_cbranch_vccnz .LBB126_5
	s_branch .LBB126_7
.LBB126_6:                              ;   in Loop: Header=BB126_3 Depth=1
	v_mov_b32_e32 v24, 0
	v_dual_mov_b32 v28, 0 :: v_dual_mov_b32 v25, 0
	v_dual_mov_b32 v26, 0 :: v_dual_mov_b32 v29, 0
	v_mov_b32_e32 v30, 0
	v_mov_b32_e32 v180, 0
	;; [unrolled: 1-line block ×14, first 2 shown]
	v_dual_mov_b32 v74, 0 :: v_dual_mov_b32 v181, 0
	v_dual_mov_b32 v182, 0 :: v_dual_mov_b32 v173, 0
	;; [unrolled: 1-line block ×15, first 2 shown]
	v_mov_b32_e32 v209, 0
	v_mov_b32_e32 v249, 0
	;; [unrolled: 1-line block ×9, first 2 shown]
	s_clause 0x1
	scratch_store_b64 off, v[24:25], off offset:8
	scratch_store_b64 off, v[28:29], off
	v_mov_b32_e32 v27, 0
	v_mov_b32_e32 v31, 0
	;; [unrolled: 1-line block ×6, first 2 shown]
.LBB126_7:                              ;   in Loop: Header=BB126_3 Depth=1
	s_mul_u64 s[24:25], s[20:21], s[2:3]
	v_dual_mov_b32 v153, v23 :: v_dual_mov_b32 v152, v22
	v_dual_mov_b32 v151, v27 :: v_dual_mov_b32 v150, v26
	;; [unrolled: 1-line block ×14, first 2 shown]
	s_wait_alu 0xfffe
	s_lshl_b64 s[24:25], s[24:25], 4
	s_and_not1_b32 vcc_lo, exec_lo, s27
	s_wait_alu 0xfffe
	s_add_nc_u64 s[24:25], s[16:17], s[24:25]
	s_mov_b32 s1, -1
                                        ; implicit-def: $vgpr72_vgpr73
                                        ; implicit-def: $vgpr74_vgpr75
	s_cbranch_vccz .LBB126_9
; %bb.8:                                ;   in Loop: Header=BB126_3 Depth=1
	s_wait_alu 0xfffe
	s_and_not1_b32 vcc_lo, exec_lo, s1
	s_wait_alu 0xfffe
	s_cbranch_vccnz .LBB126_2
	s_branch .LBB126_10
.LBB126_9:                              ;   in Loop: Header=BB126_3 Depth=1
	v_mul_f64_e32 v[10:11], s[38:39], v[248:249]
	v_dual_mov_b32 v18, v170 :: v_dual_mov_b32 v19, v171
	v_dual_mov_b32 v65, v17 :: v_dual_mov_b32 v64, v16
	v_mul_f64_e32 v[12:13], s[40:41], v[252:253]
	s_clause 0x1
	scratch_load_b64 v[32:33], off, off offset:336
	scratch_load_b64 v[34:35], off, off offset:344
	v_mul_f64_e32 v[16:17], s[40:41], v[18:19]
	v_mul_f64_e32 v[18:19], s[38:39], v[18:19]
	;; [unrolled: 1-line block ×7, first 2 shown]
	v_dual_mov_b32 v22, v166 :: v_dual_mov_b32 v23, v167
	v_dual_mov_b32 v63, v21 :: v_dual_mov_b32 v62, v20
	;; [unrolled: 1-line block ×3, first 2 shown]
	s_delay_alu instid0(VALU_DEP_3)
	v_mul_f64_e32 v[20:21], s[40:41], v[22:23]
	v_mul_f64_e32 v[22:23], s[38:39], v[22:23]
	v_dual_mov_b32 v38, v154 :: v_dual_mov_b32 v39, v155
	v_dual_mov_b32 v46, v150 :: v_dual_mov_b32 v47, v151
	;; [unrolled: 1-line block ×3, first 2 shown]
	v_mul_f64_e32 v[14:15], s[38:39], v[252:253]
	v_mul_f64_e32 v[24:25], s[40:41], v[26:27]
	;; [unrolled: 1-line block ×3, first 2 shown]
	v_dual_mov_b32 v30, v158 :: v_dual_mov_b32 v31, v159
	v_dual_mov_b32 v42, v152 :: v_dual_mov_b32 v43, v153
	;; [unrolled: 1-line block ×3, first 2 shown]
	v_fma_f64 v[84:85], s[40:41], v[246:247], v[10:11]
	v_dual_mov_b32 v10, v168 :: v_dual_mov_b32 v11, v169
	v_mul_f64_e32 v[36:37], s[40:41], v[38:39]
	v_mul_f64_e32 v[38:39], s[38:39], v[38:39]
	v_fma_f64 v[86:87], s[38:39], v[250:251], -v[12:13]
	scratch_load_b64 v[12:13], off, off     ; 8-byte Folded Reload
	v_mul_f64_e32 v[44:45], s[40:41], v[46:47]
	v_mul_f64_e32 v[46:47], s[38:39], v[46:47]
	v_fma_f64 v[92:93], s[40:41], v[10:11], v[18:19]
	scratch_load_b64 v[18:19], off, off offset:8 ; 8-byte Folded Reload
	v_fma_f64 v[76:77], s[40:41], v[180:181], v[2:3]
	v_mul_f64_e32 v[2:3], s[40:41], v[140:141]
	v_mul_f64_e32 v[52:53], s[40:41], v[54:55]
	;; [unrolled: 1-line block ×3, first 2 shown]
	v_fma_f64 v[78:79], s[38:39], v[172:173], -v[4:5]
	v_fma_f64 v[82:83], s[38:39], v[246:247], -v[8:9]
	v_mul_f64_e32 v[4:5], s[38:39], v[140:141]
	v_mul_f64_e32 v[8:9], s[38:39], v[138:139]
	v_mul_f64_e32 v[28:29], s[40:41], v[30:31]
	v_mul_f64_e32 v[30:31], s[38:39], v[30:31]
	v_mul_f64_e32 v[40:41], s[40:41], v[42:43]
	v_mul_f64_e32 v[42:43], s[38:39], v[42:43]
	v_mul_f64_e32 v[48:49], s[40:41], v[50:51]
	v_mul_f64_e32 v[50:51], s[38:39], v[50:51]
	v_mul_f64_e32 v[56:57], s[40:41], v[206:207]
	v_fma_f64 v[74:75], s[38:39], v[180:181], -v[0:1]
	v_fma_f64 v[80:81], s[40:41], v[172:173], v[6:7]
	v_mul_f64_e32 v[0:1], s[38:39], v[206:207]
	v_mul_f64_e32 v[6:7], s[40:41], v[138:139]
	v_fma_f64 v[90:91], s[38:39], v[10:11], -v[16:17]
	v_dual_mov_b32 v10, v164 :: v_dual_mov_b32 v11, v165
	v_dual_mov_b32 v16, v64 :: v_dual_mov_b32 v17, v65
	v_fma_f64 v[88:89], s[40:41], v[250:251], v[14:15]
	s_delay_alu instid0(VALU_DEP_3)
	v_fma_f64 v[94:95], s[38:39], v[10:11], -v[20:21]
	v_fma_f64 v[96:97], s[40:41], v[10:11], v[22:23]
	v_dual_mov_b32 v10, v160 :: v_dual_mov_b32 v11, v161
	v_dual_mov_b32 v20, v62 :: v_dual_mov_b32 v21, v63
	v_fma_f64 v[106:107], s[38:39], v[16:17], -v[36:37]
	v_fma_f64 v[108:109], s[40:41], v[16:17], v[38:39]
	s_delay_alu instid0(VALU_DEP_4)
	v_fma_f64 v[98:99], s[38:39], v[10:11], -v[24:25]
	v_fma_f64 v[100:101], s[40:41], v[10:11], v[26:27]
	v_dual_mov_b32 v10, v156 :: v_dual_mov_b32 v11, v157
	v_fma_f64 v[130:131], s[38:39], v[144:145], -v[2:3]
	v_dual_mov_b32 v2, v136 :: v_dual_mov_b32 v3, v137
	v_fma_f64 v[122:123], s[38:39], v[178:179], -v[52:53]
	v_fma_f64 v[124:125], s[40:41], v[178:179], v[54:55]
	v_fma_f64 v[132:133], s[40:41], v[144:145], v[4:5]
	s_delay_alu instid0(VALU_DEP_4)
	v_fma_f64 v[72:73], s[40:41], v[2:3], v[8:9]
	v_fma_f64 v[102:103], s[38:39], v[10:11], -v[28:29]
	v_fma_f64 v[104:105], s[40:41], v[10:11], v[30:31]
	v_fma_f64 v[110:111], s[38:39], v[20:21], -v[40:41]
	;; [unrolled: 2-line block ×4, first 2 shown]
	s_wait_loadcnt 0x3
	v_lshlrev_b64_e32 v[32:33], 4, v[32:33]
	s_wait_loadcnt 0x2
	v_lshlrev_b64_e32 v[34:35], 4, v[34:35]
	s_wait_alu 0xfffe
	s_delay_alu instid0(VALU_DEP_2) | instskip(SKIP_2) | instid1(VALU_DEP_2)
	v_add_co_u32 v32, vcc_lo, s24, v32
	s_wait_alu 0xfffd
	v_add_co_ci_u32_e64 v33, null, s25, v33, vcc_lo
	v_add_co_u32 v10, vcc_lo, v32, v34
	s_wait_alu 0xfffd
	s_delay_alu instid0(VALU_DEP_2)
	v_add_co_ci_u32_e64 v11, null, v33, v35, vcc_lo
	v_add_co_u32 v14, vcc_lo, v32, s22
	s_wait_alu 0xfffd
	v_add_co_ci_u32_e64 v15, null, s23, v33, vcc_lo
	s_wait_loadcnt 0x1
	v_fma_f64 v[118:119], s[38:39], v[12:13], -v[48:49]
	v_fma_f64 v[120:121], s[40:41], v[12:13], v[50:51]
	v_add_co_u32 v12, vcc_lo, v14, v34
	s_wait_loadcnt 0x0
	v_fma_f64 v[114:115], s[38:39], v[18:19], -v[44:45]
	v_fma_f64 v[116:117], s[40:41], v[18:19], v[46:47]
	s_wait_alu 0xfffd
	v_add_co_ci_u32_e64 v13, null, v15, v35, vcc_lo
	v_add_co_u32 v4, vcc_lo, v14, s22
	s_wait_alu 0xfffd
	v_add_co_ci_u32_e64 v5, null, s23, v15, vcc_lo
	s_clause 0x5
	global_store_b128 v[10:11], v[74:77], off
	global_store_b128 v[10:11], v[78:81], off offset:256
	global_store_b128 v[10:11], v[82:85], off offset:512
	;; [unrolled: 1-line block ×3, first 2 shown]
	global_store_b128 v[12:13], v[90:93], off
	global_store_b128 v[12:13], v[94:97], off offset:256
	v_add_co_u32 v2, vcc_lo, v4, v34
	s_wait_alu 0xfffd
	v_add_co_ci_u32_e64 v3, null, v5, v35, vcc_lo
	v_add_co_u32 v4, vcc_lo, v4, s22
	s_wait_alu 0xfffd
	v_add_co_ci_u32_e64 v5, null, s23, v5, vcc_lo
	s_clause 0x1
	global_store_b128 v[12:13], v[98:101], off offset:512
	global_store_b128 v[12:13], v[102:105], off offset:768
	v_add_co_u32 v4, vcc_lo, v4, v34
	s_wait_alu 0xfffd
	v_add_co_ci_u32_e64 v5, null, v5, v35, vcc_lo
	s_clause 0x1
	global_store_b128 v[2:3], v[106:109], off
	global_store_b128 v[2:3], v[110:113], off offset:256
	v_add_co_u32 v74, vcc_lo, 0x300, v4
	s_wait_alu 0xfffd
	v_add_co_ci_u32_e64 v75, null, 0, v5, vcc_lo
	s_clause 0x5
	global_store_b128 v[2:3], v[114:117], off offset:512
	global_store_b128 v[2:3], v[118:121], off offset:768
	global_store_b128 v[4:5], v[122:125], off
	global_store_b128 v[4:5], v[126:129], off offset:256
	global_store_b128 v[4:5], v[130:133], off offset:512
	global_store_b64 v[4:5], v[0:1], off offset:768
	s_cbranch_execnz .LBB126_2
.LBB126_10:                             ;   in Loop: Header=BB126_3 Depth=1
	s_clause 0x1
	scratch_load_b64 v[0:1], off, off offset:344
	scratch_load_b32 v2, off, off offset:368
	s_mul_u64 s[28:29], s[14:15], s[2:3]
	v_mul_f64_e32 v[4:5], s[40:41], v[182:183]
	s_wait_alu 0xfffe
	s_lshl_b64 s[28:29], s[28:29], 4
	v_mul_f64_e32 v[6:7], s[38:39], v[182:183]
	v_dual_mov_b32 v19, v17 :: v_dual_mov_b32 v18, v16
	s_delay_alu instid0(VALU_DEP_3) | instskip(NEXT) | instid1(VALU_DEP_3)
	v_fma_f64 v[4:5], s[38:39], v[180:181], -v[4:5]
	v_fma_f64 v[6:7], s[40:41], v[180:181], v[6:7]
	s_wait_loadcnt 0x1
	v_lshlrev_b64_e32 v[0:1], 4, v[0:1]
	s_wait_loadcnt 0x0
	s_wait_alu 0xfffe
	v_add_co_u32 v14, vcc_lo, v2, s28
	scratch_load_b32 v2, off, off offset:372 ; 4-byte Folded Reload
	s_wait_loadcnt 0x0
	s_wait_alu 0xfffd
	v_add_co_ci_u32_e64 v15, null, s29, v2, vcc_lo
	v_add_co_u32 v2, vcc_lo, v14, v0
	s_wait_alu 0xfffd
	s_delay_alu instid0(VALU_DEP_2) | instskip(SKIP_4) | instid1(VALU_DEP_2)
	v_add_co_ci_u32_e64 v3, null, v15, v1, vcc_lo
	global_load_b128 v[72:75], v[2:3], off
	s_wait_loadcnt 0x0
	v_mul_f64_e32 v[8:9], s[8:9], v[74:75]
	v_mul_f64_e32 v[10:11], s[6:7], v[74:75]
	v_fma_f64 v[8:9], s[6:7], v[72:73], -v[8:9]
	s_delay_alu instid0(VALU_DEP_2) | instskip(NEXT) | instid1(VALU_DEP_2)
	v_fma_f64 v[10:11], s[8:9], v[72:73], v[10:11]
	v_add_f64_e32 v[68:69], v[4:5], v[8:9]
	scratch_load_b64 v[4:5], off, off offset:336 ; 8-byte Folded Reload
	v_add_f64_e32 v[70:71], v[6:7], v[10:11]
	v_mul_f64_e32 v[6:7], s[40:41], v[208:209]
	v_mul_f64_e32 v[8:9], s[38:39], v[208:209]
	s_delay_alu instid0(VALU_DEP_2) | instskip(NEXT) | instid1(VALU_DEP_2)
	v_fma_f64 v[6:7], s[38:39], v[172:173], -v[6:7]
	v_fma_f64 v[8:9], s[40:41], v[172:173], v[8:9]
	s_wait_loadcnt 0x0
	v_lshlrev_b64_e32 v[4:5], 4, v[4:5]
	s_delay_alu instid0(VALU_DEP_1) | instskip(SKIP_1) | instid1(VALU_DEP_2)
	v_add_co_u32 v16, vcc_lo, s24, v4
	s_wait_alu 0xfffd
	v_add_co_ci_u32_e64 v17, null, s25, v5, vcc_lo
	s_delay_alu instid0(VALU_DEP_2) | instskip(SKIP_1) | instid1(VALU_DEP_2)
	v_add_co_u32 v4, vcc_lo, v16, v0
	s_wait_alu 0xfffd
	v_add_co_ci_u32_e64 v5, null, v17, v1, vcc_lo
	v_add_co_u32 v14, vcc_lo, v14, s18
	s_wait_alu 0xfffd
	v_add_co_ci_u32_e64 v15, null, s19, v15, vcc_lo
	global_store_b128 v[4:5], v[68:71], off
	global_load_b128 v[68:71], v[2:3], off offset:256
	s_wait_loadcnt 0x0
	v_mul_f64_e32 v[10:11], s[8:9], v[70:71]
	v_mul_f64_e32 v[12:13], s[6:7], v[70:71]
	s_delay_alu instid0(VALU_DEP_2) | instskip(NEXT) | instid1(VALU_DEP_2)
	v_fma_f64 v[10:11], s[6:7], v[68:69], -v[10:11]
	v_fma_f64 v[12:13], s[8:9], v[68:69], v[12:13]
	s_delay_alu instid0(VALU_DEP_2) | instskip(NEXT) | instid1(VALU_DEP_2)
	v_add_f64_e32 v[64:65], v[6:7], v[10:11]
	v_add_f64_e32 v[66:67], v[8:9], v[12:13]
	v_mul_f64_e32 v[6:7], s[40:41], v[248:249]
	v_mul_f64_e32 v[8:9], s[38:39], v[248:249]
	global_store_b128 v[4:5], v[64:67], off offset:256
	global_load_b128 v[64:67], v[2:3], off offset:512
	v_fma_f64 v[6:7], s[38:39], v[246:247], -v[6:7]
	v_fma_f64 v[8:9], s[40:41], v[246:247], v[8:9]
	s_wait_loadcnt 0x0
	v_mul_f64_e32 v[10:11], s[8:9], v[66:67]
	v_mul_f64_e32 v[12:13], s[6:7], v[66:67]
	s_delay_alu instid0(VALU_DEP_2) | instskip(NEXT) | instid1(VALU_DEP_2)
	v_fma_f64 v[10:11], s[6:7], v[64:65], -v[10:11]
	v_fma_f64 v[12:13], s[8:9], v[64:65], v[12:13]
	s_delay_alu instid0(VALU_DEP_2) | instskip(NEXT) | instid1(VALU_DEP_2)
	v_add_f64_e32 v[60:61], v[6:7], v[10:11]
	v_add_f64_e32 v[62:63], v[8:9], v[12:13]
	v_mul_f64_e32 v[6:7], s[38:39], v[252:253]
	global_store_b128 v[4:5], v[60:63], off offset:512
	global_load_b128 v[60:63], v[2:3], off offset:768
	v_mul_f64_e32 v[2:3], s[40:41], v[252:253]
	v_fma_f64 v[6:7], s[40:41], v[250:251], v[6:7]
	s_delay_alu instid0(VALU_DEP_2) | instskip(SKIP_3) | instid1(VALU_DEP_2)
	v_fma_f64 v[2:3], s[38:39], v[250:251], -v[2:3]
	s_wait_loadcnt 0x0
	v_mul_f64_e32 v[8:9], s[8:9], v[62:63]
	v_mul_f64_e32 v[10:11], s[6:7], v[62:63]
	v_fma_f64 v[8:9], s[6:7], v[60:61], -v[8:9]
	s_delay_alu instid0(VALU_DEP_2) | instskip(NEXT) | instid1(VALU_DEP_2)
	v_fma_f64 v[10:11], s[8:9], v[60:61], v[10:11]
	v_add_f64_e32 v[56:57], v[2:3], v[8:9]
	s_delay_alu instid0(VALU_DEP_2)
	v_add_f64_e32 v[58:59], v[6:7], v[10:11]
	v_add_co_u32 v2, vcc_lo, v14, v0
	s_wait_alu 0xfffd
	v_add_co_ci_u32_e64 v3, null, v15, v1, vcc_lo
	v_mul_f64_e32 v[6:7], s[38:39], v[170:171]
	v_add_co_u32 v16, vcc_lo, v16, s22
	s_wait_alu 0xfffd
	v_add_co_ci_u32_e64 v17, null, s23, v17, vcc_lo
	global_store_b128 v[4:5], v[56:59], off offset:768
	global_load_b128 v[56:59], v[2:3], off
	v_mul_f64_e32 v[4:5], s[40:41], v[170:171]
	v_fma_f64 v[6:7], s[40:41], v[168:169], v[6:7]
	s_delay_alu instid0(VALU_DEP_2) | instskip(SKIP_3) | instid1(VALU_DEP_2)
	v_fma_f64 v[4:5], s[38:39], v[168:169], -v[4:5]
	s_wait_loadcnt 0x0
	v_mul_f64_e32 v[8:9], s[8:9], v[58:59]
	v_mul_f64_e32 v[10:11], s[6:7], v[58:59]
	v_fma_f64 v[8:9], s[6:7], v[56:57], -v[8:9]
	s_delay_alu instid0(VALU_DEP_2) | instskip(NEXT) | instid1(VALU_DEP_2)
	v_fma_f64 v[10:11], s[8:9], v[56:57], v[10:11]
	v_add_f64_e32 v[52:53], v[4:5], v[8:9]
	s_delay_alu instid0(VALU_DEP_2)
	v_add_f64_e32 v[54:55], v[6:7], v[10:11]
	v_add_co_u32 v4, vcc_lo, v16, v0
	s_wait_alu 0xfffd
	v_add_co_ci_u32_e64 v5, null, v17, v1, vcc_lo
	v_mul_f64_e32 v[6:7], s[40:41], v[166:167]
	v_mul_f64_e32 v[8:9], s[38:39], v[166:167]
	v_add_co_u32 v14, vcc_lo, v14, s18
	s_wait_alu 0xfffd
	v_add_co_ci_u32_e64 v15, null, s19, v15, vcc_lo
	global_store_b128 v[4:5], v[52:55], off
	global_load_b128 v[52:55], v[2:3], off offset:256
	v_fma_f64 v[6:7], s[38:39], v[164:165], -v[6:7]
	v_fma_f64 v[8:9], s[40:41], v[164:165], v[8:9]
	s_wait_loadcnt 0x0
	v_mul_f64_e32 v[10:11], s[8:9], v[54:55]
	v_mul_f64_e32 v[12:13], s[6:7], v[54:55]
	s_delay_alu instid0(VALU_DEP_2) | instskip(NEXT) | instid1(VALU_DEP_2)
	v_fma_f64 v[10:11], s[6:7], v[52:53], -v[10:11]
	v_fma_f64 v[12:13], s[8:9], v[52:53], v[12:13]
	s_delay_alu instid0(VALU_DEP_2) | instskip(NEXT) | instid1(VALU_DEP_2)
	v_add_f64_e32 v[48:49], v[6:7], v[10:11]
	v_add_f64_e32 v[50:51], v[8:9], v[12:13]
	v_mul_f64_e32 v[6:7], s[40:41], v[162:163]
	v_mul_f64_e32 v[8:9], s[38:39], v[162:163]
	global_store_b128 v[4:5], v[48:51], off offset:256
	global_load_b128 v[48:51], v[2:3], off offset:512
	v_fma_f64 v[6:7], s[38:39], v[160:161], -v[6:7]
	v_fma_f64 v[8:9], s[40:41], v[160:161], v[8:9]
	s_wait_loadcnt 0x0
	v_mul_f64_e32 v[10:11], s[8:9], v[50:51]
	v_mul_f64_e32 v[12:13], s[6:7], v[50:51]
	s_delay_alu instid0(VALU_DEP_2) | instskip(NEXT) | instid1(VALU_DEP_2)
	v_fma_f64 v[10:11], s[6:7], v[48:49], -v[10:11]
	v_fma_f64 v[12:13], s[8:9], v[48:49], v[12:13]
	s_delay_alu instid0(VALU_DEP_2) | instskip(NEXT) | instid1(VALU_DEP_2)
	v_add_f64_e32 v[44:45], v[6:7], v[10:11]
	v_add_f64_e32 v[46:47], v[8:9], v[12:13]
	v_mul_f64_e32 v[6:7], s[38:39], v[158:159]
	global_store_b128 v[4:5], v[44:47], off offset:512
	global_load_b128 v[44:47], v[2:3], off offset:768
	v_mul_f64_e32 v[2:3], s[40:41], v[158:159]
	v_fma_f64 v[6:7], s[40:41], v[156:157], v[6:7]
	s_delay_alu instid0(VALU_DEP_2) | instskip(SKIP_3) | instid1(VALU_DEP_2)
	v_fma_f64 v[2:3], s[38:39], v[156:157], -v[2:3]
	s_wait_loadcnt 0x0
	v_mul_f64_e32 v[8:9], s[8:9], v[46:47]
	v_mul_f64_e32 v[10:11], s[6:7], v[46:47]
	v_fma_f64 v[8:9], s[6:7], v[44:45], -v[8:9]
	s_delay_alu instid0(VALU_DEP_2) | instskip(NEXT) | instid1(VALU_DEP_2)
	v_fma_f64 v[10:11], s[8:9], v[44:45], v[10:11]
	v_add_f64_e32 v[40:41], v[2:3], v[8:9]
	s_delay_alu instid0(VALU_DEP_2)
	v_add_f64_e32 v[42:43], v[6:7], v[10:11]
	v_add_co_u32 v2, vcc_lo, v14, v0
	s_wait_alu 0xfffd
	v_add_co_ci_u32_e64 v3, null, v15, v1, vcc_lo
	v_mul_f64_e32 v[6:7], s[38:39], v[154:155]
	v_add_co_u32 v16, vcc_lo, v16, s22
	s_wait_alu 0xfffd
	v_add_co_ci_u32_e64 v17, null, s23, v17, vcc_lo
	global_store_b128 v[4:5], v[40:43], off offset:768
	global_load_b128 v[40:43], v[2:3], off
	v_mul_f64_e32 v[4:5], s[40:41], v[154:155]
	v_fma_f64 v[6:7], s[40:41], v[18:19], v[6:7]
	s_delay_alu instid0(VALU_DEP_2) | instskip(SKIP_4) | instid1(VALU_DEP_2)
	v_fma_f64 v[4:5], s[38:39], v[18:19], -v[4:5]
	scratch_load_b64 v[18:19], off, off offset:8 th:TH_LOAD_LU ; 8-byte Folded Reload
	s_wait_loadcnt 0x1
	v_mul_f64_e32 v[8:9], s[8:9], v[42:43]
	v_mul_f64_e32 v[10:11], s[6:7], v[42:43]
	v_fma_f64 v[8:9], s[6:7], v[40:41], -v[8:9]
	s_delay_alu instid0(VALU_DEP_2) | instskip(NEXT) | instid1(VALU_DEP_2)
	v_fma_f64 v[10:11], s[8:9], v[40:41], v[10:11]
	v_add_f64_e32 v[36:37], v[4:5], v[8:9]
	s_delay_alu instid0(VALU_DEP_2)
	v_add_f64_e32 v[38:39], v[6:7], v[10:11]
	v_add_co_u32 v4, vcc_lo, v16, v0
	s_wait_alu 0xfffd
	v_add_co_ci_u32_e64 v5, null, v17, v1, vcc_lo
	v_mul_f64_e32 v[6:7], s[40:41], v[152:153]
	v_mul_f64_e32 v[8:9], s[38:39], v[152:153]
	global_store_b128 v[4:5], v[36:39], off
	global_load_b128 v[36:39], v[2:3], off offset:256
	v_fma_f64 v[6:7], s[38:39], v[20:21], -v[6:7]
	v_fma_f64 v[8:9], s[40:41], v[20:21], v[8:9]
	s_wait_loadcnt 0x0
	v_mul_f64_e32 v[10:11], s[8:9], v[38:39]
	v_mul_f64_e32 v[12:13], s[6:7], v[38:39]
	s_delay_alu instid0(VALU_DEP_2) | instskip(NEXT) | instid1(VALU_DEP_2)
	v_fma_f64 v[10:11], s[6:7], v[36:37], -v[10:11]
	v_fma_f64 v[12:13], s[8:9], v[36:37], v[12:13]
	s_delay_alu instid0(VALU_DEP_2) | instskip(NEXT) | instid1(VALU_DEP_2)
	v_add_f64_e32 v[32:33], v[6:7], v[10:11]
	v_add_f64_e32 v[34:35], v[8:9], v[12:13]
	v_mul_f64_e32 v[6:7], s[40:41], v[150:151]
	v_mul_f64_e32 v[8:9], s[38:39], v[150:151]
	global_store_b128 v[4:5], v[32:35], off offset:256
	global_load_b128 v[32:35], v[2:3], off offset:512
	v_fma_f64 v[6:7], s[38:39], v[18:19], -v[6:7]
	v_fma_f64 v[8:9], s[40:41], v[18:19], v[8:9]
	scratch_load_b64 v[18:19], off, off th:TH_LOAD_LU ; 8-byte Folded Reload
	s_wait_loadcnt 0x1
	v_mul_f64_e32 v[10:11], s[8:9], v[34:35]
	v_mul_f64_e32 v[12:13], s[6:7], v[34:35]
	s_delay_alu instid0(VALU_DEP_2) | instskip(NEXT) | instid1(VALU_DEP_2)
	v_fma_f64 v[10:11], s[6:7], v[32:33], -v[10:11]
	v_fma_f64 v[12:13], s[8:9], v[32:33], v[12:13]
	s_delay_alu instid0(VALU_DEP_2) | instskip(NEXT) | instid1(VALU_DEP_2)
	v_add_f64_e32 v[28:29], v[6:7], v[10:11]
	v_add_f64_e32 v[30:31], v[8:9], v[12:13]
	v_mul_f64_e32 v[6:7], s[38:39], v[148:149]
	global_store_b128 v[4:5], v[28:31], off offset:512
	global_load_b128 v[28:31], v[2:3], off offset:768
	v_mul_f64_e32 v[2:3], s[40:41], v[148:149]
	s_wait_loadcnt 0x1
	v_fma_f64 v[6:7], s[40:41], v[18:19], v[6:7]
	s_delay_alu instid0(VALU_DEP_2) | instskip(SKIP_3) | instid1(VALU_DEP_2)
	v_fma_f64 v[2:3], s[38:39], v[18:19], -v[2:3]
	s_wait_loadcnt 0x0
	v_mul_f64_e32 v[8:9], s[8:9], v[30:31]
	v_mul_f64_e32 v[10:11], s[6:7], v[30:31]
	v_fma_f64 v[8:9], s[6:7], v[28:29], -v[8:9]
	s_delay_alu instid0(VALU_DEP_2) | instskip(NEXT) | instid1(VALU_DEP_2)
	v_fma_f64 v[10:11], s[8:9], v[28:29], v[10:11]
	v_add_f64_e32 v[24:25], v[2:3], v[8:9]
	s_delay_alu instid0(VALU_DEP_2) | instskip(SKIP_4) | instid1(VALU_DEP_3)
	v_add_f64_e32 v[26:27], v[6:7], v[10:11]
	v_add_co_u32 v2, vcc_lo, v14, s18
	s_wait_alu 0xfffd
	v_add_co_ci_u32_e64 v3, null, s19, v15, vcc_lo
	v_mul_f64_e32 v[6:7], s[38:39], v[146:147]
	v_add_co_u32 v2, vcc_lo, v2, v0
	s_wait_alu 0xfffd
	s_delay_alu instid0(VALU_DEP_3) | instskip(SKIP_4) | instid1(VALU_DEP_2)
	v_add_co_ci_u32_e64 v3, null, v3, v1, vcc_lo
	global_store_b128 v[4:5], v[24:27], off offset:768
	global_load_b128 v[24:27], v[2:3], off
	v_mul_f64_e32 v[4:5], s[40:41], v[146:147]
	v_fma_f64 v[6:7], s[40:41], v[178:179], v[6:7]
	v_fma_f64 v[4:5], s[38:39], v[178:179], -v[4:5]
	s_wait_loadcnt 0x0
	v_mul_f64_e32 v[8:9], s[8:9], v[26:27]
	v_mul_f64_e32 v[10:11], s[6:7], v[26:27]
	s_delay_alu instid0(VALU_DEP_2) | instskip(NEXT) | instid1(VALU_DEP_2)
	v_fma_f64 v[8:9], s[6:7], v[24:25], -v[8:9]
	v_fma_f64 v[10:11], s[8:9], v[24:25], v[10:11]
	s_delay_alu instid0(VALU_DEP_2) | instskip(NEXT) | instid1(VALU_DEP_2)
	v_add_f64_e32 v[20:21], v[4:5], v[8:9]
	v_add_f64_e32 v[22:23], v[6:7], v[10:11]
	v_add_co_u32 v4, vcc_lo, v16, s22
	s_wait_alu 0xfffd
	v_add_co_ci_u32_e64 v5, null, s23, v17, vcc_lo
	v_mul_f64_e32 v[6:7], s[38:39], v[206:207]
	s_delay_alu instid0(VALU_DEP_3) | instskip(SKIP_1) | instid1(VALU_DEP_3)
	v_add_co_u32 v0, vcc_lo, v4, v0
	s_wait_alu 0xfffd
	v_add_co_ci_u32_e64 v1, null, v5, v1, vcc_lo
	v_mul_f64_e32 v[4:5], s[40:41], v[206:207]
	s_delay_alu instid0(VALU_DEP_3) | instskip(SKIP_1) | instid1(VALU_DEP_3)
	v_add_co_u32 v74, vcc_lo, 0x300, v0
	s_wait_alu 0xfffd
	v_add_co_ci_u32_e64 v75, null, 0, v1, vcc_lo
	global_store_b128 v[0:1], v[20:23], off
	global_load_b128 v[20:23], v[2:3], off offset:256
	v_fma_f64 v[6:7], s[40:41], v[254:255], v[6:7]
	v_fma_f64 v[4:5], s[38:39], v[254:255], -v[4:5]
	s_wait_loadcnt 0x0
	v_mul_f64_e32 v[8:9], s[8:9], v[22:23]
	v_mul_f64_e32 v[10:11], s[6:7], v[22:23]
	s_delay_alu instid0(VALU_DEP_2) | instskip(NEXT) | instid1(VALU_DEP_2)
	v_fma_f64 v[8:9], s[6:7], v[20:21], -v[8:9]
	v_fma_f64 v[10:11], s[8:9], v[20:21], v[10:11]
	s_delay_alu instid0(VALU_DEP_2) | instskip(NEXT) | instid1(VALU_DEP_2)
	v_add_f64_e32 v[16:17], v[4:5], v[8:9]
	v_add_f64_e32 v[18:19], v[6:7], v[10:11]
	v_mul_f64_e32 v[4:5], s[40:41], v[140:141]
	v_mul_f64_e32 v[6:7], s[38:39], v[140:141]
	global_store_b128 v[0:1], v[16:19], off offset:256
	global_load_b128 v[16:19], v[2:3], off offset:512
	v_fma_f64 v[4:5], s[38:39], v[144:145], -v[4:5]
	v_fma_f64 v[6:7], s[40:41], v[144:145], v[6:7]
	s_wait_loadcnt 0x0
	v_mul_f64_e32 v[8:9], s[8:9], v[18:19]
	v_mul_f64_e32 v[10:11], s[6:7], v[18:19]
	s_delay_alu instid0(VALU_DEP_2) | instskip(NEXT) | instid1(VALU_DEP_2)
	v_fma_f64 v[8:9], s[6:7], v[16:17], -v[8:9]
	v_fma_f64 v[10:11], s[8:9], v[16:17], v[10:11]
	s_delay_alu instid0(VALU_DEP_2) | instskip(NEXT) | instid1(VALU_DEP_2)
	v_add_f64_e32 v[12:13], v[4:5], v[8:9]
	v_add_f64_e32 v[14:15], v[6:7], v[10:11]
	v_mul_f64_e32 v[4:5], s[38:39], v[138:139]
	global_store_b128 v[0:1], v[12:15], off offset:512
	global_load_b128 v[12:15], v[2:3], off offset:768
	v_mul_f64_e32 v[2:3], s[40:41], v[138:139]
	v_fma_f64 v[4:5], s[40:41], v[136:137], v[4:5]
	s_delay_alu instid0(VALU_DEP_2) | instskip(SKIP_3) | instid1(VALU_DEP_2)
	v_fma_f64 v[2:3], s[38:39], v[136:137], -v[2:3]
	s_wait_loadcnt 0x0
	v_mul_f64_e32 v[6:7], s[8:9], v[14:15]
	v_mul_f64_e32 v[8:9], s[6:7], v[14:15]
	v_fma_f64 v[6:7], s[6:7], v[12:13], -v[6:7]
	s_delay_alu instid0(VALU_DEP_2) | instskip(NEXT) | instid1(VALU_DEP_2)
	v_fma_f64 v[8:9], s[8:9], v[12:13], v[8:9]
	v_add_f64_e32 v[2:3], v[2:3], v[6:7]
	s_delay_alu instid0(VALU_DEP_2)
	v_add_f64_e32 v[72:73], v[4:5], v[8:9]
	global_store_b64 v[0:1], v[2:3], off offset:768
	s_branch .LBB126_2
.LBB126_11:
	s_nop 0
	s_sendmsg sendmsg(MSG_DEALLOC_VGPRS)
	s_endpgm
	.section	.rodata,"a",@progbits
	.p2align	6, 0x0
	.amdhsa_kernel _ZN12_GLOBAL__N_127rocblas_gemm_batched_kernelI19rocblas_complex_numIdELi16ELi16ELi64ELi64ELi4ELi64ELi4ELi4ELi64ELc84ELc67EKS2_S3_S2_EEvlllT_PT11_llS6_llS4_PT12_llPT13_lli
		.amdhsa_group_segment_fixed_size 8192
		.amdhsa_private_segment_fixed_size 380
		.amdhsa_kernarg_size 156
		.amdhsa_user_sgpr_count 2
		.amdhsa_user_sgpr_dispatch_ptr 0
		.amdhsa_user_sgpr_queue_ptr 0
		.amdhsa_user_sgpr_kernarg_segment_ptr 1
		.amdhsa_user_sgpr_dispatch_id 0
		.amdhsa_user_sgpr_private_segment_size 0
		.amdhsa_wavefront_size32 1
		.amdhsa_uses_dynamic_stack 0
		.amdhsa_enable_private_segment 1
		.amdhsa_system_sgpr_workgroup_id_x 1
		.amdhsa_system_sgpr_workgroup_id_y 1
		.amdhsa_system_sgpr_workgroup_id_z 1
		.amdhsa_system_sgpr_workgroup_info 0
		.amdhsa_system_vgpr_workitem_id 1
		.amdhsa_next_free_vgpr 256
		.amdhsa_next_free_sgpr 52
		.amdhsa_reserve_vcc 1
		.amdhsa_float_round_mode_32 0
		.amdhsa_float_round_mode_16_64 0
		.amdhsa_float_denorm_mode_32 3
		.amdhsa_float_denorm_mode_16_64 3
		.amdhsa_fp16_overflow 0
		.amdhsa_workgroup_processor_mode 1
		.amdhsa_memory_ordered 1
		.amdhsa_forward_progress 1
		.amdhsa_inst_pref_size 68
		.amdhsa_round_robin_scheduling 0
		.amdhsa_exception_fp_ieee_invalid_op 0
		.amdhsa_exception_fp_denorm_src 0
		.amdhsa_exception_fp_ieee_div_zero 0
		.amdhsa_exception_fp_ieee_overflow 0
		.amdhsa_exception_fp_ieee_underflow 0
		.amdhsa_exception_fp_ieee_inexact 0
		.amdhsa_exception_int_div_zero 0
	.end_amdhsa_kernel
	.section	.text._ZN12_GLOBAL__N_127rocblas_gemm_batched_kernelI19rocblas_complex_numIdELi16ELi16ELi64ELi64ELi4ELi64ELi4ELi4ELi64ELc84ELc67EKS2_S3_S2_EEvlllT_PT11_llS6_llS4_PT12_llPT13_lli,"axG",@progbits,_ZN12_GLOBAL__N_127rocblas_gemm_batched_kernelI19rocblas_complex_numIdELi16ELi16ELi64ELi64ELi4ELi64ELi4ELi4ELi64ELc84ELc67EKS2_S3_S2_EEvlllT_PT11_llS6_llS4_PT12_llPT13_lli,comdat
.Lfunc_end126:
	.size	_ZN12_GLOBAL__N_127rocblas_gemm_batched_kernelI19rocblas_complex_numIdELi16ELi16ELi64ELi64ELi4ELi64ELi4ELi4ELi64ELc84ELc67EKS2_S3_S2_EEvlllT_PT11_llS6_llS4_PT12_llPT13_lli, .Lfunc_end126-_ZN12_GLOBAL__N_127rocblas_gemm_batched_kernelI19rocblas_complex_numIdELi16ELi16ELi64ELi64ELi4ELi64ELi4ELi4ELi64ELc84ELc67EKS2_S3_S2_EEvlllT_PT11_llS6_llS4_PT12_llPT13_lli
                                        ; -- End function
	.set _ZN12_GLOBAL__N_127rocblas_gemm_batched_kernelI19rocblas_complex_numIdELi16ELi16ELi64ELi64ELi4ELi64ELi4ELi4ELi64ELc84ELc67EKS2_S3_S2_EEvlllT_PT11_llS6_llS4_PT12_llPT13_lli.num_vgpr, 256
	.set _ZN12_GLOBAL__N_127rocblas_gemm_batched_kernelI19rocblas_complex_numIdELi16ELi16ELi64ELi64ELi4ELi64ELi4ELi4ELi64ELc84ELc67EKS2_S3_S2_EEvlllT_PT11_llS6_llS4_PT12_llPT13_lli.num_agpr, 0
	.set _ZN12_GLOBAL__N_127rocblas_gemm_batched_kernelI19rocblas_complex_numIdELi16ELi16ELi64ELi64ELi4ELi64ELi4ELi4ELi64ELc84ELc67EKS2_S3_S2_EEvlllT_PT11_llS6_llS4_PT12_llPT13_lli.numbered_sgpr, 52
	.set _ZN12_GLOBAL__N_127rocblas_gemm_batched_kernelI19rocblas_complex_numIdELi16ELi16ELi64ELi64ELi4ELi64ELi4ELi4ELi64ELc84ELc67EKS2_S3_S2_EEvlllT_PT11_llS6_llS4_PT12_llPT13_lli.num_named_barrier, 0
	.set _ZN12_GLOBAL__N_127rocblas_gemm_batched_kernelI19rocblas_complex_numIdELi16ELi16ELi64ELi64ELi4ELi64ELi4ELi4ELi64ELc84ELc67EKS2_S3_S2_EEvlllT_PT11_llS6_llS4_PT12_llPT13_lli.private_seg_size, 380
	.set _ZN12_GLOBAL__N_127rocblas_gemm_batched_kernelI19rocblas_complex_numIdELi16ELi16ELi64ELi64ELi4ELi64ELi4ELi4ELi64ELc84ELc67EKS2_S3_S2_EEvlllT_PT11_llS6_llS4_PT12_llPT13_lli.uses_vcc, 1
	.set _ZN12_GLOBAL__N_127rocblas_gemm_batched_kernelI19rocblas_complex_numIdELi16ELi16ELi64ELi64ELi4ELi64ELi4ELi4ELi64ELc84ELc67EKS2_S3_S2_EEvlllT_PT11_llS6_llS4_PT12_llPT13_lli.uses_flat_scratch, 1
	.set _ZN12_GLOBAL__N_127rocblas_gemm_batched_kernelI19rocblas_complex_numIdELi16ELi16ELi64ELi64ELi4ELi64ELi4ELi4ELi64ELc84ELc67EKS2_S3_S2_EEvlllT_PT11_llS6_llS4_PT12_llPT13_lli.has_dyn_sized_stack, 0
	.set _ZN12_GLOBAL__N_127rocblas_gemm_batched_kernelI19rocblas_complex_numIdELi16ELi16ELi64ELi64ELi4ELi64ELi4ELi4ELi64ELc84ELc67EKS2_S3_S2_EEvlllT_PT11_llS6_llS4_PT12_llPT13_lli.has_recursion, 0
	.set _ZN12_GLOBAL__N_127rocblas_gemm_batched_kernelI19rocblas_complex_numIdELi16ELi16ELi64ELi64ELi4ELi64ELi4ELi4ELi64ELc84ELc67EKS2_S3_S2_EEvlllT_PT11_llS6_llS4_PT12_llPT13_lli.has_indirect_call, 0
	.section	.AMDGPU.csdata,"",@progbits
; Kernel info:
; codeLenInByte = 8584
; TotalNumSgprs: 54
; NumVgprs: 256
; ScratchSize: 380
; MemoryBound: 0
; FloatMode: 240
; IeeeMode: 1
; LDSByteSize: 8192 bytes/workgroup (compile time only)
; SGPRBlocks: 0
; VGPRBlocks: 31
; NumSGPRsForWavesPerEU: 54
; NumVGPRsForWavesPerEU: 256
; Occupancy: 5
; WaveLimiterHint : 1
; COMPUTE_PGM_RSRC2:SCRATCH_EN: 1
; COMPUTE_PGM_RSRC2:USER_SGPR: 2
; COMPUTE_PGM_RSRC2:TRAP_HANDLER: 0
; COMPUTE_PGM_RSRC2:TGID_X_EN: 1
; COMPUTE_PGM_RSRC2:TGID_Y_EN: 1
; COMPUTE_PGM_RSRC2:TGID_Z_EN: 1
; COMPUTE_PGM_RSRC2:TIDIG_COMP_CNT: 1
	.section	.text._ZN12_GLOBAL__N_127rocblas_gemm_batched_kernelI19rocblas_complex_numIdELi16ELi16ELi32ELi32ELi8ELi32ELi8ELi8ELi32ELc78ELc78EKS2_S3_S2_EEvlllT_PT11_llS6_llS4_PT12_llPT13_lli,"axG",@progbits,_ZN12_GLOBAL__N_127rocblas_gemm_batched_kernelI19rocblas_complex_numIdELi16ELi16ELi32ELi32ELi8ELi32ELi8ELi8ELi32ELc78ELc78EKS2_S3_S2_EEvlllT_PT11_llS6_llS4_PT12_llPT13_lli,comdat
	.globl	_ZN12_GLOBAL__N_127rocblas_gemm_batched_kernelI19rocblas_complex_numIdELi16ELi16ELi32ELi32ELi8ELi32ELi8ELi8ELi32ELc78ELc78EKS2_S3_S2_EEvlllT_PT11_llS6_llS4_PT12_llPT13_lli ; -- Begin function _ZN12_GLOBAL__N_127rocblas_gemm_batched_kernelI19rocblas_complex_numIdELi16ELi16ELi32ELi32ELi8ELi32ELi8ELi8ELi32ELc78ELc78EKS2_S3_S2_EEvlllT_PT11_llS6_llS4_PT12_llPT13_lli
	.p2align	8
	.type	_ZN12_GLOBAL__N_127rocblas_gemm_batched_kernelI19rocblas_complex_numIdELi16ELi16ELi32ELi32ELi8ELi32ELi8ELi8ELi32ELc78ELc78EKS2_S3_S2_EEvlllT_PT11_llS6_llS4_PT12_llPT13_lli,@function
_ZN12_GLOBAL__N_127rocblas_gemm_batched_kernelI19rocblas_complex_numIdELi16ELi16ELi32ELi32ELi8ELi32ELi8ELi8ELi32ELc78ELc78EKS2_S3_S2_EEvlllT_PT11_llS6_llS4_PT12_llPT13_lli: ; @_ZN12_GLOBAL__N_127rocblas_gemm_batched_kernelI19rocblas_complex_numIdELi16ELi16ELi32ELi32ELi8ELi32ELi8ELi8ELi32ELc78ELc78EKS2_S3_S2_EEvlllT_PT11_llS6_llS4_PT12_llPT13_lli
; %bb.0:
	s_load_b32 s26, s[0:1], 0x98
	s_lshr_b32 s2, ttmp7, 16
	s_wait_kmcnt 0x0
	s_cmp_ge_i32 s2, s26
	s_cbranch_scc1 .LBB127_11
; %bb.1:
	v_and_b32_e32 v1, 0x3ff, v0
	v_bfe_u32 v2, v0, 10, 10
	s_clause 0x2
	s_load_b512 s[4:19], s[0:1], 0x50
	s_load_b512 s[36:51], s[0:1], 0x10
	s_load_b64 s[20:21], s[0:1], 0x90
	s_lshl_b32 s3, ttmp7, 5
	s_mov_b32 s22, ttmp9
	s_and_b32 s3, s3, 0x1fffe0
	v_lshl_add_u32 v3, v2, 4, v1
	v_lshl_add_u32 v29, v2, 7, 0x1000
	v_add_nc_u32_e32 v13, s3, v2
	s_ashr_i32 s23, ttmp9, 31
	s_delay_alu instid0(VALU_DEP_3) | instskip(SKIP_3) | instid1(VALU_DEP_3)
	v_and_b32_e32 v16, 31, v3
	v_lshrrev_b32_e32 v2, 3, v3
	v_lshrrev_b32_e32 v12, 5, v3
	s_lshl_b64 s[0:1], s[22:23], 5
	v_lshlrev_b32_e32 v8, 4, v16
	s_delay_alu instid0(VALU_DEP_3)
	v_add_nc_u32_e32 v14, s3, v2
	s_mov_b32 s3, 0
	s_wait_kmcnt 0x0
	v_mad_co_u64_u32 v[4:5], null, v13, s12, 0
	v_lshl_or_b32 v30, v12, 9, v8
	v_mad_co_u64_u32 v[8:9], null, s50, v14, 0
	v_lshlrev_b32_e32 v0, 4, v0
	v_mad_co_u64_u32 v[6:7], null, s44, v12, s[0:1]
	v_cmp_eq_f64_e64 s24, s[6:7], 0
	v_cmp_eq_f64_e64 s25, s[8:9], 0
	s_delay_alu instid0(VALU_DEP_4)
	v_and_b32_e32 v15, 0x70, v0
	v_add_co_u32 v0, s22, s0, v1
	v_cmp_gt_i64_e64 s0, s[36:37], 0
	s_lshl_b64 s[4:5], s[4:5], 4
	v_lshl_or_b32 v10, v2, 7, v15
	v_mad_co_u64_u32 v[2:3], null, v13, s18, 0
	s_delay_alu instid0(VALU_DEP_2) | instskip(SKIP_4) | instid1(VALU_DEP_3)
	v_add_nc_u32_e32 v31, 0x1000, v10
	v_mad_co_u64_u32 v[10:11], null, v13, s13, v[5:6]
	v_mov_b32_e32 v5, v9
	v_mad_co_u64_u32 v[11:12], null, s45, v12, v[7:8]
	v_mad_co_u64_u32 v[12:13], null, v13, s19, v[3:4]
	;; [unrolled: 1-line block ×3, first 2 shown]
	v_dual_mov_b32 v5, v10 :: v_dual_lshlrev_b32 v28, 4, v1
	v_add_co_ci_u32_e64 v1, null, s1, 0, s22
	s_delay_alu instid0(VALU_DEP_4) | instskip(SKIP_1) | instid1(VALU_DEP_1)
	v_mov_b32_e32 v3, v12
	v_add_co_u32 v6, vcc_lo, v6, v16
	v_add_co_ci_u32_e64 v7, null, 0, v11, vcc_lo
	v_mov_b32_e32 v9, v13
	v_lshlrev_b64_e32 v[4:5], 4, v[4:5]
	s_lshl_b64 s[22:23], s[18:19], 4
	s_delay_alu instid0(VALU_DEP_3)
	v_lshlrev_b64_e32 v[6:7], 4, v[6:7]
	s_lshl_b64 s[18:19], s[12:13], 4
	v_lshlrev_b64_e32 v[8:9], 4, v[8:9]
	s_lshl_b64 s[12:13], s[44:45], 7
	v_add_co_u32 v32, vcc_lo, s10, v4
	s_wait_alu 0xfffd
	v_add_co_ci_u32_e64 v33, null, s11, v5, vcc_lo
	v_add_co_u32 v4, vcc_lo, s42, v6
	s_wait_alu 0xfffd
	v_add_co_ci_u32_e64 v5, null, s43, v7, vcc_lo
	;; [unrolled: 3-line block ×3, first 2 shown]
	v_cndmask_b32_e64 v8, 0, 1, s0
	s_delay_alu instid0(VALU_DEP_3) | instskip(SKIP_1) | instid1(VALU_DEP_3)
	v_add_co_u32 v6, vcc_lo, s48, v6
	s_wait_alu 0xfffd
	v_add_co_ci_u32_e64 v7, null, s49, v7, vcc_lo
	s_delay_alu instid0(VALU_DEP_3)
	v_cmp_ne_u32_e64 s0, 1, v8
	s_and_b32 s1, s24, s25
	s_lshl_b64 s[10:11], s[46:47], 4
	s_wait_alu 0xfffe
	s_lshl_b64 s[18:19], s[18:19], 4
	s_lshl_b64 s[22:23], s[22:23], 4
	s_branch .LBB127_3
.LBB127_2:                              ;   in Loop: Header=BB127_3 Depth=1
	s_add_co_i32 s2, s2, 0x10000
	global_store_b64 v[10:11], v[8:9], off offset:8
	s_wait_alu 0xfffe
	s_cmp_lt_i32 s2, s26
	s_cbranch_scc0 .LBB127_11
.LBB127_3:                              ; =>This Loop Header: Depth=1
                                        ;     Child Loop BB127_5 Depth 2
	s_and_b32 vcc_lo, exec_lo, s0
	s_wait_alu 0xfffe
	s_cbranch_vccnz .LBB127_6
; %bb.4:                                ;   in Loop: Header=BB127_3 Depth=1
	v_mad_co_u64_u32 v[8:9], null, s10, s2, v[4:5]
	v_mad_co_u64_u32 v[10:11], null, s4, s2, v[6:7]
	v_mov_b32_e32 v14, 0
	v_dual_mov_b32 v15, 0 :: v_dual_mov_b32 v12, 0
	v_dual_mov_b32 v13, 0 :: v_dual_mov_b32 v18, 0
	v_mov_b32_e32 v22, 0
	v_mad_co_u64_u32 v[34:35], null, s11, s2, v[9:10]
	s_delay_alu instid0(VALU_DEP_4)
	v_mad_co_u64_u32 v[35:36], null, s5, s2, v[11:12]
	v_dual_mov_b32 v26, 0 :: v_dual_mov_b32 v19, 0
	v_dual_mov_b32 v16, 0 :: v_dual_mov_b32 v23, 0
	;; [unrolled: 1-line block ×4, first 2 shown]
	v_mov_b32_e32 v21, 0
	v_mov_b32_e32 v25, 0
	;; [unrolled: 1-line block ×4, first 2 shown]
	s_mov_b64 s[24:25], 0
.LBB127_5:                              ;   Parent Loop BB127_3 Depth=1
                                        ; =>  This Inner Loop Header: Depth=2
	global_load_b128 v[34:37], v[8:9], off
	global_load_b128 v[38:41], v[10:11], off
	s_wait_alu 0xfffe
	s_add_nc_u64 s[24:25], s[24:25], 8
	v_add_co_u32 v8, vcc_lo, v8, s12
	s_wait_alu 0xfffe
	v_cmp_lt_i64_e64 s27, s[24:25], s[36:37]
	s_wait_alu 0xfffd
	v_add_co_ci_u32_e64 v9, null, s13, v9, vcc_lo
	v_add_co_u32 v10, vcc_lo, 0x80, v10
	s_wait_alu 0xfffd
	v_add_co_ci_u32_e64 v11, null, 0, v11, vcc_lo
	s_and_b32 vcc_lo, exec_lo, s27
	s_wait_loadcnt 0x1
	ds_store_2addr_b64 v30, v[34:35], v[36:37] offset1:1
	s_wait_loadcnt 0x0
	ds_store_2addr_b64 v31, v[38:39], v[40:41] offset1:1
	s_wait_dscnt 0x0
	s_barrier_signal -1
	s_barrier_wait -1
	global_inv scope:SCOPE_SE
	ds_load_b128 v[34:37], v29
	ds_load_b128 v[38:41], v28
	ds_load_b128 v[42:45], v28 offset:256
	ds_load_b128 v[46:49], v29 offset:2048
	;; [unrolled: 1-line block ×13, first 2 shown]
	s_wait_dscnt 0xd
	v_mul_f64_e32 v[94:95], v[36:37], v[40:41]
	v_mul_f64_e32 v[96:97], v[34:35], v[40:41]
	s_wait_dscnt 0xc
	v_mul_f64_e32 v[98:99], v[36:37], v[44:45]
	v_mul_f64_e32 v[100:101], v[34:35], v[44:45]
	;; [unrolled: 3-line block ×3, first 2 shown]
	v_mul_f64_e32 v[104:105], v[48:49], v[44:45]
	v_mul_f64_e32 v[44:45], v[46:47], v[44:45]
	s_wait_dscnt 0x9
	v_mul_f64_e32 v[106:107], v[52:53], v[56:57]
	v_mul_f64_e32 v[108:109], v[50:51], v[56:57]
	s_wait_dscnt 0x7
	v_mul_f64_e32 v[110:111], v[52:53], v[64:65]
	v_mul_f64_e32 v[112:113], v[50:51], v[64:65]
	;; [unrolled: 1-line block ×6, first 2 shown]
	s_wait_dscnt 0x3
	v_mul_f64_e32 v[120:121], v[66:67], v[80:81]
	s_wait_dscnt 0x1
	v_mul_f64_e32 v[122:123], v[88:89], v[76:77]
	v_mul_f64_e32 v[124:125], v[88:89], v[80:81]
	v_fma_f64 v[94:95], v[34:35], v[38:39], -v[94:95]
	v_fma_f64 v[96:97], v[36:37], v[38:39], v[96:97]
	v_fma_f64 v[98:99], v[34:35], v[42:43], -v[98:99]
	v_fma_f64 v[100:101], v[36:37], v[42:43], v[100:101]
	;; [unrolled: 2-line block ×4, first 2 shown]
	v_mul_f64_e32 v[44:45], v[68:69], v[76:77]
	v_mul_f64_e32 v[48:49], v[66:67], v[76:77]
	;; [unrolled: 1-line block ×5, first 2 shown]
	v_fma_f64 v[106:107], v[50:51], v[54:55], -v[106:107]
	v_fma_f64 v[108:109], v[52:53], v[54:55], v[108:109]
	v_fma_f64 v[50:51], v[50:51], v[62:63], -v[110:111]
	v_fma_f64 v[52:53], v[52:53], v[62:63], v[112:113]
	;; [unrolled: 2-line block ×4, first 2 shown]
	ds_load_b128 v[34:37], v28 offset:1792
	ds_load_b128 v[38:41], v29 offset:64
	v_mul_f64_e32 v[64:65], v[72:73], v[84:85]
	v_add_f64_e32 v[24:25], v[24:25], v[94:95]
	v_add_f64_e32 v[26:27], v[96:97], v[26:27]
	;; [unrolled: 1-line block ×8, first 2 shown]
	v_mul_f64_e32 v[94:95], v[70:71], v[84:85]
	s_wait_dscnt 0x1
	v_mul_f64_e32 v[96:97], v[72:73], v[36:37]
	v_mul_f64_e32 v[98:99], v[70:71], v[36:37]
	;; [unrolled: 1-line block ×6, first 2 shown]
	v_fma_f64 v[112:113], v[66:67], v[74:75], -v[44:45]
	v_fma_f64 v[114:115], v[68:69], v[74:75], v[48:49]
	v_fma_f64 v[66:67], v[66:67], v[78:79], -v[104:105]
	v_fma_f64 v[68:69], v[68:69], v[78:79], v[120:121]
	;; [unrolled: 2-line block ×4, first 2 shown]
	ds_load_b128 v[12:15], v28 offset:2048
	ds_load_b128 v[16:19], v28 offset:2304
	v_fma_f64 v[64:65], v[70:71], v[82:83], -v[64:65]
	v_add_f64_e32 v[80:81], v[24:25], v[106:107]
	v_add_f64_e32 v[86:87], v[108:109], v[26:27]
	;; [unrolled: 1-line block ×8, first 2 shown]
	ds_load_b128 v[20:23], v29 offset:2112
	ds_load_b128 v[24:27], v29 offset:80
	;; [unrolled: 1-line block ×4, first 2 shown]
	s_wait_dscnt 0x5
	v_mul_f64_e32 v[62:63], v[40:41], v[14:15]
	v_mul_f64_e32 v[88:89], v[38:39], v[14:15]
	s_wait_dscnt 0x4
	v_mul_f64_e32 v[106:107], v[40:41], v[18:19]
	v_mul_f64_e32 v[108:109], v[38:39], v[18:19]
	v_fma_f64 v[94:95], v[72:73], v[82:83], v[94:95]
	v_fma_f64 v[70:71], v[70:71], v[34:35], -v[96:97]
	v_fma_f64 v[72:73], v[72:73], v[34:35], v[98:99]
	v_fma_f64 v[96:97], v[90:91], v[82:83], -v[100:101]
	;; [unrolled: 2-line block ×3, first 2 shown]
	v_fma_f64 v[90:91], v[92:93], v[34:35], v[36:37]
	s_wait_dscnt 0x3
	v_mul_f64_e32 v[110:111], v[22:23], v[14:15]
	v_mul_f64_e32 v[14:15], v[20:21], v[14:15]
	;; [unrolled: 1-line block ×4, first 2 shown]
	s_wait_dscnt 0x1
	v_mul_f64_e32 v[98:99], v[26:27], v[44:45]
	v_mul_f64_e32 v[100:101], v[24:25], v[44:45]
	v_add_f64_e32 v[80:81], v[80:81], v[112:113]
	v_add_f64_e32 v[86:87], v[114:115], v[86:87]
	;; [unrolled: 1-line block ×8, first 2 shown]
	ds_load_b128 v[34:37], v28 offset:2816
	ds_load_b128 v[50:53], v29 offset:96
	;; [unrolled: 1-line block ×4, first 2 shown]
	s_wait_dscnt 0x4
	v_mul_f64_e32 v[112:113], v[48:49], v[44:45]
	v_mul_f64_e32 v[44:45], v[46:47], v[44:45]
	v_fma_f64 v[62:63], v[38:39], v[12:13], -v[62:63]
	v_fma_f64 v[88:89], v[40:41], v[12:13], v[88:89]
	v_fma_f64 v[106:107], v[38:39], v[16:17], -v[106:107]
	v_fma_f64 v[40:41], v[40:41], v[16:17], v[108:109]
	s_wait_dscnt 0x3
	v_mul_f64_e32 v[102:103], v[26:27], v[36:37]
	v_mul_f64_e32 v[104:105], v[24:25], v[36:37]
	;; [unrolled: 1-line block ×4, first 2 shown]
	v_fma_f64 v[108:109], v[20:21], v[12:13], -v[110:111]
	v_fma_f64 v[110:111], v[22:23], v[12:13], v[14:15]
	v_fma_f64 v[116:117], v[20:21], v[16:17], -v[116:117]
	v_fma_f64 v[120:121], v[22:23], v[16:17], v[18:19]
	ds_load_b128 v[12:15], v29 offset:2144
	ds_load_b128 v[16:19], v29 offset:112
	;; [unrolled: 1-line block ×4, first 2 shown]
	v_add_f64_e32 v[64:65], v[80:81], v[64:65]
	v_add_f64_e32 v[80:81], v[94:95], v[86:87]
	;; [unrolled: 1-line block ×8, first 2 shown]
	s_wait_dscnt 0x5
	v_mul_f64_e32 v[78:79], v[52:53], v[56:57]
	v_mul_f64_e32 v[82:83], v[50:51], v[56:57]
	s_wait_dscnt 0x4
	v_mul_f64_e32 v[84:85], v[52:53], v[60:61]
	v_mul_f64_e32 v[86:87], v[50:51], v[60:61]
	;; [unrolled: 3-line block ×3, first 2 shown]
	v_mul_f64_e32 v[92:93], v[14:15], v[60:61]
	v_mul_f64_e32 v[60:61], v[12:13], v[60:61]
	v_fma_f64 v[94:95], v[24:25], v[42:43], -v[98:99]
	v_fma_f64 v[96:97], v[26:27], v[42:43], v[100:101]
	v_fma_f64 v[98:99], v[24:25], v[34:35], -v[102:103]
	v_fma_f64 v[100:101], v[26:27], v[34:35], v[104:105]
	;; [unrolled: 2-line block ×4, first 2 shown]
	ds_load_b128 v[24:27], v28 offset:3840
	s_wait_loadcnt_dscnt 0x0
	s_barrier_signal -1
	s_barrier_wait -1
	global_inv scope:SCOPE_SE
	v_add_f64_e32 v[46:47], v[64:65], v[62:63]
	v_add_f64_e32 v[48:49], v[88:89], v[80:81]
	;; [unrolled: 1-line block ×8, first 2 shown]
	v_mul_f64_e32 v[72:73], v[18:19], v[22:23]
	v_mul_f64_e32 v[74:75], v[16:17], v[22:23]
	;; [unrolled: 1-line block ×4, first 2 shown]
	v_fma_f64 v[78:79], v[50:51], v[54:55], -v[78:79]
	v_mul_f64_e32 v[76:77], v[18:19], v[26:27]
	v_mul_f64_e32 v[80:81], v[16:17], v[26:27]
	;; [unrolled: 1-line block ×4, first 2 shown]
	v_fma_f64 v[82:83], v[52:53], v[54:55], v[82:83]
	v_fma_f64 v[50:51], v[50:51], v[58:59], -v[84:85]
	v_fma_f64 v[52:53], v[52:53], v[58:59], v[86:87]
	v_fma_f64 v[84:85], v[12:13], v[54:55], -v[90:91]
	;; [unrolled: 2-line block ×3, first 2 shown]
	v_fma_f64 v[14:15], v[14:15], v[58:59], v[60:61]
	v_add_f64_e32 v[46:47], v[46:47], v[94:95]
	v_add_f64_e32 v[48:49], v[96:97], v[48:49]
	v_add_f64_e32 v[56:57], v[62:63], v[98:99]
	v_add_f64_e32 v[40:41], v[100:101], v[40:41]
	v_add_f64_e32 v[58:59], v[64:65], v[102:103]
	v_add_f64_e32 v[42:43], v[42:43], v[66:67]
	v_add_f64_e32 v[44:45], v[68:69], v[44:45]
	v_add_f64_e32 v[34:35], v[34:35], v[70:71]
	v_fma_f64 v[60:61], v[16:17], v[20:21], -v[72:73]
	v_fma_f64 v[62:63], v[18:19], v[20:21], v[74:75]
	v_fma_f64 v[64:65], v[36:37], v[20:21], -v[88:89]
	v_fma_f64 v[66:67], v[38:39], v[20:21], v[22:23]
	;; [unrolled: 2-line block ×4, first 2 shown]
	v_add_f64_e32 v[20:21], v[46:47], v[78:79]
	v_add_f64_e32 v[22:23], v[82:83], v[48:49]
	;; [unrolled: 1-line block ×16, first 2 shown]
	s_wait_alu 0xfffe
	s_cbranch_vccnz .LBB127_5
	s_branch .LBB127_7
.LBB127_6:                              ;   in Loop: Header=BB127_3 Depth=1
	v_mov_b32_e32 v24, 0
	v_mov_b32_e32 v20, 0
	;; [unrolled: 1-line block ×3, first 2 shown]
	v_dual_mov_b32 v12, 0 :: v_dual_mov_b32 v25, 0
	v_dual_mov_b32 v26, 0 :: v_dual_mov_b32 v21, 0
	;; [unrolled: 1-line block ×5, first 2 shown]
	v_mov_b32_e32 v23, 0
	v_mov_b32_e32 v19, 0
	;; [unrolled: 1-line block ×3, first 2 shown]
.LBB127_7:                              ;   in Loop: Header=BB127_3 Depth=1
	s_mul_u64 s[24:25], s[20:21], s[2:3]
	s_and_not1_b32 vcc_lo, exec_lo, s1
	s_wait_alu 0xfffe
	s_lshl_b64 s[24:25], s[24:25], 4
	s_mov_b32 s27, -1
	s_wait_alu 0xfffe
	s_add_nc_u64 s[24:25], s[16:17], s[24:25]
                                        ; implicit-def: $vgpr8_vgpr9
                                        ; implicit-def: $vgpr10_vgpr11
	s_cbranch_vccz .LBB127_9
; %bb.8:                                ;   in Loop: Header=BB127_3 Depth=1
	s_and_not1_b32 vcc_lo, exec_lo, s27
	s_wait_alu 0xfffe
	s_cbranch_vccnz .LBB127_2
	s_branch .LBB127_10
.LBB127_9:                              ;   in Loop: Header=BB127_3 Depth=1
	v_mul_f64_e32 v[8:9], s[40:41], v[26:27]
	v_mul_f64_e32 v[10:11], s[38:39], v[26:27]
	s_delay_alu instid0(VALU_DEP_3)
	v_mul_f64_e32 v[48:49], s[38:39], v[14:15]
	v_mul_f64_e32 v[38:39], s[40:41], v[22:23]
	;; [unrolled: 1-line block ×6, first 2 shown]
	v_fma_f64 v[34:35], s[38:39], v[24:25], -v[8:9]
	v_fma_f64 v[36:37], s[40:41], v[24:25], v[10:11]
	v_fma_f64 v[8:9], s[40:41], v[12:13], v[48:49]
	v_fma_f64 v[38:39], s[38:39], v[20:21], -v[38:39]
	v_fma_f64 v[40:41], s[40:41], v[20:21], v[40:41]
	v_fma_f64 v[42:43], s[38:39], v[16:17], -v[42:43]
	v_fma_f64 v[44:45], s[40:41], v[16:17], v[44:45]
	v_fma_f64 v[46:47], s[38:39], v[12:13], -v[46:47]
	v_lshlrev_b64_e32 v[10:11], 4, v[2:3]
	s_wait_alu 0xfffe
	s_delay_alu instid0(VALU_DEP_1) | instskip(SKIP_1) | instid1(VALU_DEP_2)
	v_add_co_u32 v50, vcc_lo, s24, v10
	s_wait_alu 0xfffd
	v_add_co_ci_u32_e64 v51, null, s25, v11, vcc_lo
	v_lshlrev_b64_e32 v[10:11], 4, v[0:1]
	s_delay_alu instid0(VALU_DEP_3) | instskip(SKIP_1) | instid1(VALU_DEP_3)
	v_add_co_u32 v48, vcc_lo, v50, s22
	s_wait_alu 0xfffd
	v_add_co_ci_u32_e64 v49, null, s23, v51, vcc_lo
	s_delay_alu instid0(VALU_DEP_2) | instskip(SKIP_1) | instid1(VALU_DEP_2)
	v_add_co_u32 v48, vcc_lo, v48, v10
	s_wait_alu 0xfffd
	v_add_co_ci_u32_e64 v49, null, v49, v11, vcc_lo
	v_add_co_u32 v50, vcc_lo, v50, v10
	s_wait_alu 0xfffd
	v_add_co_ci_u32_e64 v51, null, v51, v11, vcc_lo
	;; [unrolled: 3-line block ×3, first 2 shown]
	s_clause 0x3
	global_store_b128 v[50:51], v[34:37], off
	global_store_b128 v[50:51], v[38:41], off offset:256
	global_store_b128 v[48:49], v[42:45], off
	global_store_b64 v[48:49], v[46:47], off offset:256
	s_cbranch_execnz .LBB127_2
.LBB127_10:                             ;   in Loop: Header=BB127_3 Depth=1
	s_mul_u64 s[28:29], s[14:15], s[2:3]
	v_lshlrev_b64_e32 v[34:35], 4, v[0:1]
	s_wait_alu 0xfffe
	s_lshl_b64 s[28:29], s[28:29], 4
	v_mul_f64_e32 v[38:39], s[40:41], v[26:27]
	s_wait_alu 0xfffe
	v_add_co_u32 v42, vcc_lo, v32, s28
	s_wait_alu 0xfffd
	v_add_co_ci_u32_e64 v43, null, s29, v33, vcc_lo
	v_mul_f64_e32 v[26:27], s[38:39], v[26:27]
	s_delay_alu instid0(VALU_DEP_3) | instskip(SKIP_1) | instid1(VALU_DEP_3)
	v_add_co_u32 v36, vcc_lo, v42, v34
	s_wait_alu 0xfffd
	v_add_co_ci_u32_e64 v37, null, v43, v35, vcc_lo
	global_load_b128 v[8:11], v[36:37], off
	v_fma_f64 v[38:39], s[38:39], v[24:25], -v[38:39]
	v_fma_f64 v[24:25], s[40:41], v[24:25], v[26:27]
	s_wait_loadcnt 0x0
	v_mul_f64_e32 v[40:41], s[8:9], v[10:11]
	v_mul_f64_e32 v[10:11], s[6:7], v[10:11]
	s_delay_alu instid0(VALU_DEP_2) | instskip(NEXT) | instid1(VALU_DEP_2)
	v_fma_f64 v[26:27], s[6:7], v[8:9], -v[40:41]
	v_fma_f64 v[10:11], s[8:9], v[8:9], v[10:11]
	s_delay_alu instid0(VALU_DEP_2) | instskip(NEXT) | instid1(VALU_DEP_2)
	v_add_f64_e32 v[8:9], v[38:39], v[26:27]
	v_add_f64_e32 v[10:11], v[24:25], v[10:11]
	v_lshlrev_b64_e32 v[24:25], 4, v[2:3]
	v_mul_f64_e32 v[26:27], s[40:41], v[22:23]
	v_mul_f64_e32 v[22:23], s[38:39], v[22:23]
	s_delay_alu instid0(VALU_DEP_3) | instskip(SKIP_1) | instid1(VALU_DEP_4)
	v_add_co_u32 v38, vcc_lo, s24, v24
	s_wait_alu 0xfffd
	v_add_co_ci_u32_e64 v39, null, s25, v25, vcc_lo
	s_delay_alu instid0(VALU_DEP_2) | instskip(SKIP_1) | instid1(VALU_DEP_2)
	v_add_co_u32 v24, vcc_lo, v38, v34
	s_wait_alu 0xfffd
	v_add_co_ci_u32_e64 v25, null, v39, v35, vcc_lo
	global_store_b128 v[24:25], v[8:11], off
	global_load_b128 v[8:11], v[36:37], off offset:256
	v_fma_f64 v[26:27], s[38:39], v[20:21], -v[26:27]
	v_fma_f64 v[20:21], s[40:41], v[20:21], v[22:23]
	s_wait_loadcnt 0x0
	v_mul_f64_e32 v[36:37], s[8:9], v[10:11]
	v_mul_f64_e32 v[10:11], s[6:7], v[10:11]
	s_delay_alu instid0(VALU_DEP_2) | instskip(NEXT) | instid1(VALU_DEP_2)
	v_fma_f64 v[22:23], s[6:7], v[8:9], -v[36:37]
	v_fma_f64 v[10:11], s[8:9], v[8:9], v[10:11]
	s_delay_alu instid0(VALU_DEP_2) | instskip(NEXT) | instid1(VALU_DEP_2)
	v_add_f64_e32 v[8:9], v[26:27], v[22:23]
	v_add_f64_e32 v[10:11], v[20:21], v[10:11]
	v_add_co_u32 v20, vcc_lo, v42, s18
	s_wait_alu 0xfffd
	v_add_co_ci_u32_e64 v21, null, s19, v43, vcc_lo
	v_mul_f64_e32 v[22:23], s[40:41], v[18:19]
	s_delay_alu instid0(VALU_DEP_3) | instskip(SKIP_1) | instid1(VALU_DEP_3)
	v_add_co_u32 v20, vcc_lo, v20, v34
	s_wait_alu 0xfffd
	v_add_co_ci_u32_e64 v21, null, v21, v35, vcc_lo
	v_mul_f64_e32 v[18:19], s[38:39], v[18:19]
	global_store_b128 v[24:25], v[8:11], off offset:256
	global_load_b128 v[8:11], v[20:21], off
	v_fma_f64 v[22:23], s[38:39], v[16:17], -v[22:23]
	v_fma_f64 v[16:17], s[40:41], v[16:17], v[18:19]
	s_wait_loadcnt 0x0
	v_mul_f64_e32 v[24:25], s[8:9], v[10:11]
	v_mul_f64_e32 v[10:11], s[6:7], v[10:11]
	s_delay_alu instid0(VALU_DEP_2) | instskip(NEXT) | instid1(VALU_DEP_2)
	v_fma_f64 v[18:19], s[6:7], v[8:9], -v[24:25]
	v_fma_f64 v[10:11], s[8:9], v[8:9], v[10:11]
	s_delay_alu instid0(VALU_DEP_2) | instskip(NEXT) | instid1(VALU_DEP_2)
	v_add_f64_e32 v[8:9], v[22:23], v[18:19]
	v_add_f64_e32 v[10:11], v[16:17], v[10:11]
	v_add_co_u32 v16, vcc_lo, v38, s22
	s_wait_alu 0xfffd
	v_add_co_ci_u32_e64 v17, null, s23, v39, vcc_lo
	v_mul_f64_e32 v[18:19], s[40:41], v[14:15]
	s_delay_alu instid0(VALU_DEP_3) | instskip(SKIP_1) | instid1(VALU_DEP_3)
	v_add_co_u32 v16, vcc_lo, v16, v34
	s_wait_alu 0xfffd
	v_add_co_ci_u32_e64 v17, null, v17, v35, vcc_lo
	v_mul_f64_e32 v[14:15], s[38:39], v[14:15]
	global_store_b128 v[16:17], v[8:11], off
	global_load_b128 v[8:11], v[20:21], off offset:256
	v_fma_f64 v[18:19], s[38:39], v[12:13], -v[18:19]
	v_fma_f64 v[12:13], s[40:41], v[12:13], v[14:15]
	s_wait_loadcnt 0x0
	v_mul_f64_e32 v[20:21], s[8:9], v[10:11]
	v_mul_f64_e32 v[10:11], s[6:7], v[10:11]
	s_delay_alu instid0(VALU_DEP_2) | instskip(NEXT) | instid1(VALU_DEP_2)
	v_fma_f64 v[14:15], s[6:7], v[8:9], -v[20:21]
	v_fma_f64 v[8:9], s[8:9], v[8:9], v[10:11]
	v_add_co_u32 v10, vcc_lo, 0x100, v16
	s_wait_alu 0xfffd
	v_add_co_ci_u32_e64 v11, null, 0, v17, vcc_lo
	s_delay_alu instid0(VALU_DEP_4) | instskip(NEXT) | instid1(VALU_DEP_4)
	v_add_f64_e32 v[14:15], v[18:19], v[14:15]
	v_add_f64_e32 v[8:9], v[12:13], v[8:9]
	global_store_b64 v[16:17], v[14:15], off offset:256
	s_branch .LBB127_2
.LBB127_11:
	s_nop 0
	s_sendmsg sendmsg(MSG_DEALLOC_VGPRS)
	s_endpgm
	.section	.rodata,"a",@progbits
	.p2align	6, 0x0
	.amdhsa_kernel _ZN12_GLOBAL__N_127rocblas_gemm_batched_kernelI19rocblas_complex_numIdELi16ELi16ELi32ELi32ELi8ELi32ELi8ELi8ELi32ELc78ELc78EKS2_S3_S2_EEvlllT_PT11_llS6_llS4_PT12_llPT13_lli
		.amdhsa_group_segment_fixed_size 8192
		.amdhsa_private_segment_fixed_size 0
		.amdhsa_kernarg_size 156
		.amdhsa_user_sgpr_count 2
		.amdhsa_user_sgpr_dispatch_ptr 0
		.amdhsa_user_sgpr_queue_ptr 0
		.amdhsa_user_sgpr_kernarg_segment_ptr 1
		.amdhsa_user_sgpr_dispatch_id 0
		.amdhsa_user_sgpr_private_segment_size 0
		.amdhsa_wavefront_size32 1
		.amdhsa_uses_dynamic_stack 0
		.amdhsa_enable_private_segment 0
		.amdhsa_system_sgpr_workgroup_id_x 1
		.amdhsa_system_sgpr_workgroup_id_y 1
		.amdhsa_system_sgpr_workgroup_id_z 1
		.amdhsa_system_sgpr_workgroup_info 0
		.amdhsa_system_vgpr_workitem_id 1
		.amdhsa_next_free_vgpr 126
		.amdhsa_next_free_sgpr 52
		.amdhsa_reserve_vcc 1
		.amdhsa_float_round_mode_32 0
		.amdhsa_float_round_mode_16_64 0
		.amdhsa_float_denorm_mode_32 3
		.amdhsa_float_denorm_mode_16_64 3
		.amdhsa_fp16_overflow 0
		.amdhsa_workgroup_processor_mode 1
		.amdhsa_memory_ordered 1
		.amdhsa_forward_progress 1
		.amdhsa_inst_pref_size 25
		.amdhsa_round_robin_scheduling 0
		.amdhsa_exception_fp_ieee_invalid_op 0
		.amdhsa_exception_fp_denorm_src 0
		.amdhsa_exception_fp_ieee_div_zero 0
		.amdhsa_exception_fp_ieee_overflow 0
		.amdhsa_exception_fp_ieee_underflow 0
		.amdhsa_exception_fp_ieee_inexact 0
		.amdhsa_exception_int_div_zero 0
	.end_amdhsa_kernel
	.section	.text._ZN12_GLOBAL__N_127rocblas_gemm_batched_kernelI19rocblas_complex_numIdELi16ELi16ELi32ELi32ELi8ELi32ELi8ELi8ELi32ELc78ELc78EKS2_S3_S2_EEvlllT_PT11_llS6_llS4_PT12_llPT13_lli,"axG",@progbits,_ZN12_GLOBAL__N_127rocblas_gemm_batched_kernelI19rocblas_complex_numIdELi16ELi16ELi32ELi32ELi8ELi32ELi8ELi8ELi32ELc78ELc78EKS2_S3_S2_EEvlllT_PT11_llS6_llS4_PT12_llPT13_lli,comdat
.Lfunc_end127:
	.size	_ZN12_GLOBAL__N_127rocblas_gemm_batched_kernelI19rocblas_complex_numIdELi16ELi16ELi32ELi32ELi8ELi32ELi8ELi8ELi32ELc78ELc78EKS2_S3_S2_EEvlllT_PT11_llS6_llS4_PT12_llPT13_lli, .Lfunc_end127-_ZN12_GLOBAL__N_127rocblas_gemm_batched_kernelI19rocblas_complex_numIdELi16ELi16ELi32ELi32ELi8ELi32ELi8ELi8ELi32ELc78ELc78EKS2_S3_S2_EEvlllT_PT11_llS6_llS4_PT12_llPT13_lli
                                        ; -- End function
	.set _ZN12_GLOBAL__N_127rocblas_gemm_batched_kernelI19rocblas_complex_numIdELi16ELi16ELi32ELi32ELi8ELi32ELi8ELi8ELi32ELc78ELc78EKS2_S3_S2_EEvlllT_PT11_llS6_llS4_PT12_llPT13_lli.num_vgpr, 126
	.set _ZN12_GLOBAL__N_127rocblas_gemm_batched_kernelI19rocblas_complex_numIdELi16ELi16ELi32ELi32ELi8ELi32ELi8ELi8ELi32ELc78ELc78EKS2_S3_S2_EEvlllT_PT11_llS6_llS4_PT12_llPT13_lli.num_agpr, 0
	.set _ZN12_GLOBAL__N_127rocblas_gemm_batched_kernelI19rocblas_complex_numIdELi16ELi16ELi32ELi32ELi8ELi32ELi8ELi8ELi32ELc78ELc78EKS2_S3_S2_EEvlllT_PT11_llS6_llS4_PT12_llPT13_lli.numbered_sgpr, 52
	.set _ZN12_GLOBAL__N_127rocblas_gemm_batched_kernelI19rocblas_complex_numIdELi16ELi16ELi32ELi32ELi8ELi32ELi8ELi8ELi32ELc78ELc78EKS2_S3_S2_EEvlllT_PT11_llS6_llS4_PT12_llPT13_lli.num_named_barrier, 0
	.set _ZN12_GLOBAL__N_127rocblas_gemm_batched_kernelI19rocblas_complex_numIdELi16ELi16ELi32ELi32ELi8ELi32ELi8ELi8ELi32ELc78ELc78EKS2_S3_S2_EEvlllT_PT11_llS6_llS4_PT12_llPT13_lli.private_seg_size, 0
	.set _ZN12_GLOBAL__N_127rocblas_gemm_batched_kernelI19rocblas_complex_numIdELi16ELi16ELi32ELi32ELi8ELi32ELi8ELi8ELi32ELc78ELc78EKS2_S3_S2_EEvlllT_PT11_llS6_llS4_PT12_llPT13_lli.uses_vcc, 1
	.set _ZN12_GLOBAL__N_127rocblas_gemm_batched_kernelI19rocblas_complex_numIdELi16ELi16ELi32ELi32ELi8ELi32ELi8ELi8ELi32ELc78ELc78EKS2_S3_S2_EEvlllT_PT11_llS6_llS4_PT12_llPT13_lli.uses_flat_scratch, 0
	.set _ZN12_GLOBAL__N_127rocblas_gemm_batched_kernelI19rocblas_complex_numIdELi16ELi16ELi32ELi32ELi8ELi32ELi8ELi8ELi32ELc78ELc78EKS2_S3_S2_EEvlllT_PT11_llS6_llS4_PT12_llPT13_lli.has_dyn_sized_stack, 0
	.set _ZN12_GLOBAL__N_127rocblas_gemm_batched_kernelI19rocblas_complex_numIdELi16ELi16ELi32ELi32ELi8ELi32ELi8ELi8ELi32ELc78ELc78EKS2_S3_S2_EEvlllT_PT11_llS6_llS4_PT12_llPT13_lli.has_recursion, 0
	.set _ZN12_GLOBAL__N_127rocblas_gemm_batched_kernelI19rocblas_complex_numIdELi16ELi16ELi32ELi32ELi8ELi32ELi8ELi8ELi32ELc78ELc78EKS2_S3_S2_EEvlllT_PT11_llS6_llS4_PT12_llPT13_lli.has_indirect_call, 0
	.section	.AMDGPU.csdata,"",@progbits
; Kernel info:
; codeLenInByte = 3188
; TotalNumSgprs: 54
; NumVgprs: 126
; ScratchSize: 0
; MemoryBound: 0
; FloatMode: 240
; IeeeMode: 1
; LDSByteSize: 8192 bytes/workgroup (compile time only)
; SGPRBlocks: 0
; VGPRBlocks: 15
; NumSGPRsForWavesPerEU: 54
; NumVGPRsForWavesPerEU: 126
; Occupancy: 10
; WaveLimiterHint : 1
; COMPUTE_PGM_RSRC2:SCRATCH_EN: 0
; COMPUTE_PGM_RSRC2:USER_SGPR: 2
; COMPUTE_PGM_RSRC2:TRAP_HANDLER: 0
; COMPUTE_PGM_RSRC2:TGID_X_EN: 1
; COMPUTE_PGM_RSRC2:TGID_Y_EN: 1
; COMPUTE_PGM_RSRC2:TGID_Z_EN: 1
; COMPUTE_PGM_RSRC2:TIDIG_COMP_CNT: 1
	.section	.text._ZN12_GLOBAL__N_127rocblas_gemm_batched_kernelI19rocblas_complex_numIdELi16ELi16ELi32ELi32ELi8ELi32ELi8ELi8ELi32ELc84ELc78EKS2_S3_S2_EEvlllT_PT11_llS6_llS4_PT12_llPT13_lli,"axG",@progbits,_ZN12_GLOBAL__N_127rocblas_gemm_batched_kernelI19rocblas_complex_numIdELi16ELi16ELi32ELi32ELi8ELi32ELi8ELi8ELi32ELc84ELc78EKS2_S3_S2_EEvlllT_PT11_llS6_llS4_PT12_llPT13_lli,comdat
	.globl	_ZN12_GLOBAL__N_127rocblas_gemm_batched_kernelI19rocblas_complex_numIdELi16ELi16ELi32ELi32ELi8ELi32ELi8ELi8ELi32ELc84ELc78EKS2_S3_S2_EEvlllT_PT11_llS6_llS4_PT12_llPT13_lli ; -- Begin function _ZN12_GLOBAL__N_127rocblas_gemm_batched_kernelI19rocblas_complex_numIdELi16ELi16ELi32ELi32ELi8ELi32ELi8ELi8ELi32ELc84ELc78EKS2_S3_S2_EEvlllT_PT11_llS6_llS4_PT12_llPT13_lli
	.p2align	8
	.type	_ZN12_GLOBAL__N_127rocblas_gemm_batched_kernelI19rocblas_complex_numIdELi16ELi16ELi32ELi32ELi8ELi32ELi8ELi8ELi32ELc84ELc78EKS2_S3_S2_EEvlllT_PT11_llS6_llS4_PT12_llPT13_lli,@function
_ZN12_GLOBAL__N_127rocblas_gemm_batched_kernelI19rocblas_complex_numIdELi16ELi16ELi32ELi32ELi8ELi32ELi8ELi8ELi32ELc84ELc78EKS2_S3_S2_EEvlllT_PT11_llS6_llS4_PT12_llPT13_lli: ; @_ZN12_GLOBAL__N_127rocblas_gemm_batched_kernelI19rocblas_complex_numIdELi16ELi16ELi32ELi32ELi8ELi32ELi8ELi8ELi32ELc84ELc78EKS2_S3_S2_EEvlllT_PT11_llS6_llS4_PT12_llPT13_lli
; %bb.0:
	s_load_b32 s24, s[0:1], 0x98
	s_lshr_b32 s2, ttmp7, 16
	s_wait_kmcnt 0x0
	s_cmp_ge_i32 s2, s24
	s_cbranch_scc1 .LBB128_11
; %bb.1:
	s_clause 0x2
	s_load_b512 s[4:19], s[0:1], 0x50
	s_load_b512 s[36:51], s[0:1], 0x10
	s_load_b64 s[20:21], s[0:1], 0x90
	v_and_b32_e32 v1, 0x3ff, v0
	v_bfe_u32 v2, v0, 10, 10
	s_lshl_b32 s3, ttmp7, 5
	v_lshlrev_b32_e32 v0, 4, v0
	s_and_b32 s3, s3, 0x1fffe0
	s_mov_b32 s22, ttmp9
	v_lshl_add_u32 v3, v2, 4, v1
	v_add_nc_u32_e32 v10, s3, v2
	v_lshl_add_u32 v29, v2, 7, 0x1000
	v_and_b32_e32 v13, 0x70, v0
	s_ashr_i32 s23, ttmp9, 31
	v_and_b32_e32 v2, 31, v3
	v_lshrrev_b32_e32 v6, 3, v3
	v_lshrrev_b32_e32 v3, 5, v3
	s_lshl_b64 s[0:1], s[22:23], 5
	s_delay_alu instid0(VALU_DEP_3)
	v_lshlrev_b32_e32 v7, 4, v2
	s_wait_kmcnt 0x0
	v_mad_co_u64_u32 v[4:5], null, v10, s12, 0
	v_add_nc_u32_e32 v12, s3, v6
	v_lshl_or_b32 v8, v6, 7, v13
	v_or_b32_e32 v9, s0, v2
	v_lshlrev_b32_e32 v14, 4, v3
	v_lshl_or_b32 v30, v3, 9, v7
	v_mad_co_u64_u32 v[2:3], null, v10, s18, 0
	v_mad_co_u64_u32 v[5:6], null, v10, s13, v[5:6]
	v_mad_co_u64_u32 v[6:7], null, s50, v12, 0
	v_cmp_eq_f64_e64 s25, s[6:7], 0
	v_cmp_eq_f64_e64 s26, s[8:9], 0
	v_add_nc_u32_e32 v31, 0x1000, v8
	v_mul_lo_u32 v15, s45, v9
	v_mad_co_u64_u32 v[8:9], null, s44, v9, 0
	v_mad_co_u64_u32 v[10:11], null, v10, s19, v[3:4]
	v_lshlrev_b64_e32 v[4:5], 4, v[4:5]
	v_mov_b32_e32 v3, v7
	v_add_co_u32 v0, s22, s0, v1
	s_mul_i32 s0, s44, s1
	v_lshlrev_b32_e32 v28, 4, v1
	v_mad_co_u64_u32 v[11:12], null, s51, v12, v[3:4]
	s_wait_alu 0xfffe
	v_add3_u32 v9, v9, s0, v15
	v_add_co_u32 v32, vcc_lo, s10, v4
	s_delay_alu instid0(VALU_DEP_1) | instskip(NEXT) | instid1(VALU_DEP_3)
	v_add_co_ci_u32_e64 v33, null, s11, v5, vcc_lo
	v_lshlrev_b64_e32 v[8:9], 4, v[8:9]
	v_mov_b32_e32 v7, v11
	v_cmp_gt_i64_e64 s0, s[36:37], 0
	v_add_co_ci_u32_e64 v1, null, s1, 0, s22
	v_mov_b32_e32 v3, v10
	v_add_co_u32 v4, vcc_lo, v8, v14
	v_lshlrev_b64_e32 v[6:7], 4, v[6:7]
	s_wait_alu 0xfffd
	v_add_co_ci_u32_e64 v5, null, 0, v9, vcc_lo
	s_delay_alu instid0(VALU_DEP_3)
	v_add_co_u32 v4, vcc_lo, s42, v4
	s_wait_alu 0xf1ff
	v_cndmask_b32_e64 v8, 0, 1, s0
	s_wait_alu 0xfffd
	v_add_co_ci_u32_e64 v5, null, s43, v5, vcc_lo
	v_add_co_u32 v6, vcc_lo, v6, v13
	s_wait_alu 0xfffd
	v_add_co_ci_u32_e64 v7, null, 0, v7, vcc_lo
	v_cmp_ne_u32_e64 s0, 1, v8
	s_delay_alu instid0(VALU_DEP_3) | instskip(SKIP_1) | instid1(VALU_DEP_3)
	v_add_co_u32 v6, vcc_lo, s48, v6
	s_wait_alu 0xfffd
	v_add_co_ci_u32_e64 v7, null, s49, v7, vcc_lo
	s_lshl_b64 s[22:23], s[18:19], 4
	s_lshl_b64 s[12:13], s[12:13], 4
	s_and_b32 s1, s25, s26
	s_lshl_b64 s[10:11], s[46:47], 4
	s_lshl_b64 s[4:5], s[4:5], 4
	s_mov_b32 s3, 0
	s_wait_alu 0xfffe
	s_lshl_b64 s[12:13], s[12:13], 4
	s_lshl_b64 s[18:19], s[22:23], 4
	s_branch .LBB128_3
.LBB128_2:                              ;   in Loop: Header=BB128_3 Depth=1
	s_add_co_i32 s2, s2, 0x10000
	global_store_b64 v[10:11], v[8:9], off offset:8
	s_wait_alu 0xfffe
	s_cmp_lt_i32 s2, s24
	s_cbranch_scc0 .LBB128_11
.LBB128_3:                              ; =>This Loop Header: Depth=1
                                        ;     Child Loop BB128_5 Depth 2
	s_and_b32 vcc_lo, exec_lo, s0
	s_wait_alu 0xfffe
	s_cbranch_vccnz .LBB128_6
; %bb.4:                                ;   in Loop: Header=BB128_3 Depth=1
	v_mad_co_u64_u32 v[8:9], null, s10, s2, v[4:5]
	v_mad_co_u64_u32 v[10:11], null, s4, s2, v[6:7]
	v_mov_b32_e32 v14, 0
	v_dual_mov_b32 v15, 0 :: v_dual_mov_b32 v12, 0
	v_dual_mov_b32 v13, 0 :: v_dual_mov_b32 v18, 0
	v_mov_b32_e32 v22, 0
	v_mad_co_u64_u32 v[34:35], null, s11, s2, v[9:10]
	s_delay_alu instid0(VALU_DEP_4)
	v_mad_co_u64_u32 v[35:36], null, s5, s2, v[11:12]
	v_dual_mov_b32 v26, 0 :: v_dual_mov_b32 v19, 0
	v_dual_mov_b32 v16, 0 :: v_dual_mov_b32 v23, 0
	;; [unrolled: 1-line block ×4, first 2 shown]
	v_mov_b32_e32 v21, 0
	v_mov_b32_e32 v25, 0
	;; [unrolled: 1-line block ×4, first 2 shown]
	s_mov_b64 s[22:23], 0
.LBB128_5:                              ;   Parent Loop BB128_3 Depth=1
                                        ; =>  This Inner Loop Header: Depth=2
	global_load_b128 v[34:37], v[8:9], off
	global_load_b128 v[38:41], v[10:11], off
	s_wait_alu 0xfffe
	s_add_nc_u64 s[22:23], s[22:23], 8
	v_add_co_u32 v8, vcc_lo, 0x80, v8
	s_wait_alu 0xfffe
	v_cmp_lt_i64_e64 s25, s[22:23], s[36:37]
	s_wait_alu 0xfffd
	v_add_co_ci_u32_e64 v9, null, 0, v9, vcc_lo
	v_add_co_u32 v10, vcc_lo, 0x80, v10
	s_wait_alu 0xfffd
	v_add_co_ci_u32_e64 v11, null, 0, v11, vcc_lo
	s_and_b32 vcc_lo, exec_lo, s25
	s_wait_loadcnt 0x1
	ds_store_2addr_b64 v30, v[34:35], v[36:37] offset1:1
	s_wait_loadcnt 0x0
	ds_store_2addr_b64 v31, v[38:39], v[40:41] offset1:1
	s_wait_dscnt 0x0
	s_barrier_signal -1
	s_barrier_wait -1
	global_inv scope:SCOPE_SE
	ds_load_b128 v[34:37], v29
	ds_load_b128 v[38:41], v28
	ds_load_b128 v[42:45], v28 offset:256
	ds_load_b128 v[46:49], v29 offset:2048
	;; [unrolled: 1-line block ×13, first 2 shown]
	s_wait_dscnt 0xd
	v_mul_f64_e32 v[94:95], v[36:37], v[40:41]
	v_mul_f64_e32 v[96:97], v[34:35], v[40:41]
	s_wait_dscnt 0xc
	v_mul_f64_e32 v[98:99], v[36:37], v[44:45]
	v_mul_f64_e32 v[100:101], v[34:35], v[44:45]
	;; [unrolled: 3-line block ×3, first 2 shown]
	v_mul_f64_e32 v[104:105], v[48:49], v[44:45]
	v_mul_f64_e32 v[44:45], v[46:47], v[44:45]
	s_wait_dscnt 0x9
	v_mul_f64_e32 v[106:107], v[52:53], v[56:57]
	v_mul_f64_e32 v[108:109], v[50:51], v[56:57]
	s_wait_dscnt 0x7
	v_mul_f64_e32 v[110:111], v[52:53], v[64:65]
	v_mul_f64_e32 v[112:113], v[50:51], v[64:65]
	;; [unrolled: 1-line block ×6, first 2 shown]
	s_wait_dscnt 0x3
	v_mul_f64_e32 v[120:121], v[66:67], v[80:81]
	s_wait_dscnt 0x1
	v_mul_f64_e32 v[122:123], v[88:89], v[76:77]
	v_mul_f64_e32 v[124:125], v[88:89], v[80:81]
	v_fma_f64 v[94:95], v[34:35], v[38:39], -v[94:95]
	v_fma_f64 v[96:97], v[36:37], v[38:39], v[96:97]
	v_fma_f64 v[98:99], v[34:35], v[42:43], -v[98:99]
	v_fma_f64 v[100:101], v[36:37], v[42:43], v[100:101]
	;; [unrolled: 2-line block ×4, first 2 shown]
	v_mul_f64_e32 v[44:45], v[68:69], v[76:77]
	v_mul_f64_e32 v[48:49], v[66:67], v[76:77]
	;; [unrolled: 1-line block ×5, first 2 shown]
	v_fma_f64 v[106:107], v[50:51], v[54:55], -v[106:107]
	v_fma_f64 v[108:109], v[52:53], v[54:55], v[108:109]
	v_fma_f64 v[50:51], v[50:51], v[62:63], -v[110:111]
	v_fma_f64 v[52:53], v[52:53], v[62:63], v[112:113]
	;; [unrolled: 2-line block ×4, first 2 shown]
	ds_load_b128 v[34:37], v28 offset:1792
	ds_load_b128 v[38:41], v29 offset:64
	v_mul_f64_e32 v[64:65], v[72:73], v[84:85]
	v_add_f64_e32 v[24:25], v[24:25], v[94:95]
	v_add_f64_e32 v[26:27], v[96:97], v[26:27]
	v_add_f64_e32 v[20:21], v[20:21], v[98:99]
	v_add_f64_e32 v[22:23], v[100:101], v[22:23]
	v_add_f64_e32 v[60:61], v[16:17], v[102:103]
	v_add_f64_e32 v[62:63], v[118:119], v[18:19]
	v_add_f64_e32 v[46:47], v[12:13], v[46:47]
	v_add_f64_e32 v[42:43], v[42:43], v[14:15]
	v_mul_f64_e32 v[94:95], v[70:71], v[84:85]
	s_wait_dscnt 0x1
	v_mul_f64_e32 v[96:97], v[72:73], v[36:37]
	v_mul_f64_e32 v[98:99], v[70:71], v[36:37]
	;; [unrolled: 1-line block ×6, first 2 shown]
	v_fma_f64 v[112:113], v[66:67], v[74:75], -v[44:45]
	v_fma_f64 v[114:115], v[68:69], v[74:75], v[48:49]
	v_fma_f64 v[66:67], v[66:67], v[78:79], -v[104:105]
	v_fma_f64 v[68:69], v[68:69], v[78:79], v[120:121]
	;; [unrolled: 2-line block ×4, first 2 shown]
	ds_load_b128 v[12:15], v28 offset:2048
	ds_load_b128 v[16:19], v28 offset:2304
	v_fma_f64 v[64:65], v[70:71], v[82:83], -v[64:65]
	v_add_f64_e32 v[80:81], v[24:25], v[106:107]
	v_add_f64_e32 v[86:87], v[108:109], v[26:27]
	v_add_f64_e32 v[50:51], v[20:21], v[50:51]
	v_add_f64_e32 v[52:53], v[52:53], v[22:23]
	v_add_f64_e32 v[60:61], v[60:61], v[110:111]
	v_add_f64_e32 v[54:55], v[54:55], v[62:63]
	v_add_f64_e32 v[56:57], v[46:47], v[56:57]
	v_add_f64_e32 v[58:59], v[58:59], v[42:43]
	ds_load_b128 v[20:23], v29 offset:2112
	ds_load_b128 v[24:27], v29 offset:80
	;; [unrolled: 1-line block ×4, first 2 shown]
	s_wait_dscnt 0x5
	v_mul_f64_e32 v[62:63], v[40:41], v[14:15]
	v_mul_f64_e32 v[88:89], v[38:39], v[14:15]
	s_wait_dscnt 0x4
	v_mul_f64_e32 v[106:107], v[40:41], v[18:19]
	v_mul_f64_e32 v[108:109], v[38:39], v[18:19]
	v_fma_f64 v[94:95], v[72:73], v[82:83], v[94:95]
	v_fma_f64 v[70:71], v[70:71], v[34:35], -v[96:97]
	v_fma_f64 v[72:73], v[72:73], v[34:35], v[98:99]
	v_fma_f64 v[96:97], v[90:91], v[82:83], -v[100:101]
	;; [unrolled: 2-line block ×3, first 2 shown]
	v_fma_f64 v[90:91], v[92:93], v[34:35], v[36:37]
	s_wait_dscnt 0x3
	v_mul_f64_e32 v[110:111], v[22:23], v[14:15]
	v_mul_f64_e32 v[14:15], v[20:21], v[14:15]
	;; [unrolled: 1-line block ×4, first 2 shown]
	s_wait_dscnt 0x1
	v_mul_f64_e32 v[98:99], v[26:27], v[44:45]
	v_mul_f64_e32 v[100:101], v[24:25], v[44:45]
	v_add_f64_e32 v[80:81], v[80:81], v[112:113]
	v_add_f64_e32 v[86:87], v[114:115], v[86:87]
	;; [unrolled: 1-line block ×8, first 2 shown]
	ds_load_b128 v[34:37], v28 offset:2816
	ds_load_b128 v[50:53], v29 offset:96
	;; [unrolled: 1-line block ×4, first 2 shown]
	s_wait_dscnt 0x4
	v_mul_f64_e32 v[112:113], v[48:49], v[44:45]
	v_mul_f64_e32 v[44:45], v[46:47], v[44:45]
	v_fma_f64 v[62:63], v[38:39], v[12:13], -v[62:63]
	v_fma_f64 v[88:89], v[40:41], v[12:13], v[88:89]
	v_fma_f64 v[106:107], v[38:39], v[16:17], -v[106:107]
	v_fma_f64 v[40:41], v[40:41], v[16:17], v[108:109]
	s_wait_dscnt 0x3
	v_mul_f64_e32 v[102:103], v[26:27], v[36:37]
	v_mul_f64_e32 v[104:105], v[24:25], v[36:37]
	;; [unrolled: 1-line block ×4, first 2 shown]
	v_fma_f64 v[108:109], v[20:21], v[12:13], -v[110:111]
	v_fma_f64 v[110:111], v[22:23], v[12:13], v[14:15]
	v_fma_f64 v[116:117], v[20:21], v[16:17], -v[116:117]
	v_fma_f64 v[120:121], v[22:23], v[16:17], v[18:19]
	ds_load_b128 v[12:15], v29 offset:2144
	ds_load_b128 v[16:19], v29 offset:112
	;; [unrolled: 1-line block ×4, first 2 shown]
	v_add_f64_e32 v[64:65], v[80:81], v[64:65]
	v_add_f64_e32 v[80:81], v[94:95], v[86:87]
	;; [unrolled: 1-line block ×8, first 2 shown]
	s_wait_dscnt 0x5
	v_mul_f64_e32 v[78:79], v[52:53], v[56:57]
	v_mul_f64_e32 v[82:83], v[50:51], v[56:57]
	s_wait_dscnt 0x4
	v_mul_f64_e32 v[84:85], v[52:53], v[60:61]
	v_mul_f64_e32 v[86:87], v[50:51], v[60:61]
	;; [unrolled: 3-line block ×3, first 2 shown]
	v_mul_f64_e32 v[92:93], v[14:15], v[60:61]
	v_mul_f64_e32 v[60:61], v[12:13], v[60:61]
	v_fma_f64 v[94:95], v[24:25], v[42:43], -v[98:99]
	v_fma_f64 v[96:97], v[26:27], v[42:43], v[100:101]
	v_fma_f64 v[98:99], v[24:25], v[34:35], -v[102:103]
	v_fma_f64 v[100:101], v[26:27], v[34:35], v[104:105]
	;; [unrolled: 2-line block ×4, first 2 shown]
	ds_load_b128 v[24:27], v28 offset:3840
	s_wait_loadcnt_dscnt 0x0
	s_barrier_signal -1
	s_barrier_wait -1
	global_inv scope:SCOPE_SE
	v_add_f64_e32 v[46:47], v[64:65], v[62:63]
	v_add_f64_e32 v[48:49], v[88:89], v[80:81]
	;; [unrolled: 1-line block ×8, first 2 shown]
	v_mul_f64_e32 v[72:73], v[18:19], v[22:23]
	v_mul_f64_e32 v[74:75], v[16:17], v[22:23]
	;; [unrolled: 1-line block ×4, first 2 shown]
	v_fma_f64 v[78:79], v[50:51], v[54:55], -v[78:79]
	v_mul_f64_e32 v[76:77], v[18:19], v[26:27]
	v_mul_f64_e32 v[80:81], v[16:17], v[26:27]
	;; [unrolled: 1-line block ×4, first 2 shown]
	v_fma_f64 v[82:83], v[52:53], v[54:55], v[82:83]
	v_fma_f64 v[50:51], v[50:51], v[58:59], -v[84:85]
	v_fma_f64 v[52:53], v[52:53], v[58:59], v[86:87]
	v_fma_f64 v[84:85], v[12:13], v[54:55], -v[90:91]
	v_fma_f64 v[54:55], v[14:15], v[54:55], v[56:57]
	v_fma_f64 v[12:13], v[12:13], v[58:59], -v[92:93]
	v_fma_f64 v[14:15], v[14:15], v[58:59], v[60:61]
	v_add_f64_e32 v[46:47], v[46:47], v[94:95]
	v_add_f64_e32 v[48:49], v[96:97], v[48:49]
	;; [unrolled: 1-line block ×8, first 2 shown]
	v_fma_f64 v[60:61], v[16:17], v[20:21], -v[72:73]
	v_fma_f64 v[62:63], v[18:19], v[20:21], v[74:75]
	v_fma_f64 v[64:65], v[36:37], v[20:21], -v[88:89]
	v_fma_f64 v[66:67], v[38:39], v[20:21], v[22:23]
	;; [unrolled: 2-line block ×4, first 2 shown]
	v_add_f64_e32 v[20:21], v[46:47], v[78:79]
	v_add_f64_e32 v[22:23], v[82:83], v[48:49]
	;; [unrolled: 1-line block ×16, first 2 shown]
	s_wait_alu 0xfffe
	s_cbranch_vccnz .LBB128_5
	s_branch .LBB128_7
.LBB128_6:                              ;   in Loop: Header=BB128_3 Depth=1
	v_mov_b32_e32 v24, 0
	v_mov_b32_e32 v20, 0
	;; [unrolled: 1-line block ×3, first 2 shown]
	v_dual_mov_b32 v12, 0 :: v_dual_mov_b32 v25, 0
	v_dual_mov_b32 v26, 0 :: v_dual_mov_b32 v21, 0
	;; [unrolled: 1-line block ×5, first 2 shown]
	v_mov_b32_e32 v23, 0
	v_mov_b32_e32 v19, 0
	;; [unrolled: 1-line block ×3, first 2 shown]
.LBB128_7:                              ;   in Loop: Header=BB128_3 Depth=1
	s_mul_u64 s[22:23], s[20:21], s[2:3]
	s_and_not1_b32 vcc_lo, exec_lo, s1
	s_wait_alu 0xfffe
	s_lshl_b64 s[22:23], s[22:23], 4
	s_mov_b32 s25, -1
	s_wait_alu 0xfffe
	s_add_nc_u64 s[22:23], s[16:17], s[22:23]
                                        ; implicit-def: $vgpr8_vgpr9
                                        ; implicit-def: $vgpr10_vgpr11
	s_cbranch_vccz .LBB128_9
; %bb.8:                                ;   in Loop: Header=BB128_3 Depth=1
	s_and_not1_b32 vcc_lo, exec_lo, s25
	s_wait_alu 0xfffe
	s_cbranch_vccnz .LBB128_2
	s_branch .LBB128_10
.LBB128_9:                              ;   in Loop: Header=BB128_3 Depth=1
	v_mul_f64_e32 v[8:9], s[40:41], v[26:27]
	v_mul_f64_e32 v[10:11], s[38:39], v[26:27]
	s_delay_alu instid0(VALU_DEP_3)
	v_mul_f64_e32 v[48:49], s[38:39], v[14:15]
	v_mul_f64_e32 v[38:39], s[40:41], v[22:23]
	;; [unrolled: 1-line block ×6, first 2 shown]
	v_fma_f64 v[34:35], s[38:39], v[24:25], -v[8:9]
	v_fma_f64 v[36:37], s[40:41], v[24:25], v[10:11]
	v_fma_f64 v[8:9], s[40:41], v[12:13], v[48:49]
	v_fma_f64 v[38:39], s[38:39], v[20:21], -v[38:39]
	v_fma_f64 v[40:41], s[40:41], v[20:21], v[40:41]
	v_fma_f64 v[42:43], s[38:39], v[16:17], -v[42:43]
	;; [unrolled: 2-line block ×3, first 2 shown]
	v_lshlrev_b64_e32 v[10:11], 4, v[2:3]
	s_wait_alu 0xfffe
	s_delay_alu instid0(VALU_DEP_1) | instskip(SKIP_1) | instid1(VALU_DEP_2)
	v_add_co_u32 v50, vcc_lo, s22, v10
	s_wait_alu 0xfffd
	v_add_co_ci_u32_e64 v51, null, s23, v11, vcc_lo
	v_lshlrev_b64_e32 v[10:11], 4, v[0:1]
	s_delay_alu instid0(VALU_DEP_3) | instskip(SKIP_1) | instid1(VALU_DEP_3)
	v_add_co_u32 v48, vcc_lo, v50, s18
	s_wait_alu 0xfffd
	v_add_co_ci_u32_e64 v49, null, s19, v51, vcc_lo
	s_delay_alu instid0(VALU_DEP_2) | instskip(SKIP_1) | instid1(VALU_DEP_2)
	v_add_co_u32 v48, vcc_lo, v48, v10
	s_wait_alu 0xfffd
	v_add_co_ci_u32_e64 v49, null, v49, v11, vcc_lo
	v_add_co_u32 v50, vcc_lo, v50, v10
	s_wait_alu 0xfffd
	v_add_co_ci_u32_e64 v51, null, v51, v11, vcc_lo
	;; [unrolled: 3-line block ×3, first 2 shown]
	s_clause 0x3
	global_store_b128 v[50:51], v[34:37], off
	global_store_b128 v[50:51], v[38:41], off offset:256
	global_store_b128 v[48:49], v[42:45], off
	global_store_b64 v[48:49], v[46:47], off offset:256
	s_cbranch_execnz .LBB128_2
.LBB128_10:                             ;   in Loop: Header=BB128_3 Depth=1
	s_mul_u64 s[26:27], s[14:15], s[2:3]
	v_lshlrev_b64_e32 v[34:35], 4, v[0:1]
	s_wait_alu 0xfffe
	s_lshl_b64 s[26:27], s[26:27], 4
	v_mul_f64_e32 v[38:39], s[40:41], v[26:27]
	s_wait_alu 0xfffe
	v_add_co_u32 v42, vcc_lo, v32, s26
	s_wait_alu 0xfffd
	v_add_co_ci_u32_e64 v43, null, s27, v33, vcc_lo
	v_mul_f64_e32 v[26:27], s[38:39], v[26:27]
	s_delay_alu instid0(VALU_DEP_3) | instskip(SKIP_1) | instid1(VALU_DEP_3)
	v_add_co_u32 v36, vcc_lo, v42, v34
	s_wait_alu 0xfffd
	v_add_co_ci_u32_e64 v37, null, v43, v35, vcc_lo
	global_load_b128 v[8:11], v[36:37], off
	v_fma_f64 v[38:39], s[38:39], v[24:25], -v[38:39]
	v_fma_f64 v[24:25], s[40:41], v[24:25], v[26:27]
	s_wait_loadcnt 0x0
	v_mul_f64_e32 v[40:41], s[8:9], v[10:11]
	v_mul_f64_e32 v[10:11], s[6:7], v[10:11]
	s_delay_alu instid0(VALU_DEP_2) | instskip(NEXT) | instid1(VALU_DEP_2)
	v_fma_f64 v[26:27], s[6:7], v[8:9], -v[40:41]
	v_fma_f64 v[10:11], s[8:9], v[8:9], v[10:11]
	s_delay_alu instid0(VALU_DEP_2) | instskip(NEXT) | instid1(VALU_DEP_2)
	v_add_f64_e32 v[8:9], v[38:39], v[26:27]
	v_add_f64_e32 v[10:11], v[24:25], v[10:11]
	v_lshlrev_b64_e32 v[24:25], 4, v[2:3]
	v_mul_f64_e32 v[26:27], s[40:41], v[22:23]
	v_mul_f64_e32 v[22:23], s[38:39], v[22:23]
	s_delay_alu instid0(VALU_DEP_3) | instskip(SKIP_1) | instid1(VALU_DEP_4)
	v_add_co_u32 v38, vcc_lo, s22, v24
	s_wait_alu 0xfffd
	v_add_co_ci_u32_e64 v39, null, s23, v25, vcc_lo
	s_delay_alu instid0(VALU_DEP_2) | instskip(SKIP_1) | instid1(VALU_DEP_2)
	v_add_co_u32 v24, vcc_lo, v38, v34
	s_wait_alu 0xfffd
	v_add_co_ci_u32_e64 v25, null, v39, v35, vcc_lo
	global_store_b128 v[24:25], v[8:11], off
	global_load_b128 v[8:11], v[36:37], off offset:256
	v_fma_f64 v[26:27], s[38:39], v[20:21], -v[26:27]
	v_fma_f64 v[20:21], s[40:41], v[20:21], v[22:23]
	s_wait_loadcnt 0x0
	v_mul_f64_e32 v[36:37], s[8:9], v[10:11]
	v_mul_f64_e32 v[10:11], s[6:7], v[10:11]
	s_delay_alu instid0(VALU_DEP_2) | instskip(NEXT) | instid1(VALU_DEP_2)
	v_fma_f64 v[22:23], s[6:7], v[8:9], -v[36:37]
	v_fma_f64 v[10:11], s[8:9], v[8:9], v[10:11]
	s_delay_alu instid0(VALU_DEP_2) | instskip(NEXT) | instid1(VALU_DEP_2)
	v_add_f64_e32 v[8:9], v[26:27], v[22:23]
	v_add_f64_e32 v[10:11], v[20:21], v[10:11]
	v_add_co_u32 v20, vcc_lo, v42, s12
	s_wait_alu 0xfffd
	v_add_co_ci_u32_e64 v21, null, s13, v43, vcc_lo
	v_mul_f64_e32 v[22:23], s[40:41], v[18:19]
	s_delay_alu instid0(VALU_DEP_3) | instskip(SKIP_1) | instid1(VALU_DEP_3)
	v_add_co_u32 v20, vcc_lo, v20, v34
	s_wait_alu 0xfffd
	v_add_co_ci_u32_e64 v21, null, v21, v35, vcc_lo
	v_mul_f64_e32 v[18:19], s[38:39], v[18:19]
	global_store_b128 v[24:25], v[8:11], off offset:256
	global_load_b128 v[8:11], v[20:21], off
	v_fma_f64 v[22:23], s[38:39], v[16:17], -v[22:23]
	v_fma_f64 v[16:17], s[40:41], v[16:17], v[18:19]
	s_wait_loadcnt 0x0
	v_mul_f64_e32 v[24:25], s[8:9], v[10:11]
	v_mul_f64_e32 v[10:11], s[6:7], v[10:11]
	s_delay_alu instid0(VALU_DEP_2) | instskip(NEXT) | instid1(VALU_DEP_2)
	v_fma_f64 v[18:19], s[6:7], v[8:9], -v[24:25]
	v_fma_f64 v[10:11], s[8:9], v[8:9], v[10:11]
	s_delay_alu instid0(VALU_DEP_2) | instskip(NEXT) | instid1(VALU_DEP_2)
	v_add_f64_e32 v[8:9], v[22:23], v[18:19]
	v_add_f64_e32 v[10:11], v[16:17], v[10:11]
	v_add_co_u32 v16, vcc_lo, v38, s18
	s_wait_alu 0xfffd
	v_add_co_ci_u32_e64 v17, null, s19, v39, vcc_lo
	v_mul_f64_e32 v[18:19], s[40:41], v[14:15]
	s_delay_alu instid0(VALU_DEP_3) | instskip(SKIP_1) | instid1(VALU_DEP_3)
	v_add_co_u32 v16, vcc_lo, v16, v34
	s_wait_alu 0xfffd
	v_add_co_ci_u32_e64 v17, null, v17, v35, vcc_lo
	v_mul_f64_e32 v[14:15], s[38:39], v[14:15]
	global_store_b128 v[16:17], v[8:11], off
	global_load_b128 v[8:11], v[20:21], off offset:256
	v_fma_f64 v[18:19], s[38:39], v[12:13], -v[18:19]
	v_fma_f64 v[12:13], s[40:41], v[12:13], v[14:15]
	s_wait_loadcnt 0x0
	v_mul_f64_e32 v[20:21], s[8:9], v[10:11]
	v_mul_f64_e32 v[10:11], s[6:7], v[10:11]
	s_delay_alu instid0(VALU_DEP_2) | instskip(NEXT) | instid1(VALU_DEP_2)
	v_fma_f64 v[14:15], s[6:7], v[8:9], -v[20:21]
	v_fma_f64 v[8:9], s[8:9], v[8:9], v[10:11]
	v_add_co_u32 v10, vcc_lo, 0x100, v16
	s_wait_alu 0xfffd
	v_add_co_ci_u32_e64 v11, null, 0, v17, vcc_lo
	s_delay_alu instid0(VALU_DEP_4) | instskip(NEXT) | instid1(VALU_DEP_4)
	v_add_f64_e32 v[14:15], v[18:19], v[14:15]
	v_add_f64_e32 v[8:9], v[12:13], v[8:9]
	global_store_b64 v[16:17], v[14:15], off offset:256
	s_branch .LBB128_2
.LBB128_11:
	s_nop 0
	s_sendmsg sendmsg(MSG_DEALLOC_VGPRS)
	s_endpgm
	.section	.rodata,"a",@progbits
	.p2align	6, 0x0
	.amdhsa_kernel _ZN12_GLOBAL__N_127rocblas_gemm_batched_kernelI19rocblas_complex_numIdELi16ELi16ELi32ELi32ELi8ELi32ELi8ELi8ELi32ELc84ELc78EKS2_S3_S2_EEvlllT_PT11_llS6_llS4_PT12_llPT13_lli
		.amdhsa_group_segment_fixed_size 8192
		.amdhsa_private_segment_fixed_size 0
		.amdhsa_kernarg_size 156
		.amdhsa_user_sgpr_count 2
		.amdhsa_user_sgpr_dispatch_ptr 0
		.amdhsa_user_sgpr_queue_ptr 0
		.amdhsa_user_sgpr_kernarg_segment_ptr 1
		.amdhsa_user_sgpr_dispatch_id 0
		.amdhsa_user_sgpr_private_segment_size 0
		.amdhsa_wavefront_size32 1
		.amdhsa_uses_dynamic_stack 0
		.amdhsa_enable_private_segment 0
		.amdhsa_system_sgpr_workgroup_id_x 1
		.amdhsa_system_sgpr_workgroup_id_y 1
		.amdhsa_system_sgpr_workgroup_id_z 1
		.amdhsa_system_sgpr_workgroup_info 0
		.amdhsa_system_vgpr_workitem_id 1
		.amdhsa_next_free_vgpr 126
		.amdhsa_next_free_sgpr 52
		.amdhsa_reserve_vcc 1
		.amdhsa_float_round_mode_32 0
		.amdhsa_float_round_mode_16_64 0
		.amdhsa_float_denorm_mode_32 3
		.amdhsa_float_denorm_mode_16_64 3
		.amdhsa_fp16_overflow 0
		.amdhsa_workgroup_processor_mode 1
		.amdhsa_memory_ordered 1
		.amdhsa_forward_progress 1
		.amdhsa_inst_pref_size 25
		.amdhsa_round_robin_scheduling 0
		.amdhsa_exception_fp_ieee_invalid_op 0
		.amdhsa_exception_fp_denorm_src 0
		.amdhsa_exception_fp_ieee_div_zero 0
		.amdhsa_exception_fp_ieee_overflow 0
		.amdhsa_exception_fp_ieee_underflow 0
		.amdhsa_exception_fp_ieee_inexact 0
		.amdhsa_exception_int_div_zero 0
	.end_amdhsa_kernel
	.section	.text._ZN12_GLOBAL__N_127rocblas_gemm_batched_kernelI19rocblas_complex_numIdELi16ELi16ELi32ELi32ELi8ELi32ELi8ELi8ELi32ELc84ELc78EKS2_S3_S2_EEvlllT_PT11_llS6_llS4_PT12_llPT13_lli,"axG",@progbits,_ZN12_GLOBAL__N_127rocblas_gemm_batched_kernelI19rocblas_complex_numIdELi16ELi16ELi32ELi32ELi8ELi32ELi8ELi8ELi32ELc84ELc78EKS2_S3_S2_EEvlllT_PT11_llS6_llS4_PT12_llPT13_lli,comdat
.Lfunc_end128:
	.size	_ZN12_GLOBAL__N_127rocblas_gemm_batched_kernelI19rocblas_complex_numIdELi16ELi16ELi32ELi32ELi8ELi32ELi8ELi8ELi32ELc84ELc78EKS2_S3_S2_EEvlllT_PT11_llS6_llS4_PT12_llPT13_lli, .Lfunc_end128-_ZN12_GLOBAL__N_127rocblas_gemm_batched_kernelI19rocblas_complex_numIdELi16ELi16ELi32ELi32ELi8ELi32ELi8ELi8ELi32ELc84ELc78EKS2_S3_S2_EEvlllT_PT11_llS6_llS4_PT12_llPT13_lli
                                        ; -- End function
	.set _ZN12_GLOBAL__N_127rocblas_gemm_batched_kernelI19rocblas_complex_numIdELi16ELi16ELi32ELi32ELi8ELi32ELi8ELi8ELi32ELc84ELc78EKS2_S3_S2_EEvlllT_PT11_llS6_llS4_PT12_llPT13_lli.num_vgpr, 126
	.set _ZN12_GLOBAL__N_127rocblas_gemm_batched_kernelI19rocblas_complex_numIdELi16ELi16ELi32ELi32ELi8ELi32ELi8ELi8ELi32ELc84ELc78EKS2_S3_S2_EEvlllT_PT11_llS6_llS4_PT12_llPT13_lli.num_agpr, 0
	.set _ZN12_GLOBAL__N_127rocblas_gemm_batched_kernelI19rocblas_complex_numIdELi16ELi16ELi32ELi32ELi8ELi32ELi8ELi8ELi32ELc84ELc78EKS2_S3_S2_EEvlllT_PT11_llS6_llS4_PT12_llPT13_lli.numbered_sgpr, 52
	.set _ZN12_GLOBAL__N_127rocblas_gemm_batched_kernelI19rocblas_complex_numIdELi16ELi16ELi32ELi32ELi8ELi32ELi8ELi8ELi32ELc84ELc78EKS2_S3_S2_EEvlllT_PT11_llS6_llS4_PT12_llPT13_lli.num_named_barrier, 0
	.set _ZN12_GLOBAL__N_127rocblas_gemm_batched_kernelI19rocblas_complex_numIdELi16ELi16ELi32ELi32ELi8ELi32ELi8ELi8ELi32ELc84ELc78EKS2_S3_S2_EEvlllT_PT11_llS6_llS4_PT12_llPT13_lli.private_seg_size, 0
	.set _ZN12_GLOBAL__N_127rocblas_gemm_batched_kernelI19rocblas_complex_numIdELi16ELi16ELi32ELi32ELi8ELi32ELi8ELi8ELi32ELc84ELc78EKS2_S3_S2_EEvlllT_PT11_llS6_llS4_PT12_llPT13_lli.uses_vcc, 1
	.set _ZN12_GLOBAL__N_127rocblas_gemm_batched_kernelI19rocblas_complex_numIdELi16ELi16ELi32ELi32ELi8ELi32ELi8ELi8ELi32ELc84ELc78EKS2_S3_S2_EEvlllT_PT11_llS6_llS4_PT12_llPT13_lli.uses_flat_scratch, 0
	.set _ZN12_GLOBAL__N_127rocblas_gemm_batched_kernelI19rocblas_complex_numIdELi16ELi16ELi32ELi32ELi8ELi32ELi8ELi8ELi32ELc84ELc78EKS2_S3_S2_EEvlllT_PT11_llS6_llS4_PT12_llPT13_lli.has_dyn_sized_stack, 0
	.set _ZN12_GLOBAL__N_127rocblas_gemm_batched_kernelI19rocblas_complex_numIdELi16ELi16ELi32ELi32ELi8ELi32ELi8ELi8ELi32ELc84ELc78EKS2_S3_S2_EEvlllT_PT11_llS6_llS4_PT12_llPT13_lli.has_recursion, 0
	.set _ZN12_GLOBAL__N_127rocblas_gemm_batched_kernelI19rocblas_complex_numIdELi16ELi16ELi32ELi32ELi8ELi32ELi8ELi8ELi32ELc84ELc78EKS2_S3_S2_EEvlllT_PT11_llS6_llS4_PT12_llPT13_lli.has_indirect_call, 0
	.section	.AMDGPU.csdata,"",@progbits
; Kernel info:
; codeLenInByte = 3196
; TotalNumSgprs: 54
; NumVgprs: 126
; ScratchSize: 0
; MemoryBound: 0
; FloatMode: 240
; IeeeMode: 1
; LDSByteSize: 8192 bytes/workgroup (compile time only)
; SGPRBlocks: 0
; VGPRBlocks: 15
; NumSGPRsForWavesPerEU: 54
; NumVGPRsForWavesPerEU: 126
; Occupancy: 10
; WaveLimiterHint : 1
; COMPUTE_PGM_RSRC2:SCRATCH_EN: 0
; COMPUTE_PGM_RSRC2:USER_SGPR: 2
; COMPUTE_PGM_RSRC2:TRAP_HANDLER: 0
; COMPUTE_PGM_RSRC2:TGID_X_EN: 1
; COMPUTE_PGM_RSRC2:TGID_Y_EN: 1
; COMPUTE_PGM_RSRC2:TGID_Z_EN: 1
; COMPUTE_PGM_RSRC2:TIDIG_COMP_CNT: 1
	.section	.text._ZN12_GLOBAL__N_127rocblas_gemm_batched_kernelI19rocblas_complex_numIdELi16ELi16ELi32ELi32ELi8ELi32ELi8ELi8ELi32ELc78ELc84EKS2_S3_S2_EEvlllT_PT11_llS6_llS4_PT12_llPT13_lli,"axG",@progbits,_ZN12_GLOBAL__N_127rocblas_gemm_batched_kernelI19rocblas_complex_numIdELi16ELi16ELi32ELi32ELi8ELi32ELi8ELi8ELi32ELc78ELc84EKS2_S3_S2_EEvlllT_PT11_llS6_llS4_PT12_llPT13_lli,comdat
	.globl	_ZN12_GLOBAL__N_127rocblas_gemm_batched_kernelI19rocblas_complex_numIdELi16ELi16ELi32ELi32ELi8ELi32ELi8ELi8ELi32ELc78ELc84EKS2_S3_S2_EEvlllT_PT11_llS6_llS4_PT12_llPT13_lli ; -- Begin function _ZN12_GLOBAL__N_127rocblas_gemm_batched_kernelI19rocblas_complex_numIdELi16ELi16ELi32ELi32ELi8ELi32ELi8ELi8ELi32ELc78ELc84EKS2_S3_S2_EEvlllT_PT11_llS6_llS4_PT12_llPT13_lli
	.p2align	8
	.type	_ZN12_GLOBAL__N_127rocblas_gemm_batched_kernelI19rocblas_complex_numIdELi16ELi16ELi32ELi32ELi8ELi32ELi8ELi8ELi32ELc78ELc84EKS2_S3_S2_EEvlllT_PT11_llS6_llS4_PT12_llPT13_lli,@function
_ZN12_GLOBAL__N_127rocblas_gemm_batched_kernelI19rocblas_complex_numIdELi16ELi16ELi32ELi32ELi8ELi32ELi8ELi8ELi32ELc78ELc84EKS2_S3_S2_EEvlllT_PT11_llS6_llS4_PT12_llPT13_lli: ; @_ZN12_GLOBAL__N_127rocblas_gemm_batched_kernelI19rocblas_complex_numIdELi16ELi16ELi32ELi32ELi8ELi32ELi8ELi8ELi32ELc78ELc84EKS2_S3_S2_EEvlllT_PT11_llS6_llS4_PT12_llPT13_lli
; %bb.0:
	s_load_b32 s28, s[0:1], 0x98
	s_lshr_b32 s2, ttmp7, 16
	s_wait_kmcnt 0x0
	s_cmp_ge_i32 s2, s28
	s_cbranch_scc1 .LBB129_11
; %bb.1:
	v_and_b32_e32 v1, 0x3ff, v0
	v_bfe_u32 v2, v0, 10, 10
	s_clause 0x2
	s_load_b512 s[4:19], s[0:1], 0x50
	s_load_b512 s[36:51], s[0:1], 0x10
	s_load_b64 s[20:21], s[0:1], 0x90
	s_mov_b32 s22, ttmp9
	s_ashr_i32 s23, ttmp9, 31
	s_lshl_b32 s24, ttmp7, 5
	v_lshl_add_u32 v4, v2, 4, v1
	s_lshl_b64 s[0:1], s[22:23], 5
	s_and_b32 s22, s24, 0x1fffe0
	v_lshl_add_u32 v29, v2, 7, 0x1000
	v_add_nc_u32_e32 v14, s22, v2
	v_lshrrev_b32_e32 v12, 3, v4
	v_and_b32_e32 v10, 7, v0
	v_lshrrev_b32_e32 v13, 5, v4
	v_and_b32_e32 v15, 31, v4
	s_mov_b32 s3, 0
	v_add_co_u32 v2, s22, v12, s22
	s_wait_alu 0xf1ff
	v_add_co_ci_u32_e64 v3, null, 0, 0, s22
	v_lshlrev_b32_e32 v11, 4, v10
	s_wait_kmcnt 0x0
	v_mad_co_u64_u32 v[8:9], null, s44, v13, s[0:1]
	s_delay_alu instid0(VALU_DEP_3)
	v_mad_co_u64_u32 v[6:7], null, s50, v10, v[2:3]
	v_cmp_eq_f64_e64 s23, s[6:7], 0
	v_cmp_eq_f64_e64 s24, s[8:9], 0
	v_mad_co_u64_u32 v[4:5], null, v14, s12, 0
	v_lshl_or_b32 v17, v12, 7, v11
	v_lshlrev_b32_e32 v16, 4, v15
	v_mad_co_u64_u32 v[10:11], null, s51, v10, v[7:8]
	v_mad_co_u64_u32 v[2:3], null, v14, s18, 0
	;; [unrolled: 1-line block ×3, first 2 shown]
	s_delay_alu instid0(VALU_DEP_4)
	v_lshl_or_b32 v30, v13, 9, v16
	v_add_co_u32 v8, vcc_lo, v8, v15
	v_mad_co_u64_u32 v[12:13], null, s45, v13, v[9:10]
	v_dual_mov_b32 v7, v10 :: v_dual_lshlrev_b32 v28, 4, v1
	v_mov_b32_e32 v5, v11
	v_mad_co_u64_u32 v[13:14], null, v14, s19, v[3:4]
	v_add_co_u32 v0, s22, s0, v1
	v_add_co_ci_u32_e64 v9, null, 0, v12, vcc_lo
	s_delay_alu instid0(VALU_DEP_4) | instskip(SKIP_2) | instid1(VALU_DEP_4)
	v_lshlrev_b64_e32 v[4:5], 4, v[4:5]
	v_cmp_gt_i64_e64 s0, s[36:37], 0
	v_lshlrev_b64_e32 v[6:7], 4, v[6:7]
	v_lshlrev_b64_e32 v[8:9], 4, v[8:9]
	s_wait_alu 0xf1ff
	v_add_co_ci_u32_e64 v1, null, s1, 0, s22
	v_add_co_u32 v32, vcc_lo, s10, v4
	s_wait_alu 0xfffd
	v_add_co_ci_u32_e64 v33, null, s11, v5, vcc_lo
	v_add_co_u32 v4, vcc_lo, s42, v8
	v_cndmask_b32_e64 v8, 0, 1, s0
	s_wait_alu 0xfffd
	v_add_co_ci_u32_e64 v5, null, s43, v9, vcc_lo
	v_add_co_u32 v6, vcc_lo, s48, v6
	v_add_nc_u32_e32 v31, 0x1000, v17
	v_mov_b32_e32 v3, v13
	s_wait_alu 0xfffd
	v_add_co_ci_u32_e64 v7, null, s49, v7, vcc_lo
	v_cmp_ne_u32_e64 s0, 1, v8
	s_and_b32 s1, s23, s24
	s_lshl_b64 s[24:25], s[18:19], 4
	s_lshl_b64 s[22:23], s[12:13], 4
	s_lshl_b64 s[10:11], s[46:47], 4
	s_lshl_b64 s[12:13], s[44:45], 7
	s_lshl_b64 s[4:5], s[4:5], 4
	s_lshl_b64 s[18:19], s[50:51], 7
	s_wait_alu 0xfffe
	s_lshl_b64 s[22:23], s[22:23], 4
	s_lshl_b64 s[24:25], s[24:25], 4
	s_branch .LBB129_3
.LBB129_2:                              ;   in Loop: Header=BB129_3 Depth=1
	s_add_co_i32 s2, s2, 0x10000
	global_store_b64 v[10:11], v[8:9], off offset:8
	s_wait_alu 0xfffe
	s_cmp_lt_i32 s2, s28
	s_cbranch_scc0 .LBB129_11
.LBB129_3:                              ; =>This Loop Header: Depth=1
                                        ;     Child Loop BB129_5 Depth 2
	s_and_b32 vcc_lo, exec_lo, s0
	s_wait_alu 0xfffe
	s_cbranch_vccnz .LBB129_6
; %bb.4:                                ;   in Loop: Header=BB129_3 Depth=1
	v_mad_co_u64_u32 v[8:9], null, s10, s2, v[4:5]
	v_mad_co_u64_u32 v[10:11], null, s4, s2, v[6:7]
	v_mov_b32_e32 v14, 0
	v_dual_mov_b32 v15, 0 :: v_dual_mov_b32 v12, 0
	v_dual_mov_b32 v13, 0 :: v_dual_mov_b32 v18, 0
	v_mov_b32_e32 v22, 0
	v_mad_co_u64_u32 v[34:35], null, s11, s2, v[9:10]
	s_delay_alu instid0(VALU_DEP_4)
	v_mad_co_u64_u32 v[35:36], null, s5, s2, v[11:12]
	v_dual_mov_b32 v26, 0 :: v_dual_mov_b32 v19, 0
	v_dual_mov_b32 v16, 0 :: v_dual_mov_b32 v23, 0
	;; [unrolled: 1-line block ×4, first 2 shown]
	v_mov_b32_e32 v21, 0
	v_mov_b32_e32 v25, 0
	;; [unrolled: 1-line block ×4, first 2 shown]
	s_mov_b64 s[26:27], 0
.LBB129_5:                              ;   Parent Loop BB129_3 Depth=1
                                        ; =>  This Inner Loop Header: Depth=2
	global_load_b128 v[34:37], v[8:9], off
	global_load_b128 v[38:41], v[10:11], off
	s_wait_alu 0xfffe
	s_add_nc_u64 s[26:27], s[26:27], 8
	v_add_co_u32 v8, vcc_lo, v8, s12
	s_wait_alu 0xfffe
	v_cmp_lt_i64_e64 s29, s[26:27], s[36:37]
	s_wait_alu 0xfffd
	v_add_co_ci_u32_e64 v9, null, s13, v9, vcc_lo
	v_add_co_u32 v10, vcc_lo, v10, s18
	s_wait_alu 0xfffd
	v_add_co_ci_u32_e64 v11, null, s19, v11, vcc_lo
	s_and_b32 vcc_lo, exec_lo, s29
	s_wait_loadcnt 0x1
	ds_store_2addr_b64 v30, v[34:35], v[36:37] offset1:1
	s_wait_loadcnt 0x0
	ds_store_2addr_b64 v31, v[38:39], v[40:41] offset1:1
	s_wait_dscnt 0x0
	s_barrier_signal -1
	s_barrier_wait -1
	global_inv scope:SCOPE_SE
	ds_load_b128 v[34:37], v29
	ds_load_b128 v[38:41], v28
	ds_load_b128 v[42:45], v28 offset:256
	ds_load_b128 v[46:49], v29 offset:2048
	;; [unrolled: 1-line block ×13, first 2 shown]
	s_wait_dscnt 0xd
	v_mul_f64_e32 v[94:95], v[36:37], v[40:41]
	v_mul_f64_e32 v[96:97], v[34:35], v[40:41]
	s_wait_dscnt 0xc
	v_mul_f64_e32 v[98:99], v[36:37], v[44:45]
	v_mul_f64_e32 v[100:101], v[34:35], v[44:45]
	;; [unrolled: 3-line block ×3, first 2 shown]
	v_mul_f64_e32 v[104:105], v[48:49], v[44:45]
	v_mul_f64_e32 v[44:45], v[46:47], v[44:45]
	s_wait_dscnt 0x9
	v_mul_f64_e32 v[106:107], v[52:53], v[56:57]
	v_mul_f64_e32 v[108:109], v[50:51], v[56:57]
	s_wait_dscnt 0x7
	v_mul_f64_e32 v[110:111], v[52:53], v[64:65]
	v_mul_f64_e32 v[112:113], v[50:51], v[64:65]
	;; [unrolled: 1-line block ×6, first 2 shown]
	s_wait_dscnt 0x3
	v_mul_f64_e32 v[120:121], v[66:67], v[80:81]
	s_wait_dscnt 0x1
	v_mul_f64_e32 v[122:123], v[88:89], v[76:77]
	v_mul_f64_e32 v[124:125], v[88:89], v[80:81]
	v_fma_f64 v[94:95], v[34:35], v[38:39], -v[94:95]
	v_fma_f64 v[96:97], v[36:37], v[38:39], v[96:97]
	v_fma_f64 v[98:99], v[34:35], v[42:43], -v[98:99]
	v_fma_f64 v[100:101], v[36:37], v[42:43], v[100:101]
	;; [unrolled: 2-line block ×4, first 2 shown]
	v_mul_f64_e32 v[44:45], v[68:69], v[76:77]
	v_mul_f64_e32 v[48:49], v[66:67], v[76:77]
	;; [unrolled: 1-line block ×5, first 2 shown]
	v_fma_f64 v[106:107], v[50:51], v[54:55], -v[106:107]
	v_fma_f64 v[108:109], v[52:53], v[54:55], v[108:109]
	v_fma_f64 v[50:51], v[50:51], v[62:63], -v[110:111]
	v_fma_f64 v[52:53], v[52:53], v[62:63], v[112:113]
	;; [unrolled: 2-line block ×4, first 2 shown]
	ds_load_b128 v[34:37], v28 offset:1792
	ds_load_b128 v[38:41], v29 offset:64
	v_mul_f64_e32 v[64:65], v[72:73], v[84:85]
	v_add_f64_e32 v[24:25], v[24:25], v[94:95]
	v_add_f64_e32 v[26:27], v[96:97], v[26:27]
	v_add_f64_e32 v[20:21], v[20:21], v[98:99]
	v_add_f64_e32 v[22:23], v[100:101], v[22:23]
	v_add_f64_e32 v[60:61], v[16:17], v[102:103]
	v_add_f64_e32 v[62:63], v[118:119], v[18:19]
	v_add_f64_e32 v[46:47], v[12:13], v[46:47]
	v_add_f64_e32 v[42:43], v[42:43], v[14:15]
	v_mul_f64_e32 v[94:95], v[70:71], v[84:85]
	s_wait_dscnt 0x1
	v_mul_f64_e32 v[96:97], v[72:73], v[36:37]
	v_mul_f64_e32 v[98:99], v[70:71], v[36:37]
	;; [unrolled: 1-line block ×6, first 2 shown]
	v_fma_f64 v[112:113], v[66:67], v[74:75], -v[44:45]
	v_fma_f64 v[114:115], v[68:69], v[74:75], v[48:49]
	v_fma_f64 v[66:67], v[66:67], v[78:79], -v[104:105]
	v_fma_f64 v[68:69], v[68:69], v[78:79], v[120:121]
	;; [unrolled: 2-line block ×4, first 2 shown]
	ds_load_b128 v[12:15], v28 offset:2048
	ds_load_b128 v[16:19], v28 offset:2304
	v_fma_f64 v[64:65], v[70:71], v[82:83], -v[64:65]
	v_add_f64_e32 v[80:81], v[24:25], v[106:107]
	v_add_f64_e32 v[86:87], v[108:109], v[26:27]
	;; [unrolled: 1-line block ×8, first 2 shown]
	ds_load_b128 v[20:23], v29 offset:2112
	ds_load_b128 v[24:27], v29 offset:80
	;; [unrolled: 1-line block ×4, first 2 shown]
	s_wait_dscnt 0x5
	v_mul_f64_e32 v[62:63], v[40:41], v[14:15]
	v_mul_f64_e32 v[88:89], v[38:39], v[14:15]
	s_wait_dscnt 0x4
	v_mul_f64_e32 v[106:107], v[40:41], v[18:19]
	v_mul_f64_e32 v[108:109], v[38:39], v[18:19]
	v_fma_f64 v[94:95], v[72:73], v[82:83], v[94:95]
	v_fma_f64 v[70:71], v[70:71], v[34:35], -v[96:97]
	v_fma_f64 v[72:73], v[72:73], v[34:35], v[98:99]
	v_fma_f64 v[96:97], v[90:91], v[82:83], -v[100:101]
	;; [unrolled: 2-line block ×3, first 2 shown]
	v_fma_f64 v[90:91], v[92:93], v[34:35], v[36:37]
	s_wait_dscnt 0x3
	v_mul_f64_e32 v[110:111], v[22:23], v[14:15]
	v_mul_f64_e32 v[14:15], v[20:21], v[14:15]
	;; [unrolled: 1-line block ×4, first 2 shown]
	s_wait_dscnt 0x1
	v_mul_f64_e32 v[98:99], v[26:27], v[44:45]
	v_mul_f64_e32 v[100:101], v[24:25], v[44:45]
	v_add_f64_e32 v[80:81], v[80:81], v[112:113]
	v_add_f64_e32 v[86:87], v[114:115], v[86:87]
	;; [unrolled: 1-line block ×8, first 2 shown]
	ds_load_b128 v[34:37], v28 offset:2816
	ds_load_b128 v[50:53], v29 offset:96
	;; [unrolled: 1-line block ×4, first 2 shown]
	s_wait_dscnt 0x4
	v_mul_f64_e32 v[112:113], v[48:49], v[44:45]
	v_mul_f64_e32 v[44:45], v[46:47], v[44:45]
	v_fma_f64 v[62:63], v[38:39], v[12:13], -v[62:63]
	v_fma_f64 v[88:89], v[40:41], v[12:13], v[88:89]
	v_fma_f64 v[106:107], v[38:39], v[16:17], -v[106:107]
	v_fma_f64 v[40:41], v[40:41], v[16:17], v[108:109]
	s_wait_dscnt 0x3
	v_mul_f64_e32 v[102:103], v[26:27], v[36:37]
	v_mul_f64_e32 v[104:105], v[24:25], v[36:37]
	;; [unrolled: 1-line block ×4, first 2 shown]
	v_fma_f64 v[108:109], v[20:21], v[12:13], -v[110:111]
	v_fma_f64 v[110:111], v[22:23], v[12:13], v[14:15]
	v_fma_f64 v[116:117], v[20:21], v[16:17], -v[116:117]
	v_fma_f64 v[120:121], v[22:23], v[16:17], v[18:19]
	ds_load_b128 v[12:15], v29 offset:2144
	ds_load_b128 v[16:19], v29 offset:112
	;; [unrolled: 1-line block ×4, first 2 shown]
	v_add_f64_e32 v[64:65], v[80:81], v[64:65]
	v_add_f64_e32 v[80:81], v[94:95], v[86:87]
	v_add_f64_e32 v[66:67], v[66:67], v[70:71]
	v_add_f64_e32 v[68:69], v[72:73], v[68:69]
	v_add_f64_e32 v[70:71], v[92:93], v[96:97]
	v_add_f64_e32 v[72:73], v[82:83], v[74:75]
	v_add_f64_e32 v[74:75], v[76:77], v[84:85]
	v_add_f64_e32 v[76:77], v[90:91], v[78:79]
	s_wait_dscnt 0x5
	v_mul_f64_e32 v[78:79], v[52:53], v[56:57]
	v_mul_f64_e32 v[82:83], v[50:51], v[56:57]
	s_wait_dscnt 0x4
	v_mul_f64_e32 v[84:85], v[52:53], v[60:61]
	v_mul_f64_e32 v[86:87], v[50:51], v[60:61]
	;; [unrolled: 3-line block ×3, first 2 shown]
	v_mul_f64_e32 v[92:93], v[14:15], v[60:61]
	v_mul_f64_e32 v[60:61], v[12:13], v[60:61]
	v_fma_f64 v[94:95], v[24:25], v[42:43], -v[98:99]
	v_fma_f64 v[96:97], v[26:27], v[42:43], v[100:101]
	v_fma_f64 v[98:99], v[24:25], v[34:35], -v[102:103]
	v_fma_f64 v[100:101], v[26:27], v[34:35], v[104:105]
	;; [unrolled: 2-line block ×4, first 2 shown]
	ds_load_b128 v[24:27], v28 offset:3840
	s_wait_loadcnt_dscnt 0x0
	s_barrier_signal -1
	s_barrier_wait -1
	global_inv scope:SCOPE_SE
	v_add_f64_e32 v[46:47], v[64:65], v[62:63]
	v_add_f64_e32 v[48:49], v[88:89], v[80:81]
	;; [unrolled: 1-line block ×8, first 2 shown]
	v_mul_f64_e32 v[72:73], v[18:19], v[22:23]
	v_mul_f64_e32 v[74:75], v[16:17], v[22:23]
	;; [unrolled: 1-line block ×4, first 2 shown]
	v_fma_f64 v[78:79], v[50:51], v[54:55], -v[78:79]
	v_mul_f64_e32 v[76:77], v[18:19], v[26:27]
	v_mul_f64_e32 v[80:81], v[16:17], v[26:27]
	;; [unrolled: 1-line block ×4, first 2 shown]
	v_fma_f64 v[82:83], v[52:53], v[54:55], v[82:83]
	v_fma_f64 v[50:51], v[50:51], v[58:59], -v[84:85]
	v_fma_f64 v[52:53], v[52:53], v[58:59], v[86:87]
	v_fma_f64 v[84:85], v[12:13], v[54:55], -v[90:91]
	;; [unrolled: 2-line block ×3, first 2 shown]
	v_fma_f64 v[14:15], v[14:15], v[58:59], v[60:61]
	v_add_f64_e32 v[46:47], v[46:47], v[94:95]
	v_add_f64_e32 v[48:49], v[96:97], v[48:49]
	;; [unrolled: 1-line block ×8, first 2 shown]
	v_fma_f64 v[60:61], v[16:17], v[20:21], -v[72:73]
	v_fma_f64 v[62:63], v[18:19], v[20:21], v[74:75]
	v_fma_f64 v[64:65], v[36:37], v[20:21], -v[88:89]
	v_fma_f64 v[66:67], v[38:39], v[20:21], v[22:23]
	;; [unrolled: 2-line block ×4, first 2 shown]
	v_add_f64_e32 v[20:21], v[46:47], v[78:79]
	v_add_f64_e32 v[22:23], v[82:83], v[48:49]
	;; [unrolled: 1-line block ×16, first 2 shown]
	s_wait_alu 0xfffe
	s_cbranch_vccnz .LBB129_5
	s_branch .LBB129_7
.LBB129_6:                              ;   in Loop: Header=BB129_3 Depth=1
	v_mov_b32_e32 v24, 0
	v_mov_b32_e32 v20, 0
	;; [unrolled: 1-line block ×3, first 2 shown]
	v_dual_mov_b32 v12, 0 :: v_dual_mov_b32 v25, 0
	v_dual_mov_b32 v26, 0 :: v_dual_mov_b32 v21, 0
	;; [unrolled: 1-line block ×5, first 2 shown]
	v_mov_b32_e32 v23, 0
	v_mov_b32_e32 v19, 0
	;; [unrolled: 1-line block ×3, first 2 shown]
.LBB129_7:                              ;   in Loop: Header=BB129_3 Depth=1
	s_mul_u64 s[26:27], s[20:21], s[2:3]
	s_and_not1_b32 vcc_lo, exec_lo, s1
	s_wait_alu 0xfffe
	s_lshl_b64 s[26:27], s[26:27], 4
	s_mov_b32 s29, -1
	s_wait_alu 0xfffe
	s_add_nc_u64 s[26:27], s[16:17], s[26:27]
                                        ; implicit-def: $vgpr8_vgpr9
                                        ; implicit-def: $vgpr10_vgpr11
	s_cbranch_vccz .LBB129_9
; %bb.8:                                ;   in Loop: Header=BB129_3 Depth=1
	s_and_not1_b32 vcc_lo, exec_lo, s29
	s_wait_alu 0xfffe
	s_cbranch_vccnz .LBB129_2
	s_branch .LBB129_10
.LBB129_9:                              ;   in Loop: Header=BB129_3 Depth=1
	v_mul_f64_e32 v[8:9], s[40:41], v[26:27]
	v_mul_f64_e32 v[10:11], s[38:39], v[26:27]
	s_delay_alu instid0(VALU_DEP_3)
	v_mul_f64_e32 v[48:49], s[38:39], v[14:15]
	v_mul_f64_e32 v[38:39], s[40:41], v[22:23]
	;; [unrolled: 1-line block ×6, first 2 shown]
	v_fma_f64 v[34:35], s[38:39], v[24:25], -v[8:9]
	v_fma_f64 v[36:37], s[40:41], v[24:25], v[10:11]
	v_fma_f64 v[8:9], s[40:41], v[12:13], v[48:49]
	v_fma_f64 v[38:39], s[38:39], v[20:21], -v[38:39]
	v_fma_f64 v[40:41], s[40:41], v[20:21], v[40:41]
	v_fma_f64 v[42:43], s[38:39], v[16:17], -v[42:43]
	v_fma_f64 v[44:45], s[40:41], v[16:17], v[44:45]
	v_fma_f64 v[46:47], s[38:39], v[12:13], -v[46:47]
	v_lshlrev_b64_e32 v[10:11], 4, v[2:3]
	s_wait_alu 0xfffe
	s_delay_alu instid0(VALU_DEP_1) | instskip(SKIP_1) | instid1(VALU_DEP_2)
	v_add_co_u32 v50, vcc_lo, s26, v10
	s_wait_alu 0xfffd
	v_add_co_ci_u32_e64 v51, null, s27, v11, vcc_lo
	v_lshlrev_b64_e32 v[10:11], 4, v[0:1]
	s_delay_alu instid0(VALU_DEP_3) | instskip(SKIP_1) | instid1(VALU_DEP_3)
	v_add_co_u32 v48, vcc_lo, v50, s24
	s_wait_alu 0xfffd
	v_add_co_ci_u32_e64 v49, null, s25, v51, vcc_lo
	s_delay_alu instid0(VALU_DEP_2) | instskip(SKIP_1) | instid1(VALU_DEP_2)
	v_add_co_u32 v48, vcc_lo, v48, v10
	s_wait_alu 0xfffd
	v_add_co_ci_u32_e64 v49, null, v49, v11, vcc_lo
	v_add_co_u32 v50, vcc_lo, v50, v10
	s_wait_alu 0xfffd
	v_add_co_ci_u32_e64 v51, null, v51, v11, vcc_lo
	;; [unrolled: 3-line block ×3, first 2 shown]
	s_clause 0x3
	global_store_b128 v[50:51], v[34:37], off
	global_store_b128 v[50:51], v[38:41], off offset:256
	global_store_b128 v[48:49], v[42:45], off
	global_store_b64 v[48:49], v[46:47], off offset:256
	s_cbranch_execnz .LBB129_2
.LBB129_10:                             ;   in Loop: Header=BB129_3 Depth=1
	s_mul_u64 s[30:31], s[14:15], s[2:3]
	v_lshlrev_b64_e32 v[34:35], 4, v[0:1]
	s_wait_alu 0xfffe
	s_lshl_b64 s[30:31], s[30:31], 4
	v_mul_f64_e32 v[38:39], s[40:41], v[26:27]
	s_wait_alu 0xfffe
	v_add_co_u32 v42, vcc_lo, v32, s30
	s_wait_alu 0xfffd
	v_add_co_ci_u32_e64 v43, null, s31, v33, vcc_lo
	v_mul_f64_e32 v[26:27], s[38:39], v[26:27]
	s_delay_alu instid0(VALU_DEP_3) | instskip(SKIP_1) | instid1(VALU_DEP_3)
	v_add_co_u32 v36, vcc_lo, v42, v34
	s_wait_alu 0xfffd
	v_add_co_ci_u32_e64 v37, null, v43, v35, vcc_lo
	global_load_b128 v[8:11], v[36:37], off
	v_fma_f64 v[38:39], s[38:39], v[24:25], -v[38:39]
	v_fma_f64 v[24:25], s[40:41], v[24:25], v[26:27]
	s_wait_loadcnt 0x0
	v_mul_f64_e32 v[40:41], s[8:9], v[10:11]
	v_mul_f64_e32 v[10:11], s[6:7], v[10:11]
	s_delay_alu instid0(VALU_DEP_2) | instskip(NEXT) | instid1(VALU_DEP_2)
	v_fma_f64 v[26:27], s[6:7], v[8:9], -v[40:41]
	v_fma_f64 v[10:11], s[8:9], v[8:9], v[10:11]
	s_delay_alu instid0(VALU_DEP_2) | instskip(NEXT) | instid1(VALU_DEP_2)
	v_add_f64_e32 v[8:9], v[38:39], v[26:27]
	v_add_f64_e32 v[10:11], v[24:25], v[10:11]
	v_lshlrev_b64_e32 v[24:25], 4, v[2:3]
	v_mul_f64_e32 v[26:27], s[40:41], v[22:23]
	v_mul_f64_e32 v[22:23], s[38:39], v[22:23]
	s_delay_alu instid0(VALU_DEP_3) | instskip(SKIP_1) | instid1(VALU_DEP_4)
	v_add_co_u32 v38, vcc_lo, s26, v24
	s_wait_alu 0xfffd
	v_add_co_ci_u32_e64 v39, null, s27, v25, vcc_lo
	s_delay_alu instid0(VALU_DEP_2) | instskip(SKIP_1) | instid1(VALU_DEP_2)
	v_add_co_u32 v24, vcc_lo, v38, v34
	s_wait_alu 0xfffd
	v_add_co_ci_u32_e64 v25, null, v39, v35, vcc_lo
	global_store_b128 v[24:25], v[8:11], off
	global_load_b128 v[8:11], v[36:37], off offset:256
	v_fma_f64 v[26:27], s[38:39], v[20:21], -v[26:27]
	v_fma_f64 v[20:21], s[40:41], v[20:21], v[22:23]
	s_wait_loadcnt 0x0
	v_mul_f64_e32 v[36:37], s[8:9], v[10:11]
	v_mul_f64_e32 v[10:11], s[6:7], v[10:11]
	s_delay_alu instid0(VALU_DEP_2) | instskip(NEXT) | instid1(VALU_DEP_2)
	v_fma_f64 v[22:23], s[6:7], v[8:9], -v[36:37]
	v_fma_f64 v[10:11], s[8:9], v[8:9], v[10:11]
	s_delay_alu instid0(VALU_DEP_2) | instskip(NEXT) | instid1(VALU_DEP_2)
	v_add_f64_e32 v[8:9], v[26:27], v[22:23]
	v_add_f64_e32 v[10:11], v[20:21], v[10:11]
	v_add_co_u32 v20, vcc_lo, v42, s22
	s_wait_alu 0xfffd
	v_add_co_ci_u32_e64 v21, null, s23, v43, vcc_lo
	v_mul_f64_e32 v[22:23], s[40:41], v[18:19]
	s_delay_alu instid0(VALU_DEP_3) | instskip(SKIP_1) | instid1(VALU_DEP_3)
	v_add_co_u32 v20, vcc_lo, v20, v34
	s_wait_alu 0xfffd
	v_add_co_ci_u32_e64 v21, null, v21, v35, vcc_lo
	v_mul_f64_e32 v[18:19], s[38:39], v[18:19]
	global_store_b128 v[24:25], v[8:11], off offset:256
	global_load_b128 v[8:11], v[20:21], off
	v_fma_f64 v[22:23], s[38:39], v[16:17], -v[22:23]
	v_fma_f64 v[16:17], s[40:41], v[16:17], v[18:19]
	s_wait_loadcnt 0x0
	v_mul_f64_e32 v[24:25], s[8:9], v[10:11]
	v_mul_f64_e32 v[10:11], s[6:7], v[10:11]
	s_delay_alu instid0(VALU_DEP_2) | instskip(NEXT) | instid1(VALU_DEP_2)
	v_fma_f64 v[18:19], s[6:7], v[8:9], -v[24:25]
	v_fma_f64 v[10:11], s[8:9], v[8:9], v[10:11]
	s_delay_alu instid0(VALU_DEP_2) | instskip(NEXT) | instid1(VALU_DEP_2)
	v_add_f64_e32 v[8:9], v[22:23], v[18:19]
	v_add_f64_e32 v[10:11], v[16:17], v[10:11]
	v_add_co_u32 v16, vcc_lo, v38, s24
	s_wait_alu 0xfffd
	v_add_co_ci_u32_e64 v17, null, s25, v39, vcc_lo
	v_mul_f64_e32 v[18:19], s[40:41], v[14:15]
	s_delay_alu instid0(VALU_DEP_3) | instskip(SKIP_1) | instid1(VALU_DEP_3)
	v_add_co_u32 v16, vcc_lo, v16, v34
	s_wait_alu 0xfffd
	v_add_co_ci_u32_e64 v17, null, v17, v35, vcc_lo
	v_mul_f64_e32 v[14:15], s[38:39], v[14:15]
	global_store_b128 v[16:17], v[8:11], off
	global_load_b128 v[8:11], v[20:21], off offset:256
	v_fma_f64 v[18:19], s[38:39], v[12:13], -v[18:19]
	v_fma_f64 v[12:13], s[40:41], v[12:13], v[14:15]
	s_wait_loadcnt 0x0
	v_mul_f64_e32 v[20:21], s[8:9], v[10:11]
	v_mul_f64_e32 v[10:11], s[6:7], v[10:11]
	s_delay_alu instid0(VALU_DEP_2) | instskip(NEXT) | instid1(VALU_DEP_2)
	v_fma_f64 v[14:15], s[6:7], v[8:9], -v[20:21]
	v_fma_f64 v[8:9], s[8:9], v[8:9], v[10:11]
	v_add_co_u32 v10, vcc_lo, 0x100, v16
	s_wait_alu 0xfffd
	v_add_co_ci_u32_e64 v11, null, 0, v17, vcc_lo
	s_delay_alu instid0(VALU_DEP_4) | instskip(NEXT) | instid1(VALU_DEP_4)
	v_add_f64_e32 v[14:15], v[18:19], v[14:15]
	v_add_f64_e32 v[8:9], v[12:13], v[8:9]
	global_store_b64 v[16:17], v[14:15], off offset:256
	s_branch .LBB129_2
.LBB129_11:
	s_nop 0
	s_sendmsg sendmsg(MSG_DEALLOC_VGPRS)
	s_endpgm
	.section	.rodata,"a",@progbits
	.p2align	6, 0x0
	.amdhsa_kernel _ZN12_GLOBAL__N_127rocblas_gemm_batched_kernelI19rocblas_complex_numIdELi16ELi16ELi32ELi32ELi8ELi32ELi8ELi8ELi32ELc78ELc84EKS2_S3_S2_EEvlllT_PT11_llS6_llS4_PT12_llPT13_lli
		.amdhsa_group_segment_fixed_size 8192
		.amdhsa_private_segment_fixed_size 0
		.amdhsa_kernarg_size 156
		.amdhsa_user_sgpr_count 2
		.amdhsa_user_sgpr_dispatch_ptr 0
		.amdhsa_user_sgpr_queue_ptr 0
		.amdhsa_user_sgpr_kernarg_segment_ptr 1
		.amdhsa_user_sgpr_dispatch_id 0
		.amdhsa_user_sgpr_private_segment_size 0
		.amdhsa_wavefront_size32 1
		.amdhsa_uses_dynamic_stack 0
		.amdhsa_enable_private_segment 0
		.amdhsa_system_sgpr_workgroup_id_x 1
		.amdhsa_system_sgpr_workgroup_id_y 1
		.amdhsa_system_sgpr_workgroup_id_z 1
		.amdhsa_system_sgpr_workgroup_info 0
		.amdhsa_system_vgpr_workitem_id 1
		.amdhsa_next_free_vgpr 126
		.amdhsa_next_free_sgpr 52
		.amdhsa_reserve_vcc 1
		.amdhsa_float_round_mode_32 0
		.amdhsa_float_round_mode_16_64 0
		.amdhsa_float_denorm_mode_32 3
		.amdhsa_float_denorm_mode_16_64 3
		.amdhsa_fp16_overflow 0
		.amdhsa_workgroup_processor_mode 1
		.amdhsa_memory_ordered 1
		.amdhsa_forward_progress 1
		.amdhsa_inst_pref_size 25
		.amdhsa_round_robin_scheduling 0
		.amdhsa_exception_fp_ieee_invalid_op 0
		.amdhsa_exception_fp_denorm_src 0
		.amdhsa_exception_fp_ieee_div_zero 0
		.amdhsa_exception_fp_ieee_overflow 0
		.amdhsa_exception_fp_ieee_underflow 0
		.amdhsa_exception_fp_ieee_inexact 0
		.amdhsa_exception_int_div_zero 0
	.end_amdhsa_kernel
	.section	.text._ZN12_GLOBAL__N_127rocblas_gemm_batched_kernelI19rocblas_complex_numIdELi16ELi16ELi32ELi32ELi8ELi32ELi8ELi8ELi32ELc78ELc84EKS2_S3_S2_EEvlllT_PT11_llS6_llS4_PT12_llPT13_lli,"axG",@progbits,_ZN12_GLOBAL__N_127rocblas_gemm_batched_kernelI19rocblas_complex_numIdELi16ELi16ELi32ELi32ELi8ELi32ELi8ELi8ELi32ELc78ELc84EKS2_S3_S2_EEvlllT_PT11_llS6_llS4_PT12_llPT13_lli,comdat
.Lfunc_end129:
	.size	_ZN12_GLOBAL__N_127rocblas_gemm_batched_kernelI19rocblas_complex_numIdELi16ELi16ELi32ELi32ELi8ELi32ELi8ELi8ELi32ELc78ELc84EKS2_S3_S2_EEvlllT_PT11_llS6_llS4_PT12_llPT13_lli, .Lfunc_end129-_ZN12_GLOBAL__N_127rocblas_gemm_batched_kernelI19rocblas_complex_numIdELi16ELi16ELi32ELi32ELi8ELi32ELi8ELi8ELi32ELc78ELc84EKS2_S3_S2_EEvlllT_PT11_llS6_llS4_PT12_llPT13_lli
                                        ; -- End function
	.set _ZN12_GLOBAL__N_127rocblas_gemm_batched_kernelI19rocblas_complex_numIdELi16ELi16ELi32ELi32ELi8ELi32ELi8ELi8ELi32ELc78ELc84EKS2_S3_S2_EEvlllT_PT11_llS6_llS4_PT12_llPT13_lli.num_vgpr, 126
	.set _ZN12_GLOBAL__N_127rocblas_gemm_batched_kernelI19rocblas_complex_numIdELi16ELi16ELi32ELi32ELi8ELi32ELi8ELi8ELi32ELc78ELc84EKS2_S3_S2_EEvlllT_PT11_llS6_llS4_PT12_llPT13_lli.num_agpr, 0
	.set _ZN12_GLOBAL__N_127rocblas_gemm_batched_kernelI19rocblas_complex_numIdELi16ELi16ELi32ELi32ELi8ELi32ELi8ELi8ELi32ELc78ELc84EKS2_S3_S2_EEvlllT_PT11_llS6_llS4_PT12_llPT13_lli.numbered_sgpr, 52
	.set _ZN12_GLOBAL__N_127rocblas_gemm_batched_kernelI19rocblas_complex_numIdELi16ELi16ELi32ELi32ELi8ELi32ELi8ELi8ELi32ELc78ELc84EKS2_S3_S2_EEvlllT_PT11_llS6_llS4_PT12_llPT13_lli.num_named_barrier, 0
	.set _ZN12_GLOBAL__N_127rocblas_gemm_batched_kernelI19rocblas_complex_numIdELi16ELi16ELi32ELi32ELi8ELi32ELi8ELi8ELi32ELc78ELc84EKS2_S3_S2_EEvlllT_PT11_llS6_llS4_PT12_llPT13_lli.private_seg_size, 0
	.set _ZN12_GLOBAL__N_127rocblas_gemm_batched_kernelI19rocblas_complex_numIdELi16ELi16ELi32ELi32ELi8ELi32ELi8ELi8ELi32ELc78ELc84EKS2_S3_S2_EEvlllT_PT11_llS6_llS4_PT12_llPT13_lli.uses_vcc, 1
	.set _ZN12_GLOBAL__N_127rocblas_gemm_batched_kernelI19rocblas_complex_numIdELi16ELi16ELi32ELi32ELi8ELi32ELi8ELi8ELi32ELc78ELc84EKS2_S3_S2_EEvlllT_PT11_llS6_llS4_PT12_llPT13_lli.uses_flat_scratch, 0
	.set _ZN12_GLOBAL__N_127rocblas_gemm_batched_kernelI19rocblas_complex_numIdELi16ELi16ELi32ELi32ELi8ELi32ELi8ELi8ELi32ELc78ELc84EKS2_S3_S2_EEvlllT_PT11_llS6_llS4_PT12_llPT13_lli.has_dyn_sized_stack, 0
	.set _ZN12_GLOBAL__N_127rocblas_gemm_batched_kernelI19rocblas_complex_numIdELi16ELi16ELi32ELi32ELi8ELi32ELi8ELi8ELi32ELc78ELc84EKS2_S3_S2_EEvlllT_PT11_llS6_llS4_PT12_llPT13_lli.has_recursion, 0
	.set _ZN12_GLOBAL__N_127rocblas_gemm_batched_kernelI19rocblas_complex_numIdELi16ELi16ELi32ELi32ELi8ELi32ELi8ELi8ELi32ELc78ELc84EKS2_S3_S2_EEvlllT_PT11_llS6_llS4_PT12_llPT13_lli.has_indirect_call, 0
	.section	.AMDGPU.csdata,"",@progbits
; Kernel info:
; codeLenInByte = 3160
; TotalNumSgprs: 54
; NumVgprs: 126
; ScratchSize: 0
; MemoryBound: 0
; FloatMode: 240
; IeeeMode: 1
; LDSByteSize: 8192 bytes/workgroup (compile time only)
; SGPRBlocks: 0
; VGPRBlocks: 15
; NumSGPRsForWavesPerEU: 54
; NumVGPRsForWavesPerEU: 126
; Occupancy: 10
; WaveLimiterHint : 1
; COMPUTE_PGM_RSRC2:SCRATCH_EN: 0
; COMPUTE_PGM_RSRC2:USER_SGPR: 2
; COMPUTE_PGM_RSRC2:TRAP_HANDLER: 0
; COMPUTE_PGM_RSRC2:TGID_X_EN: 1
; COMPUTE_PGM_RSRC2:TGID_Y_EN: 1
; COMPUTE_PGM_RSRC2:TGID_Z_EN: 1
; COMPUTE_PGM_RSRC2:TIDIG_COMP_CNT: 1
	.section	.text._ZN12_GLOBAL__N_127rocblas_gemm_batched_kernelI19rocblas_complex_numIdELi16ELi16ELi32ELi32ELi8ELi32ELi8ELi8ELi32ELc84ELc84EKS2_S3_S2_EEvlllT_PT11_llS6_llS4_PT12_llPT13_lli,"axG",@progbits,_ZN12_GLOBAL__N_127rocblas_gemm_batched_kernelI19rocblas_complex_numIdELi16ELi16ELi32ELi32ELi8ELi32ELi8ELi8ELi32ELc84ELc84EKS2_S3_S2_EEvlllT_PT11_llS6_llS4_PT12_llPT13_lli,comdat
	.globl	_ZN12_GLOBAL__N_127rocblas_gemm_batched_kernelI19rocblas_complex_numIdELi16ELi16ELi32ELi32ELi8ELi32ELi8ELi8ELi32ELc84ELc84EKS2_S3_S2_EEvlllT_PT11_llS6_llS4_PT12_llPT13_lli ; -- Begin function _ZN12_GLOBAL__N_127rocblas_gemm_batched_kernelI19rocblas_complex_numIdELi16ELi16ELi32ELi32ELi8ELi32ELi8ELi8ELi32ELc84ELc84EKS2_S3_S2_EEvlllT_PT11_llS6_llS4_PT12_llPT13_lli
	.p2align	8
	.type	_ZN12_GLOBAL__N_127rocblas_gemm_batched_kernelI19rocblas_complex_numIdELi16ELi16ELi32ELi32ELi8ELi32ELi8ELi8ELi32ELc84ELc84EKS2_S3_S2_EEvlllT_PT11_llS6_llS4_PT12_llPT13_lli,@function
_ZN12_GLOBAL__N_127rocblas_gemm_batched_kernelI19rocblas_complex_numIdELi16ELi16ELi32ELi32ELi8ELi32ELi8ELi8ELi32ELc84ELc84EKS2_S3_S2_EEvlllT_PT11_llS6_llS4_PT12_llPT13_lli: ; @_ZN12_GLOBAL__N_127rocblas_gemm_batched_kernelI19rocblas_complex_numIdELi16ELi16ELi32ELi32ELi8ELi32ELi8ELi8ELi32ELc84ELc84EKS2_S3_S2_EEvlllT_PT11_llS6_llS4_PT12_llPT13_lli
; %bb.0:
	s_load_b32 s26, s[0:1], 0x98
	s_lshr_b32 s2, ttmp7, 16
	s_wait_kmcnt 0x0
	s_cmp_ge_i32 s2, s26
	s_cbranch_scc1 .LBB130_11
; %bb.1:
	s_clause 0x2
	s_load_b512 s[4:19], s[0:1], 0x50
	s_load_b512 s[36:51], s[0:1], 0x10
	s_load_b64 s[20:21], s[0:1], 0x90
	v_and_b32_e32 v13, 0x3ff, v0
	v_bfe_u32 v2, v0, 10, 10
	s_mov_b32 s22, ttmp9
	s_ashr_i32 s23, ttmp9, 31
	s_lshl_b32 s24, ttmp7, 5
	s_lshl_b64 s[0:1], s[22:23], 5
	v_lshl_add_u32 v3, v2, 4, v13
	s_and_b32 s22, s24, 0x1fffe0
	v_lshl_add_u32 v29, v2, 7, 0x1000
	v_add_nc_u32_e32 v12, s22, v2
	s_mov_b32 s3, 0
	v_lshrrev_b32_e32 v9, 3, v3
	v_and_b32_e32 v11, 31, v3
	v_lshrrev_b32_e32 v14, 5, v3
	s_delay_alu instid0(VALU_DEP_2) | instskip(SKIP_4) | instid1(VALU_DEP_1)
	v_or_b32_e32 v3, s0, v11
	s_wait_kmcnt 0x0
	v_mad_co_u64_u32 v[6:7], null, v12, s12, 0
	v_and_b32_e32 v10, 7, v0
	v_add_co_u32 v0, s25, v9, s22
	v_add_co_ci_u32_e64 v1, null, 0, 0, s25
	s_delay_alu instid0(VALU_DEP_3)
	v_lshlrev_b32_e32 v8, 4, v10
	v_mul_lo_u32 v17, s45, v3
	v_cmp_eq_f64_e64 s23, s[6:7], 0
	v_cmp_eq_f64_e64 s24, s[8:9], 0
	v_lshlrev_b32_e32 v15, 4, v11
	v_lshl_or_b32 v16, v9, 7, v8
	v_mad_co_u64_u32 v[8:9], null, s44, v3, 0
	v_mov_b32_e32 v3, v7
	v_mad_co_u64_u32 v[4:5], null, s50, v10, v[0:1]
	v_mad_co_u64_u32 v[0:1], null, v12, s18, 0
	v_lshl_or_b32 v30, v14, 9, v15
	v_add_nc_u32_e32 v31, 0x1000, v16
	s_lshl_b64 s[4:5], s[4:5], 4
	s_delay_alu instid0(VALU_DEP_4) | instskip(NEXT) | instid1(VALU_DEP_1)
	v_mov_b32_e32 v2, v5
	v_mad_co_u64_u32 v[10:11], null, s51, v10, v[2:3]
	v_mad_co_u64_u32 v[1:2], null, v12, s19, v[1:2]
	;; [unrolled: 1-line block ×3, first 2 shown]
	v_add_co_u32 v2, s0, s0, v13
	s_wait_alu 0xf1ff
	v_add_co_ci_u32_e64 v3, null, s1, 0, s0
	s_mul_i32 s0, s44, s1
	v_dual_mov_b32 v5, v10 :: v_dual_lshlrev_b32 v28, 4, v13
	v_mov_b32_e32 v7, v11
	s_wait_alu 0xfffe
	v_add3_u32 v9, v9, s0, v17
	v_lshlrev_b32_e32 v10, 4, v14
	v_cmp_gt_i64_e64 s0, s[36:37], 0
	v_lshlrev_b64_e32 v[6:7], 4, v[6:7]
	s_delay_alu instid0(VALU_DEP_4)
	v_lshlrev_b64_e32 v[8:9], 4, v[8:9]
	s_and_b32 s1, s23, s24
	s_lshl_b64 s[22:23], s[18:19], 4
	s_lshl_b64 s[18:19], s[12:13], 4
	;; [unrolled: 1-line block ×3, first 2 shown]
	v_add_co_u32 v32, vcc_lo, s10, v6
	s_delay_alu instid0(VALU_DEP_1) | instskip(SKIP_4) | instid1(VALU_DEP_3)
	v_add_co_ci_u32_e64 v33, null, s11, v7, vcc_lo
	v_add_co_u32 v8, vcc_lo, v8, v10
	v_lshlrev_b64_e32 v[6:7], 4, v[4:5]
	s_wait_alu 0xfffd
	v_add_co_ci_u32_e64 v9, null, 0, v9, vcc_lo
	v_add_co_u32 v4, vcc_lo, s42, v8
	v_cndmask_b32_e64 v8, 0, 1, s0
	s_wait_alu 0xfffd
	s_delay_alu instid0(VALU_DEP_3)
	v_add_co_ci_u32_e64 v5, null, s43, v9, vcc_lo
	v_add_co_u32 v6, vcc_lo, s48, v6
	s_wait_alu 0xfffd
	v_add_co_ci_u32_e64 v7, null, s49, v7, vcc_lo
	v_cmp_ne_u32_e64 s0, 1, v8
	s_lshl_b64 s[10:11], s[46:47], 4
	s_wait_alu 0xfffe
	s_lshl_b64 s[18:19], s[18:19], 4
	s_lshl_b64 s[22:23], s[22:23], 4
	s_branch .LBB130_3
.LBB130_2:                              ;   in Loop: Header=BB130_3 Depth=1
	s_add_co_i32 s2, s2, 0x10000
	global_store_b64 v[10:11], v[8:9], off offset:8
	s_wait_alu 0xfffe
	s_cmp_lt_i32 s2, s26
	s_cbranch_scc0 .LBB130_11
.LBB130_3:                              ; =>This Loop Header: Depth=1
                                        ;     Child Loop BB130_5 Depth 2
	s_and_b32 vcc_lo, exec_lo, s0
	s_wait_alu 0xfffe
	s_cbranch_vccnz .LBB130_6
; %bb.4:                                ;   in Loop: Header=BB130_3 Depth=1
	v_mad_co_u64_u32 v[8:9], null, s10, s2, v[4:5]
	v_mad_co_u64_u32 v[10:11], null, s4, s2, v[6:7]
	v_mov_b32_e32 v14, 0
	v_dual_mov_b32 v15, 0 :: v_dual_mov_b32 v12, 0
	v_dual_mov_b32 v13, 0 :: v_dual_mov_b32 v18, 0
	v_mov_b32_e32 v22, 0
	v_mad_co_u64_u32 v[34:35], null, s11, s2, v[9:10]
	s_delay_alu instid0(VALU_DEP_4)
	v_mad_co_u64_u32 v[35:36], null, s5, s2, v[11:12]
	v_dual_mov_b32 v26, 0 :: v_dual_mov_b32 v19, 0
	v_dual_mov_b32 v16, 0 :: v_dual_mov_b32 v23, 0
	;; [unrolled: 1-line block ×4, first 2 shown]
	v_mov_b32_e32 v21, 0
	v_mov_b32_e32 v25, 0
	;; [unrolled: 1-line block ×4, first 2 shown]
	s_mov_b64 s[24:25], 0
.LBB130_5:                              ;   Parent Loop BB130_3 Depth=1
                                        ; =>  This Inner Loop Header: Depth=2
	global_load_b128 v[34:37], v[8:9], off
	global_load_b128 v[38:41], v[10:11], off
	s_wait_alu 0xfffe
	s_add_nc_u64 s[24:25], s[24:25], 8
	v_add_co_u32 v8, vcc_lo, 0x80, v8
	s_wait_alu 0xfffe
	v_cmp_lt_i64_e64 s27, s[24:25], s[36:37]
	s_wait_alu 0xfffd
	v_add_co_ci_u32_e64 v9, null, 0, v9, vcc_lo
	v_add_co_u32 v10, vcc_lo, v10, s12
	s_wait_alu 0xfffd
	v_add_co_ci_u32_e64 v11, null, s13, v11, vcc_lo
	s_and_b32 vcc_lo, exec_lo, s27
	s_wait_loadcnt 0x1
	ds_store_2addr_b64 v30, v[34:35], v[36:37] offset1:1
	s_wait_loadcnt 0x0
	ds_store_2addr_b64 v31, v[38:39], v[40:41] offset1:1
	s_wait_dscnt 0x0
	s_barrier_signal -1
	s_barrier_wait -1
	global_inv scope:SCOPE_SE
	ds_load_b128 v[34:37], v29
	ds_load_b128 v[38:41], v28
	ds_load_b128 v[42:45], v28 offset:256
	ds_load_b128 v[46:49], v29 offset:2048
	;; [unrolled: 1-line block ×13, first 2 shown]
	s_wait_dscnt 0xd
	v_mul_f64_e32 v[94:95], v[36:37], v[40:41]
	v_mul_f64_e32 v[96:97], v[34:35], v[40:41]
	s_wait_dscnt 0xc
	v_mul_f64_e32 v[98:99], v[36:37], v[44:45]
	v_mul_f64_e32 v[100:101], v[34:35], v[44:45]
	;; [unrolled: 3-line block ×3, first 2 shown]
	v_mul_f64_e32 v[104:105], v[48:49], v[44:45]
	v_mul_f64_e32 v[44:45], v[46:47], v[44:45]
	s_wait_dscnt 0x9
	v_mul_f64_e32 v[106:107], v[52:53], v[56:57]
	v_mul_f64_e32 v[108:109], v[50:51], v[56:57]
	s_wait_dscnt 0x7
	v_mul_f64_e32 v[110:111], v[52:53], v[64:65]
	v_mul_f64_e32 v[112:113], v[50:51], v[64:65]
	v_mul_f64_e32 v[114:115], v[60:61], v[56:57]
	v_mul_f64_e32 v[56:57], v[58:59], v[56:57]
	v_mul_f64_e32 v[116:117], v[60:61], v[64:65]
	v_mul_f64_e32 v[64:65], v[58:59], v[64:65]
	s_wait_dscnt 0x3
	v_mul_f64_e32 v[120:121], v[66:67], v[80:81]
	s_wait_dscnt 0x1
	v_mul_f64_e32 v[122:123], v[88:89], v[76:77]
	v_mul_f64_e32 v[124:125], v[88:89], v[80:81]
	v_fma_f64 v[94:95], v[34:35], v[38:39], -v[94:95]
	v_fma_f64 v[96:97], v[36:37], v[38:39], v[96:97]
	v_fma_f64 v[98:99], v[34:35], v[42:43], -v[98:99]
	v_fma_f64 v[100:101], v[36:37], v[42:43], v[100:101]
	;; [unrolled: 2-line block ×4, first 2 shown]
	v_mul_f64_e32 v[44:45], v[68:69], v[76:77]
	v_mul_f64_e32 v[48:49], v[66:67], v[76:77]
	;; [unrolled: 1-line block ×5, first 2 shown]
	v_fma_f64 v[106:107], v[50:51], v[54:55], -v[106:107]
	v_fma_f64 v[108:109], v[52:53], v[54:55], v[108:109]
	v_fma_f64 v[50:51], v[50:51], v[62:63], -v[110:111]
	v_fma_f64 v[52:53], v[52:53], v[62:63], v[112:113]
	;; [unrolled: 2-line block ×4, first 2 shown]
	ds_load_b128 v[34:37], v28 offset:1792
	ds_load_b128 v[38:41], v29 offset:64
	v_mul_f64_e32 v[64:65], v[72:73], v[84:85]
	v_add_f64_e32 v[24:25], v[24:25], v[94:95]
	v_add_f64_e32 v[26:27], v[96:97], v[26:27]
	;; [unrolled: 1-line block ×8, first 2 shown]
	v_mul_f64_e32 v[94:95], v[70:71], v[84:85]
	s_wait_dscnt 0x1
	v_mul_f64_e32 v[96:97], v[72:73], v[36:37]
	v_mul_f64_e32 v[98:99], v[70:71], v[36:37]
	;; [unrolled: 1-line block ×6, first 2 shown]
	v_fma_f64 v[112:113], v[66:67], v[74:75], -v[44:45]
	v_fma_f64 v[114:115], v[68:69], v[74:75], v[48:49]
	v_fma_f64 v[66:67], v[66:67], v[78:79], -v[104:105]
	v_fma_f64 v[68:69], v[68:69], v[78:79], v[120:121]
	;; [unrolled: 2-line block ×4, first 2 shown]
	ds_load_b128 v[12:15], v28 offset:2048
	ds_load_b128 v[16:19], v28 offset:2304
	v_fma_f64 v[64:65], v[70:71], v[82:83], -v[64:65]
	v_add_f64_e32 v[80:81], v[24:25], v[106:107]
	v_add_f64_e32 v[86:87], v[108:109], v[26:27]
	;; [unrolled: 1-line block ×8, first 2 shown]
	ds_load_b128 v[20:23], v29 offset:2112
	ds_load_b128 v[24:27], v29 offset:80
	;; [unrolled: 1-line block ×4, first 2 shown]
	s_wait_dscnt 0x5
	v_mul_f64_e32 v[62:63], v[40:41], v[14:15]
	v_mul_f64_e32 v[88:89], v[38:39], v[14:15]
	s_wait_dscnt 0x4
	v_mul_f64_e32 v[106:107], v[40:41], v[18:19]
	v_mul_f64_e32 v[108:109], v[38:39], v[18:19]
	v_fma_f64 v[94:95], v[72:73], v[82:83], v[94:95]
	v_fma_f64 v[70:71], v[70:71], v[34:35], -v[96:97]
	v_fma_f64 v[72:73], v[72:73], v[34:35], v[98:99]
	v_fma_f64 v[96:97], v[90:91], v[82:83], -v[100:101]
	;; [unrolled: 2-line block ×3, first 2 shown]
	v_fma_f64 v[90:91], v[92:93], v[34:35], v[36:37]
	s_wait_dscnt 0x3
	v_mul_f64_e32 v[110:111], v[22:23], v[14:15]
	v_mul_f64_e32 v[14:15], v[20:21], v[14:15]
	;; [unrolled: 1-line block ×4, first 2 shown]
	s_wait_dscnt 0x1
	v_mul_f64_e32 v[98:99], v[26:27], v[44:45]
	v_mul_f64_e32 v[100:101], v[24:25], v[44:45]
	v_add_f64_e32 v[80:81], v[80:81], v[112:113]
	v_add_f64_e32 v[86:87], v[114:115], v[86:87]
	;; [unrolled: 1-line block ×8, first 2 shown]
	ds_load_b128 v[34:37], v28 offset:2816
	ds_load_b128 v[50:53], v29 offset:96
	ds_load_b128 v[54:57], v28 offset:3072
	ds_load_b128 v[58:61], v28 offset:3328
	s_wait_dscnt 0x4
	v_mul_f64_e32 v[112:113], v[48:49], v[44:45]
	v_mul_f64_e32 v[44:45], v[46:47], v[44:45]
	v_fma_f64 v[62:63], v[38:39], v[12:13], -v[62:63]
	v_fma_f64 v[88:89], v[40:41], v[12:13], v[88:89]
	v_fma_f64 v[106:107], v[38:39], v[16:17], -v[106:107]
	v_fma_f64 v[40:41], v[40:41], v[16:17], v[108:109]
	s_wait_dscnt 0x3
	v_mul_f64_e32 v[102:103], v[26:27], v[36:37]
	v_mul_f64_e32 v[104:105], v[24:25], v[36:37]
	;; [unrolled: 1-line block ×4, first 2 shown]
	v_fma_f64 v[108:109], v[20:21], v[12:13], -v[110:111]
	v_fma_f64 v[110:111], v[22:23], v[12:13], v[14:15]
	v_fma_f64 v[116:117], v[20:21], v[16:17], -v[116:117]
	v_fma_f64 v[120:121], v[22:23], v[16:17], v[18:19]
	ds_load_b128 v[12:15], v29 offset:2144
	ds_load_b128 v[16:19], v29 offset:112
	;; [unrolled: 1-line block ×4, first 2 shown]
	v_add_f64_e32 v[64:65], v[80:81], v[64:65]
	v_add_f64_e32 v[80:81], v[94:95], v[86:87]
	;; [unrolled: 1-line block ×8, first 2 shown]
	s_wait_dscnt 0x5
	v_mul_f64_e32 v[78:79], v[52:53], v[56:57]
	v_mul_f64_e32 v[82:83], v[50:51], v[56:57]
	s_wait_dscnt 0x4
	v_mul_f64_e32 v[84:85], v[52:53], v[60:61]
	v_mul_f64_e32 v[86:87], v[50:51], v[60:61]
	;; [unrolled: 3-line block ×3, first 2 shown]
	v_mul_f64_e32 v[92:93], v[14:15], v[60:61]
	v_mul_f64_e32 v[60:61], v[12:13], v[60:61]
	v_fma_f64 v[94:95], v[24:25], v[42:43], -v[98:99]
	v_fma_f64 v[96:97], v[26:27], v[42:43], v[100:101]
	v_fma_f64 v[98:99], v[24:25], v[34:35], -v[102:103]
	v_fma_f64 v[100:101], v[26:27], v[34:35], v[104:105]
	;; [unrolled: 2-line block ×4, first 2 shown]
	ds_load_b128 v[24:27], v28 offset:3840
	s_wait_loadcnt_dscnt 0x0
	s_barrier_signal -1
	s_barrier_wait -1
	global_inv scope:SCOPE_SE
	v_add_f64_e32 v[46:47], v[64:65], v[62:63]
	v_add_f64_e32 v[48:49], v[88:89], v[80:81]
	;; [unrolled: 1-line block ×8, first 2 shown]
	v_mul_f64_e32 v[72:73], v[18:19], v[22:23]
	v_mul_f64_e32 v[74:75], v[16:17], v[22:23]
	;; [unrolled: 1-line block ×4, first 2 shown]
	v_fma_f64 v[78:79], v[50:51], v[54:55], -v[78:79]
	v_mul_f64_e32 v[76:77], v[18:19], v[26:27]
	v_mul_f64_e32 v[80:81], v[16:17], v[26:27]
	;; [unrolled: 1-line block ×4, first 2 shown]
	v_fma_f64 v[82:83], v[52:53], v[54:55], v[82:83]
	v_fma_f64 v[50:51], v[50:51], v[58:59], -v[84:85]
	v_fma_f64 v[52:53], v[52:53], v[58:59], v[86:87]
	v_fma_f64 v[84:85], v[12:13], v[54:55], -v[90:91]
	;; [unrolled: 2-line block ×3, first 2 shown]
	v_fma_f64 v[14:15], v[14:15], v[58:59], v[60:61]
	v_add_f64_e32 v[46:47], v[46:47], v[94:95]
	v_add_f64_e32 v[48:49], v[96:97], v[48:49]
	;; [unrolled: 1-line block ×8, first 2 shown]
	v_fma_f64 v[60:61], v[16:17], v[20:21], -v[72:73]
	v_fma_f64 v[62:63], v[18:19], v[20:21], v[74:75]
	v_fma_f64 v[64:65], v[36:37], v[20:21], -v[88:89]
	v_fma_f64 v[66:67], v[38:39], v[20:21], v[22:23]
	;; [unrolled: 2-line block ×4, first 2 shown]
	v_add_f64_e32 v[20:21], v[46:47], v[78:79]
	v_add_f64_e32 v[22:23], v[82:83], v[48:49]
	;; [unrolled: 1-line block ×16, first 2 shown]
	s_wait_alu 0xfffe
	s_cbranch_vccnz .LBB130_5
	s_branch .LBB130_7
.LBB130_6:                              ;   in Loop: Header=BB130_3 Depth=1
	v_mov_b32_e32 v24, 0
	v_mov_b32_e32 v20, 0
	;; [unrolled: 1-line block ×3, first 2 shown]
	v_dual_mov_b32 v12, 0 :: v_dual_mov_b32 v25, 0
	v_dual_mov_b32 v26, 0 :: v_dual_mov_b32 v21, 0
	;; [unrolled: 1-line block ×5, first 2 shown]
	v_mov_b32_e32 v23, 0
	v_mov_b32_e32 v19, 0
	;; [unrolled: 1-line block ×3, first 2 shown]
.LBB130_7:                              ;   in Loop: Header=BB130_3 Depth=1
	s_mul_u64 s[24:25], s[20:21], s[2:3]
	s_and_not1_b32 vcc_lo, exec_lo, s1
	s_wait_alu 0xfffe
	s_lshl_b64 s[24:25], s[24:25], 4
	s_mov_b32 s27, -1
	s_wait_alu 0xfffe
	s_add_nc_u64 s[24:25], s[16:17], s[24:25]
                                        ; implicit-def: $vgpr8_vgpr9
                                        ; implicit-def: $vgpr10_vgpr11
	s_cbranch_vccz .LBB130_9
; %bb.8:                                ;   in Loop: Header=BB130_3 Depth=1
	s_and_not1_b32 vcc_lo, exec_lo, s27
	s_wait_alu 0xfffe
	s_cbranch_vccnz .LBB130_2
	s_branch .LBB130_10
.LBB130_9:                              ;   in Loop: Header=BB130_3 Depth=1
	v_mul_f64_e32 v[8:9], s[40:41], v[26:27]
	v_mul_f64_e32 v[10:11], s[38:39], v[26:27]
	s_delay_alu instid0(VALU_DEP_3)
	v_mul_f64_e32 v[48:49], s[38:39], v[14:15]
	v_mul_f64_e32 v[38:39], s[40:41], v[22:23]
	;; [unrolled: 1-line block ×6, first 2 shown]
	v_fma_f64 v[34:35], s[38:39], v[24:25], -v[8:9]
	v_fma_f64 v[36:37], s[40:41], v[24:25], v[10:11]
	v_fma_f64 v[8:9], s[40:41], v[12:13], v[48:49]
	v_fma_f64 v[38:39], s[38:39], v[20:21], -v[38:39]
	v_fma_f64 v[40:41], s[40:41], v[20:21], v[40:41]
	v_fma_f64 v[42:43], s[38:39], v[16:17], -v[42:43]
	v_fma_f64 v[44:45], s[40:41], v[16:17], v[44:45]
	v_fma_f64 v[46:47], s[38:39], v[12:13], -v[46:47]
	v_lshlrev_b64_e32 v[10:11], 4, v[0:1]
	s_wait_alu 0xfffe
	s_delay_alu instid0(VALU_DEP_1) | instskip(SKIP_1) | instid1(VALU_DEP_2)
	v_add_co_u32 v50, vcc_lo, s24, v10
	s_wait_alu 0xfffd
	v_add_co_ci_u32_e64 v51, null, s25, v11, vcc_lo
	v_lshlrev_b64_e32 v[10:11], 4, v[2:3]
	s_delay_alu instid0(VALU_DEP_3) | instskip(SKIP_1) | instid1(VALU_DEP_3)
	v_add_co_u32 v48, vcc_lo, v50, s22
	s_wait_alu 0xfffd
	v_add_co_ci_u32_e64 v49, null, s23, v51, vcc_lo
	s_delay_alu instid0(VALU_DEP_2) | instskip(SKIP_1) | instid1(VALU_DEP_2)
	v_add_co_u32 v48, vcc_lo, v48, v10
	s_wait_alu 0xfffd
	v_add_co_ci_u32_e64 v49, null, v49, v11, vcc_lo
	v_add_co_u32 v50, vcc_lo, v50, v10
	s_wait_alu 0xfffd
	v_add_co_ci_u32_e64 v51, null, v51, v11, vcc_lo
	;; [unrolled: 3-line block ×3, first 2 shown]
	s_clause 0x3
	global_store_b128 v[50:51], v[34:37], off
	global_store_b128 v[50:51], v[38:41], off offset:256
	global_store_b128 v[48:49], v[42:45], off
	global_store_b64 v[48:49], v[46:47], off offset:256
	s_cbranch_execnz .LBB130_2
.LBB130_10:                             ;   in Loop: Header=BB130_3 Depth=1
	s_mul_u64 s[28:29], s[14:15], s[2:3]
	v_lshlrev_b64_e32 v[34:35], 4, v[2:3]
	s_wait_alu 0xfffe
	s_lshl_b64 s[28:29], s[28:29], 4
	v_mul_f64_e32 v[38:39], s[40:41], v[26:27]
	s_wait_alu 0xfffe
	v_add_co_u32 v42, vcc_lo, v32, s28
	s_wait_alu 0xfffd
	v_add_co_ci_u32_e64 v43, null, s29, v33, vcc_lo
	v_mul_f64_e32 v[26:27], s[38:39], v[26:27]
	s_delay_alu instid0(VALU_DEP_3) | instskip(SKIP_1) | instid1(VALU_DEP_3)
	v_add_co_u32 v36, vcc_lo, v42, v34
	s_wait_alu 0xfffd
	v_add_co_ci_u32_e64 v37, null, v43, v35, vcc_lo
	global_load_b128 v[8:11], v[36:37], off
	v_fma_f64 v[38:39], s[38:39], v[24:25], -v[38:39]
	v_fma_f64 v[24:25], s[40:41], v[24:25], v[26:27]
	s_wait_loadcnt 0x0
	v_mul_f64_e32 v[40:41], s[8:9], v[10:11]
	v_mul_f64_e32 v[10:11], s[6:7], v[10:11]
	s_delay_alu instid0(VALU_DEP_2) | instskip(NEXT) | instid1(VALU_DEP_2)
	v_fma_f64 v[26:27], s[6:7], v[8:9], -v[40:41]
	v_fma_f64 v[10:11], s[8:9], v[8:9], v[10:11]
	s_delay_alu instid0(VALU_DEP_2) | instskip(NEXT) | instid1(VALU_DEP_2)
	v_add_f64_e32 v[8:9], v[38:39], v[26:27]
	v_add_f64_e32 v[10:11], v[24:25], v[10:11]
	v_lshlrev_b64_e32 v[24:25], 4, v[0:1]
	v_mul_f64_e32 v[26:27], s[40:41], v[22:23]
	v_mul_f64_e32 v[22:23], s[38:39], v[22:23]
	s_delay_alu instid0(VALU_DEP_3) | instskip(SKIP_1) | instid1(VALU_DEP_4)
	v_add_co_u32 v38, vcc_lo, s24, v24
	s_wait_alu 0xfffd
	v_add_co_ci_u32_e64 v39, null, s25, v25, vcc_lo
	s_delay_alu instid0(VALU_DEP_2) | instskip(SKIP_1) | instid1(VALU_DEP_2)
	v_add_co_u32 v24, vcc_lo, v38, v34
	s_wait_alu 0xfffd
	v_add_co_ci_u32_e64 v25, null, v39, v35, vcc_lo
	global_store_b128 v[24:25], v[8:11], off
	global_load_b128 v[8:11], v[36:37], off offset:256
	v_fma_f64 v[26:27], s[38:39], v[20:21], -v[26:27]
	v_fma_f64 v[20:21], s[40:41], v[20:21], v[22:23]
	s_wait_loadcnt 0x0
	v_mul_f64_e32 v[36:37], s[8:9], v[10:11]
	v_mul_f64_e32 v[10:11], s[6:7], v[10:11]
	s_delay_alu instid0(VALU_DEP_2) | instskip(NEXT) | instid1(VALU_DEP_2)
	v_fma_f64 v[22:23], s[6:7], v[8:9], -v[36:37]
	v_fma_f64 v[10:11], s[8:9], v[8:9], v[10:11]
	s_delay_alu instid0(VALU_DEP_2) | instskip(NEXT) | instid1(VALU_DEP_2)
	v_add_f64_e32 v[8:9], v[26:27], v[22:23]
	v_add_f64_e32 v[10:11], v[20:21], v[10:11]
	v_add_co_u32 v20, vcc_lo, v42, s18
	s_wait_alu 0xfffd
	v_add_co_ci_u32_e64 v21, null, s19, v43, vcc_lo
	v_mul_f64_e32 v[22:23], s[40:41], v[18:19]
	s_delay_alu instid0(VALU_DEP_3) | instskip(SKIP_1) | instid1(VALU_DEP_3)
	v_add_co_u32 v20, vcc_lo, v20, v34
	s_wait_alu 0xfffd
	v_add_co_ci_u32_e64 v21, null, v21, v35, vcc_lo
	v_mul_f64_e32 v[18:19], s[38:39], v[18:19]
	global_store_b128 v[24:25], v[8:11], off offset:256
	global_load_b128 v[8:11], v[20:21], off
	v_fma_f64 v[22:23], s[38:39], v[16:17], -v[22:23]
	v_fma_f64 v[16:17], s[40:41], v[16:17], v[18:19]
	s_wait_loadcnt 0x0
	v_mul_f64_e32 v[24:25], s[8:9], v[10:11]
	v_mul_f64_e32 v[10:11], s[6:7], v[10:11]
	s_delay_alu instid0(VALU_DEP_2) | instskip(NEXT) | instid1(VALU_DEP_2)
	v_fma_f64 v[18:19], s[6:7], v[8:9], -v[24:25]
	v_fma_f64 v[10:11], s[8:9], v[8:9], v[10:11]
	s_delay_alu instid0(VALU_DEP_2) | instskip(NEXT) | instid1(VALU_DEP_2)
	v_add_f64_e32 v[8:9], v[22:23], v[18:19]
	v_add_f64_e32 v[10:11], v[16:17], v[10:11]
	v_add_co_u32 v16, vcc_lo, v38, s22
	s_wait_alu 0xfffd
	v_add_co_ci_u32_e64 v17, null, s23, v39, vcc_lo
	v_mul_f64_e32 v[18:19], s[40:41], v[14:15]
	s_delay_alu instid0(VALU_DEP_3) | instskip(SKIP_1) | instid1(VALU_DEP_3)
	v_add_co_u32 v16, vcc_lo, v16, v34
	s_wait_alu 0xfffd
	v_add_co_ci_u32_e64 v17, null, v17, v35, vcc_lo
	v_mul_f64_e32 v[14:15], s[38:39], v[14:15]
	global_store_b128 v[16:17], v[8:11], off
	global_load_b128 v[8:11], v[20:21], off offset:256
	v_fma_f64 v[18:19], s[38:39], v[12:13], -v[18:19]
	v_fma_f64 v[12:13], s[40:41], v[12:13], v[14:15]
	s_wait_loadcnt 0x0
	v_mul_f64_e32 v[20:21], s[8:9], v[10:11]
	v_mul_f64_e32 v[10:11], s[6:7], v[10:11]
	s_delay_alu instid0(VALU_DEP_2) | instskip(NEXT) | instid1(VALU_DEP_2)
	v_fma_f64 v[14:15], s[6:7], v[8:9], -v[20:21]
	v_fma_f64 v[8:9], s[8:9], v[8:9], v[10:11]
	v_add_co_u32 v10, vcc_lo, 0x100, v16
	s_wait_alu 0xfffd
	v_add_co_ci_u32_e64 v11, null, 0, v17, vcc_lo
	s_delay_alu instid0(VALU_DEP_4) | instskip(NEXT) | instid1(VALU_DEP_4)
	v_add_f64_e32 v[14:15], v[18:19], v[14:15]
	v_add_f64_e32 v[8:9], v[12:13], v[8:9]
	global_store_b64 v[16:17], v[14:15], off offset:256
	s_branch .LBB130_2
.LBB130_11:
	s_nop 0
	s_sendmsg sendmsg(MSG_DEALLOC_VGPRS)
	s_endpgm
	.section	.rodata,"a",@progbits
	.p2align	6, 0x0
	.amdhsa_kernel _ZN12_GLOBAL__N_127rocblas_gemm_batched_kernelI19rocblas_complex_numIdELi16ELi16ELi32ELi32ELi8ELi32ELi8ELi8ELi32ELc84ELc84EKS2_S3_S2_EEvlllT_PT11_llS6_llS4_PT12_llPT13_lli
		.amdhsa_group_segment_fixed_size 8192
		.amdhsa_private_segment_fixed_size 0
		.amdhsa_kernarg_size 156
		.amdhsa_user_sgpr_count 2
		.amdhsa_user_sgpr_dispatch_ptr 0
		.amdhsa_user_sgpr_queue_ptr 0
		.amdhsa_user_sgpr_kernarg_segment_ptr 1
		.amdhsa_user_sgpr_dispatch_id 0
		.amdhsa_user_sgpr_private_segment_size 0
		.amdhsa_wavefront_size32 1
		.amdhsa_uses_dynamic_stack 0
		.amdhsa_enable_private_segment 0
		.amdhsa_system_sgpr_workgroup_id_x 1
		.amdhsa_system_sgpr_workgroup_id_y 1
		.amdhsa_system_sgpr_workgroup_id_z 1
		.amdhsa_system_sgpr_workgroup_info 0
		.amdhsa_system_vgpr_workitem_id 1
		.amdhsa_next_free_vgpr 126
		.amdhsa_next_free_sgpr 52
		.amdhsa_reserve_vcc 1
		.amdhsa_float_round_mode_32 0
		.amdhsa_float_round_mode_16_64 0
		.amdhsa_float_denorm_mode_32 3
		.amdhsa_float_denorm_mode_16_64 3
		.amdhsa_fp16_overflow 0
		.amdhsa_workgroup_processor_mode 1
		.amdhsa_memory_ordered 1
		.amdhsa_forward_progress 1
		.amdhsa_inst_pref_size 25
		.amdhsa_round_robin_scheduling 0
		.amdhsa_exception_fp_ieee_invalid_op 0
		.amdhsa_exception_fp_denorm_src 0
		.amdhsa_exception_fp_ieee_div_zero 0
		.amdhsa_exception_fp_ieee_overflow 0
		.amdhsa_exception_fp_ieee_underflow 0
		.amdhsa_exception_fp_ieee_inexact 0
		.amdhsa_exception_int_div_zero 0
	.end_amdhsa_kernel
	.section	.text._ZN12_GLOBAL__N_127rocblas_gemm_batched_kernelI19rocblas_complex_numIdELi16ELi16ELi32ELi32ELi8ELi32ELi8ELi8ELi32ELc84ELc84EKS2_S3_S2_EEvlllT_PT11_llS6_llS4_PT12_llPT13_lli,"axG",@progbits,_ZN12_GLOBAL__N_127rocblas_gemm_batched_kernelI19rocblas_complex_numIdELi16ELi16ELi32ELi32ELi8ELi32ELi8ELi8ELi32ELc84ELc84EKS2_S3_S2_EEvlllT_PT11_llS6_llS4_PT12_llPT13_lli,comdat
.Lfunc_end130:
	.size	_ZN12_GLOBAL__N_127rocblas_gemm_batched_kernelI19rocblas_complex_numIdELi16ELi16ELi32ELi32ELi8ELi32ELi8ELi8ELi32ELc84ELc84EKS2_S3_S2_EEvlllT_PT11_llS6_llS4_PT12_llPT13_lli, .Lfunc_end130-_ZN12_GLOBAL__N_127rocblas_gemm_batched_kernelI19rocblas_complex_numIdELi16ELi16ELi32ELi32ELi8ELi32ELi8ELi8ELi32ELc84ELc84EKS2_S3_S2_EEvlllT_PT11_llS6_llS4_PT12_llPT13_lli
                                        ; -- End function
	.set _ZN12_GLOBAL__N_127rocblas_gemm_batched_kernelI19rocblas_complex_numIdELi16ELi16ELi32ELi32ELi8ELi32ELi8ELi8ELi32ELc84ELc84EKS2_S3_S2_EEvlllT_PT11_llS6_llS4_PT12_llPT13_lli.num_vgpr, 126
	.set _ZN12_GLOBAL__N_127rocblas_gemm_batched_kernelI19rocblas_complex_numIdELi16ELi16ELi32ELi32ELi8ELi32ELi8ELi8ELi32ELc84ELc84EKS2_S3_S2_EEvlllT_PT11_llS6_llS4_PT12_llPT13_lli.num_agpr, 0
	.set _ZN12_GLOBAL__N_127rocblas_gemm_batched_kernelI19rocblas_complex_numIdELi16ELi16ELi32ELi32ELi8ELi32ELi8ELi8ELi32ELc84ELc84EKS2_S3_S2_EEvlllT_PT11_llS6_llS4_PT12_llPT13_lli.numbered_sgpr, 52
	.set _ZN12_GLOBAL__N_127rocblas_gemm_batched_kernelI19rocblas_complex_numIdELi16ELi16ELi32ELi32ELi8ELi32ELi8ELi8ELi32ELc84ELc84EKS2_S3_S2_EEvlllT_PT11_llS6_llS4_PT12_llPT13_lli.num_named_barrier, 0
	.set _ZN12_GLOBAL__N_127rocblas_gemm_batched_kernelI19rocblas_complex_numIdELi16ELi16ELi32ELi32ELi8ELi32ELi8ELi8ELi32ELc84ELc84EKS2_S3_S2_EEvlllT_PT11_llS6_llS4_PT12_llPT13_lli.private_seg_size, 0
	.set _ZN12_GLOBAL__N_127rocblas_gemm_batched_kernelI19rocblas_complex_numIdELi16ELi16ELi32ELi32ELi8ELi32ELi8ELi8ELi32ELc84ELc84EKS2_S3_S2_EEvlllT_PT11_llS6_llS4_PT12_llPT13_lli.uses_vcc, 1
	.set _ZN12_GLOBAL__N_127rocblas_gemm_batched_kernelI19rocblas_complex_numIdELi16ELi16ELi32ELi32ELi8ELi32ELi8ELi8ELi32ELc84ELc84EKS2_S3_S2_EEvlllT_PT11_llS6_llS4_PT12_llPT13_lli.uses_flat_scratch, 0
	.set _ZN12_GLOBAL__N_127rocblas_gemm_batched_kernelI19rocblas_complex_numIdELi16ELi16ELi32ELi32ELi8ELi32ELi8ELi8ELi32ELc84ELc84EKS2_S3_S2_EEvlllT_PT11_llS6_llS4_PT12_llPT13_lli.has_dyn_sized_stack, 0
	.set _ZN12_GLOBAL__N_127rocblas_gemm_batched_kernelI19rocblas_complex_numIdELi16ELi16ELi32ELi32ELi8ELi32ELi8ELi8ELi32ELc84ELc84EKS2_S3_S2_EEvlllT_PT11_llS6_llS4_PT12_llPT13_lli.has_recursion, 0
	.set _ZN12_GLOBAL__N_127rocblas_gemm_batched_kernelI19rocblas_complex_numIdELi16ELi16ELi32ELi32ELi8ELi32ELi8ELi8ELi32ELc84ELc84EKS2_S3_S2_EEvlllT_PT11_llS6_llS4_PT12_llPT13_lli.has_indirect_call, 0
	.section	.AMDGPU.csdata,"",@progbits
; Kernel info:
; codeLenInByte = 3196
; TotalNumSgprs: 54
; NumVgprs: 126
; ScratchSize: 0
; MemoryBound: 0
; FloatMode: 240
; IeeeMode: 1
; LDSByteSize: 8192 bytes/workgroup (compile time only)
; SGPRBlocks: 0
; VGPRBlocks: 15
; NumSGPRsForWavesPerEU: 54
; NumVGPRsForWavesPerEU: 126
; Occupancy: 10
; WaveLimiterHint : 1
; COMPUTE_PGM_RSRC2:SCRATCH_EN: 0
; COMPUTE_PGM_RSRC2:USER_SGPR: 2
; COMPUTE_PGM_RSRC2:TRAP_HANDLER: 0
; COMPUTE_PGM_RSRC2:TGID_X_EN: 1
; COMPUTE_PGM_RSRC2:TGID_Y_EN: 1
; COMPUTE_PGM_RSRC2:TGID_Z_EN: 1
; COMPUTE_PGM_RSRC2:TIDIG_COMP_CNT: 1
	.section	.text._ZN12_GLOBAL__N_127rocblas_gemm_batched_kernelI19rocblas_complex_numIdELi16ELi16ELi32ELi32ELi8ELi32ELi8ELi8ELi32ELc67ELc67EKS2_S3_S2_EEvlllT_PT11_llS6_llS4_PT12_llPT13_lli,"axG",@progbits,_ZN12_GLOBAL__N_127rocblas_gemm_batched_kernelI19rocblas_complex_numIdELi16ELi16ELi32ELi32ELi8ELi32ELi8ELi8ELi32ELc67ELc67EKS2_S3_S2_EEvlllT_PT11_llS6_llS4_PT12_llPT13_lli,comdat
	.globl	_ZN12_GLOBAL__N_127rocblas_gemm_batched_kernelI19rocblas_complex_numIdELi16ELi16ELi32ELi32ELi8ELi32ELi8ELi8ELi32ELc67ELc67EKS2_S3_S2_EEvlllT_PT11_llS6_llS4_PT12_llPT13_lli ; -- Begin function _ZN12_GLOBAL__N_127rocblas_gemm_batched_kernelI19rocblas_complex_numIdELi16ELi16ELi32ELi32ELi8ELi32ELi8ELi8ELi32ELc67ELc67EKS2_S3_S2_EEvlllT_PT11_llS6_llS4_PT12_llPT13_lli
	.p2align	8
	.type	_ZN12_GLOBAL__N_127rocblas_gemm_batched_kernelI19rocblas_complex_numIdELi16ELi16ELi32ELi32ELi8ELi32ELi8ELi8ELi32ELc67ELc67EKS2_S3_S2_EEvlllT_PT11_llS6_llS4_PT12_llPT13_lli,@function
_ZN12_GLOBAL__N_127rocblas_gemm_batched_kernelI19rocblas_complex_numIdELi16ELi16ELi32ELi32ELi8ELi32ELi8ELi8ELi32ELc67ELc67EKS2_S3_S2_EEvlllT_PT11_llS6_llS4_PT12_llPT13_lli: ; @_ZN12_GLOBAL__N_127rocblas_gemm_batched_kernelI19rocblas_complex_numIdELi16ELi16ELi32ELi32ELi8ELi32ELi8ELi8ELi32ELc67ELc67EKS2_S3_S2_EEvlllT_PT11_llS6_llS4_PT12_llPT13_lli
; %bb.0:
	s_load_b32 s26, s[0:1], 0x98
	s_lshr_b32 s2, ttmp7, 16
	s_wait_kmcnt 0x0
	s_cmp_ge_i32 s2, s26
	s_cbranch_scc1 .LBB131_11
; %bb.1:
	s_clause 0x2
	s_load_b512 s[4:19], s[0:1], 0x50
	s_load_b512 s[36:51], s[0:1], 0x10
	s_load_b64 s[20:21], s[0:1], 0x90
	v_and_b32_e32 v13, 0x3ff, v0
	v_bfe_u32 v2, v0, 10, 10
	s_mov_b32 s22, ttmp9
	s_ashr_i32 s23, ttmp9, 31
	s_lshl_b32 s24, ttmp7, 5
	s_lshl_b64 s[0:1], s[22:23], 5
	v_lshl_add_u32 v3, v2, 4, v13
	s_and_b32 s22, s24, 0x1fffe0
	v_lshl_add_u32 v29, v2, 7, 0x1000
	v_add_nc_u32_e32 v12, s22, v2
	s_mov_b32 s3, 0
	v_lshrrev_b32_e32 v9, 3, v3
	v_and_b32_e32 v11, 31, v3
	v_lshrrev_b32_e32 v14, 5, v3
	s_delay_alu instid0(VALU_DEP_2) | instskip(SKIP_4) | instid1(VALU_DEP_1)
	v_or_b32_e32 v3, s0, v11
	s_wait_kmcnt 0x0
	v_mad_co_u64_u32 v[6:7], null, v12, s12, 0
	v_and_b32_e32 v10, 7, v0
	v_add_co_u32 v0, s25, v9, s22
	v_add_co_ci_u32_e64 v1, null, 0, 0, s25
	s_delay_alu instid0(VALU_DEP_3)
	v_lshlrev_b32_e32 v8, 4, v10
	v_mul_lo_u32 v17, s45, v3
	v_cmp_eq_f64_e64 s23, s[6:7], 0
	v_cmp_eq_f64_e64 s24, s[8:9], 0
	v_lshlrev_b32_e32 v15, 4, v11
	v_lshl_or_b32 v16, v9, 7, v8
	v_mad_co_u64_u32 v[8:9], null, s44, v3, 0
	v_mov_b32_e32 v3, v7
	v_mad_co_u64_u32 v[4:5], null, s50, v10, v[0:1]
	v_mad_co_u64_u32 v[0:1], null, v12, s18, 0
	v_lshl_or_b32 v30, v14, 9, v15
	v_add_nc_u32_e32 v31, 0x1000, v16
	s_lshl_b64 s[4:5], s[4:5], 4
	s_delay_alu instid0(VALU_DEP_4) | instskip(NEXT) | instid1(VALU_DEP_1)
	v_mov_b32_e32 v2, v5
	v_mad_co_u64_u32 v[10:11], null, s51, v10, v[2:3]
	v_mad_co_u64_u32 v[1:2], null, v12, s19, v[1:2]
	v_mad_co_u64_u32 v[11:12], null, v12, s13, v[3:4]
	v_add_co_u32 v2, s0, s0, v13
	s_wait_alu 0xf1ff
	v_add_co_ci_u32_e64 v3, null, s1, 0, s0
	s_mul_i32 s0, s44, s1
	v_dual_mov_b32 v7, v11 :: v_dual_lshlrev_b32 v28, 4, v13
	s_wait_alu 0xfffe
	v_add3_u32 v9, v9, s0, v17
	v_dual_mov_b32 v5, v10 :: v_dual_lshlrev_b32 v10, 4, v14
	v_cmp_gt_i64_e64 s0, s[36:37], 0
	v_lshlrev_b64_e32 v[6:7], 4, v[6:7]
	s_delay_alu instid0(VALU_DEP_4)
	v_lshlrev_b64_e32 v[8:9], 4, v[8:9]
	s_and_b32 s1, s23, s24
	s_lshl_b64 s[22:23], s[18:19], 4
	s_lshl_b64 s[18:19], s[12:13], 4
	;; [unrolled: 1-line block ×3, first 2 shown]
	s_wait_alu 0xfffe
	s_lshl_b64 s[18:19], s[18:19], 4
	v_add_co_u32 v8, vcc_lo, v8, v10
	s_delay_alu instid0(VALU_DEP_1)
	v_add_co_ci_u32_e64 v9, null, 0, v9, vcc_lo
	v_add_co_u32 v32, vcc_lo, s10, v6
	s_wait_alu 0xfffd
	v_add_co_ci_u32_e64 v33, null, s11, v7, vcc_lo
	v_add_co_u32 v8, vcc_lo, s42, v8
	v_lshlrev_b64_e32 v[6:7], 4, v[4:5]
	s_wait_alu 0xfffd
	v_add_co_ci_u32_e64 v9, null, s43, v9, vcc_lo
	s_delay_alu instid0(VALU_DEP_3) | instskip(SKIP_2) | instid1(VALU_DEP_3)
	v_add_co_u32 v4, vcc_lo, v8, 8
	v_cndmask_b32_e64 v8, 0, 1, s0
	s_wait_alu 0xfffd
	v_add_co_ci_u32_e64 v5, null, 0, v9, vcc_lo
	v_add_co_u32 v6, vcc_lo, s48, v6
	s_wait_alu 0xfffd
	v_add_co_ci_u32_e64 v7, null, s49, v7, vcc_lo
	v_cmp_ne_u32_e64 s0, 1, v8
	s_delay_alu instid0(VALU_DEP_3) | instskip(SKIP_1) | instid1(VALU_DEP_3)
	v_add_co_u32 v6, vcc_lo, v6, 8
	s_wait_alu 0xfffd
	v_add_co_ci_u32_e64 v7, null, 0, v7, vcc_lo
	s_lshl_b64 s[10:11], s[46:47], 4
	s_lshl_b64 s[22:23], s[22:23], 4
	s_branch .LBB131_3
.LBB131_2:                              ;   in Loop: Header=BB131_3 Depth=1
	s_add_co_i32 s2, s2, 0x10000
	global_store_b64 v[10:11], v[8:9], off offset:8
	s_wait_alu 0xfffe
	s_cmp_lt_i32 s2, s26
	s_cbranch_scc0 .LBB131_11
.LBB131_3:                              ; =>This Loop Header: Depth=1
                                        ;     Child Loop BB131_5 Depth 2
	s_and_b32 vcc_lo, exec_lo, s0
	s_wait_alu 0xfffe
	s_cbranch_vccnz .LBB131_6
; %bb.4:                                ;   in Loop: Header=BB131_3 Depth=1
	v_mad_co_u64_u32 v[8:9], null, s10, s2, v[4:5]
	v_mad_co_u64_u32 v[10:11], null, s4, s2, v[6:7]
	v_mov_b32_e32 v14, 0
	v_dual_mov_b32 v15, 0 :: v_dual_mov_b32 v12, 0
	v_dual_mov_b32 v13, 0 :: v_dual_mov_b32 v18, 0
	v_mov_b32_e32 v22, 0
	v_mad_co_u64_u32 v[34:35], null, s11, s2, v[9:10]
	s_delay_alu instid0(VALU_DEP_4)
	v_mad_co_u64_u32 v[35:36], null, s5, s2, v[11:12]
	v_dual_mov_b32 v26, 0 :: v_dual_mov_b32 v19, 0
	v_dual_mov_b32 v16, 0 :: v_dual_mov_b32 v23, 0
	;; [unrolled: 1-line block ×4, first 2 shown]
	v_mov_b32_e32 v21, 0
	v_mov_b32_e32 v25, 0
	;; [unrolled: 1-line block ×4, first 2 shown]
	s_mov_b64 s[24:25], 0
.LBB131_5:                              ;   Parent Loop BB131_3 Depth=1
                                        ; =>  This Inner Loop Header: Depth=2
	global_load_b128 v[34:37], v[8:9], off offset:-8
	global_load_b128 v[38:41], v[10:11], off offset:-8
	s_wait_alu 0xfffe
	s_add_nc_u64 s[24:25], s[24:25], 8
	v_add_co_u32 v8, vcc_lo, 0x80, v8
	s_wait_alu 0xfffe
	v_cmp_lt_i64_e64 s27, s[24:25], s[36:37]
	s_wait_alu 0xfffd
	v_add_co_ci_u32_e64 v9, null, 0, v9, vcc_lo
	v_add_co_u32 v10, vcc_lo, v10, s12
	s_wait_alu 0xfffd
	v_add_co_ci_u32_e64 v11, null, s13, v11, vcc_lo
	s_and_b32 vcc_lo, exec_lo, s27
	s_wait_loadcnt 0x1
	v_xor_b32_e32 v37, 0x80000000, v37
	s_wait_loadcnt 0x0
	v_xor_b32_e32 v41, 0x80000000, v41
	ds_store_b128 v30, v[34:37]
	ds_store_b128 v31, v[38:41]
	s_wait_dscnt 0x0
	s_barrier_signal -1
	s_barrier_wait -1
	global_inv scope:SCOPE_SE
	ds_load_b128 v[34:37], v29
	ds_load_b128 v[38:41], v28
	ds_load_b128 v[42:45], v28 offset:256
	ds_load_b128 v[46:49], v29 offset:2048
	;; [unrolled: 1-line block ×13, first 2 shown]
	s_wait_dscnt 0xd
	v_mul_f64_e32 v[94:95], v[36:37], v[40:41]
	v_mul_f64_e32 v[96:97], v[34:35], v[40:41]
	s_wait_dscnt 0xc
	v_mul_f64_e32 v[98:99], v[36:37], v[44:45]
	v_mul_f64_e32 v[100:101], v[34:35], v[44:45]
	;; [unrolled: 3-line block ×3, first 2 shown]
	v_mul_f64_e32 v[104:105], v[48:49], v[44:45]
	v_mul_f64_e32 v[44:45], v[46:47], v[44:45]
	s_wait_dscnt 0x9
	v_mul_f64_e32 v[106:107], v[52:53], v[56:57]
	v_mul_f64_e32 v[108:109], v[50:51], v[56:57]
	s_wait_dscnt 0x7
	v_mul_f64_e32 v[110:111], v[52:53], v[64:65]
	v_mul_f64_e32 v[112:113], v[50:51], v[64:65]
	;; [unrolled: 1-line block ×6, first 2 shown]
	s_wait_dscnt 0x3
	v_mul_f64_e32 v[120:121], v[66:67], v[80:81]
	s_wait_dscnt 0x1
	v_mul_f64_e32 v[122:123], v[88:89], v[76:77]
	v_mul_f64_e32 v[124:125], v[88:89], v[80:81]
	v_fma_f64 v[94:95], v[34:35], v[38:39], -v[94:95]
	v_fma_f64 v[96:97], v[36:37], v[38:39], v[96:97]
	v_fma_f64 v[98:99], v[34:35], v[42:43], -v[98:99]
	v_fma_f64 v[100:101], v[36:37], v[42:43], v[100:101]
	;; [unrolled: 2-line block ×4, first 2 shown]
	v_mul_f64_e32 v[44:45], v[68:69], v[76:77]
	v_mul_f64_e32 v[48:49], v[66:67], v[76:77]
	;; [unrolled: 1-line block ×5, first 2 shown]
	v_fma_f64 v[106:107], v[50:51], v[54:55], -v[106:107]
	v_fma_f64 v[108:109], v[52:53], v[54:55], v[108:109]
	v_fma_f64 v[50:51], v[50:51], v[62:63], -v[110:111]
	v_fma_f64 v[52:53], v[52:53], v[62:63], v[112:113]
	;; [unrolled: 2-line block ×4, first 2 shown]
	ds_load_b128 v[34:37], v28 offset:1792
	ds_load_b128 v[38:41], v29 offset:64
	v_mul_f64_e32 v[64:65], v[72:73], v[84:85]
	v_add_f64_e32 v[24:25], v[24:25], v[94:95]
	v_add_f64_e32 v[26:27], v[96:97], v[26:27]
	;; [unrolled: 1-line block ×8, first 2 shown]
	v_mul_f64_e32 v[94:95], v[70:71], v[84:85]
	s_wait_dscnt 0x1
	v_mul_f64_e32 v[96:97], v[72:73], v[36:37]
	v_mul_f64_e32 v[98:99], v[70:71], v[36:37]
	;; [unrolled: 1-line block ×6, first 2 shown]
	v_fma_f64 v[112:113], v[66:67], v[74:75], -v[44:45]
	v_fma_f64 v[114:115], v[68:69], v[74:75], v[48:49]
	v_fma_f64 v[66:67], v[66:67], v[78:79], -v[104:105]
	v_fma_f64 v[68:69], v[68:69], v[78:79], v[120:121]
	;; [unrolled: 2-line block ×4, first 2 shown]
	ds_load_b128 v[12:15], v28 offset:2048
	ds_load_b128 v[16:19], v28 offset:2304
	v_fma_f64 v[64:65], v[70:71], v[82:83], -v[64:65]
	v_add_f64_e32 v[80:81], v[24:25], v[106:107]
	v_add_f64_e32 v[86:87], v[108:109], v[26:27]
	;; [unrolled: 1-line block ×8, first 2 shown]
	ds_load_b128 v[20:23], v29 offset:2112
	ds_load_b128 v[24:27], v29 offset:80
	;; [unrolled: 1-line block ×4, first 2 shown]
	s_wait_dscnt 0x5
	v_mul_f64_e32 v[62:63], v[40:41], v[14:15]
	v_mul_f64_e32 v[88:89], v[38:39], v[14:15]
	s_wait_dscnt 0x4
	v_mul_f64_e32 v[106:107], v[40:41], v[18:19]
	v_mul_f64_e32 v[108:109], v[38:39], v[18:19]
	v_fma_f64 v[94:95], v[72:73], v[82:83], v[94:95]
	v_fma_f64 v[70:71], v[70:71], v[34:35], -v[96:97]
	v_fma_f64 v[72:73], v[72:73], v[34:35], v[98:99]
	v_fma_f64 v[96:97], v[90:91], v[82:83], -v[100:101]
	;; [unrolled: 2-line block ×3, first 2 shown]
	v_fma_f64 v[90:91], v[92:93], v[34:35], v[36:37]
	s_wait_dscnt 0x3
	v_mul_f64_e32 v[110:111], v[22:23], v[14:15]
	v_mul_f64_e32 v[14:15], v[20:21], v[14:15]
	;; [unrolled: 1-line block ×4, first 2 shown]
	s_wait_dscnt 0x1
	v_mul_f64_e32 v[98:99], v[26:27], v[44:45]
	v_mul_f64_e32 v[100:101], v[24:25], v[44:45]
	v_add_f64_e32 v[80:81], v[80:81], v[112:113]
	v_add_f64_e32 v[86:87], v[114:115], v[86:87]
	;; [unrolled: 1-line block ×8, first 2 shown]
	ds_load_b128 v[34:37], v28 offset:2816
	ds_load_b128 v[50:53], v29 offset:96
	;; [unrolled: 1-line block ×4, first 2 shown]
	s_wait_dscnt 0x4
	v_mul_f64_e32 v[112:113], v[48:49], v[44:45]
	v_mul_f64_e32 v[44:45], v[46:47], v[44:45]
	v_fma_f64 v[62:63], v[38:39], v[12:13], -v[62:63]
	v_fma_f64 v[88:89], v[40:41], v[12:13], v[88:89]
	v_fma_f64 v[106:107], v[38:39], v[16:17], -v[106:107]
	v_fma_f64 v[40:41], v[40:41], v[16:17], v[108:109]
	s_wait_dscnt 0x3
	v_mul_f64_e32 v[102:103], v[26:27], v[36:37]
	v_mul_f64_e32 v[104:105], v[24:25], v[36:37]
	;; [unrolled: 1-line block ×4, first 2 shown]
	v_fma_f64 v[108:109], v[20:21], v[12:13], -v[110:111]
	v_fma_f64 v[110:111], v[22:23], v[12:13], v[14:15]
	v_fma_f64 v[116:117], v[20:21], v[16:17], -v[116:117]
	v_fma_f64 v[120:121], v[22:23], v[16:17], v[18:19]
	ds_load_b128 v[12:15], v29 offset:2144
	ds_load_b128 v[16:19], v29 offset:112
	;; [unrolled: 1-line block ×4, first 2 shown]
	v_add_f64_e32 v[64:65], v[80:81], v[64:65]
	v_add_f64_e32 v[80:81], v[94:95], v[86:87]
	;; [unrolled: 1-line block ×8, first 2 shown]
	s_wait_dscnt 0x5
	v_mul_f64_e32 v[78:79], v[52:53], v[56:57]
	v_mul_f64_e32 v[82:83], v[50:51], v[56:57]
	s_wait_dscnt 0x4
	v_mul_f64_e32 v[84:85], v[52:53], v[60:61]
	v_mul_f64_e32 v[86:87], v[50:51], v[60:61]
	;; [unrolled: 3-line block ×3, first 2 shown]
	v_mul_f64_e32 v[92:93], v[14:15], v[60:61]
	v_mul_f64_e32 v[60:61], v[12:13], v[60:61]
	v_fma_f64 v[94:95], v[24:25], v[42:43], -v[98:99]
	v_fma_f64 v[96:97], v[26:27], v[42:43], v[100:101]
	v_fma_f64 v[98:99], v[24:25], v[34:35], -v[102:103]
	v_fma_f64 v[100:101], v[26:27], v[34:35], v[104:105]
	;; [unrolled: 2-line block ×4, first 2 shown]
	ds_load_b128 v[24:27], v28 offset:3840
	s_wait_loadcnt_dscnt 0x0
	s_barrier_signal -1
	s_barrier_wait -1
	global_inv scope:SCOPE_SE
	v_add_f64_e32 v[46:47], v[64:65], v[62:63]
	v_add_f64_e32 v[48:49], v[88:89], v[80:81]
	;; [unrolled: 1-line block ×8, first 2 shown]
	v_mul_f64_e32 v[72:73], v[18:19], v[22:23]
	v_mul_f64_e32 v[74:75], v[16:17], v[22:23]
	;; [unrolled: 1-line block ×4, first 2 shown]
	v_fma_f64 v[78:79], v[50:51], v[54:55], -v[78:79]
	v_mul_f64_e32 v[76:77], v[18:19], v[26:27]
	v_mul_f64_e32 v[80:81], v[16:17], v[26:27]
	v_mul_f64_e32 v[104:105], v[38:39], v[26:27]
	v_mul_f64_e32 v[26:27], v[36:37], v[26:27]
	v_fma_f64 v[82:83], v[52:53], v[54:55], v[82:83]
	v_fma_f64 v[50:51], v[50:51], v[58:59], -v[84:85]
	v_fma_f64 v[52:53], v[52:53], v[58:59], v[86:87]
	v_fma_f64 v[84:85], v[12:13], v[54:55], -v[90:91]
	;; [unrolled: 2-line block ×3, first 2 shown]
	v_fma_f64 v[14:15], v[14:15], v[58:59], v[60:61]
	v_add_f64_e32 v[46:47], v[46:47], v[94:95]
	v_add_f64_e32 v[48:49], v[96:97], v[48:49]
	;; [unrolled: 1-line block ×8, first 2 shown]
	v_fma_f64 v[60:61], v[16:17], v[20:21], -v[72:73]
	v_fma_f64 v[62:63], v[18:19], v[20:21], v[74:75]
	v_fma_f64 v[64:65], v[36:37], v[20:21], -v[88:89]
	v_fma_f64 v[66:67], v[38:39], v[20:21], v[22:23]
	;; [unrolled: 2-line block ×4, first 2 shown]
	v_add_f64_e32 v[20:21], v[46:47], v[78:79]
	v_add_f64_e32 v[22:23], v[82:83], v[48:49]
	;; [unrolled: 1-line block ×16, first 2 shown]
	s_wait_alu 0xfffe
	s_cbranch_vccnz .LBB131_5
	s_branch .LBB131_7
.LBB131_6:                              ;   in Loop: Header=BB131_3 Depth=1
	v_mov_b32_e32 v24, 0
	v_mov_b32_e32 v20, 0
	;; [unrolled: 1-line block ×3, first 2 shown]
	v_dual_mov_b32 v12, 0 :: v_dual_mov_b32 v25, 0
	v_dual_mov_b32 v26, 0 :: v_dual_mov_b32 v21, 0
	;; [unrolled: 1-line block ×5, first 2 shown]
	v_mov_b32_e32 v23, 0
	v_mov_b32_e32 v19, 0
	;; [unrolled: 1-line block ×3, first 2 shown]
.LBB131_7:                              ;   in Loop: Header=BB131_3 Depth=1
	s_mul_u64 s[24:25], s[20:21], s[2:3]
	s_and_not1_b32 vcc_lo, exec_lo, s1
	s_wait_alu 0xfffe
	s_lshl_b64 s[24:25], s[24:25], 4
	s_mov_b32 s27, -1
	s_wait_alu 0xfffe
	s_add_nc_u64 s[24:25], s[16:17], s[24:25]
                                        ; implicit-def: $vgpr8_vgpr9
                                        ; implicit-def: $vgpr10_vgpr11
	s_cbranch_vccz .LBB131_9
; %bb.8:                                ;   in Loop: Header=BB131_3 Depth=1
	s_and_not1_b32 vcc_lo, exec_lo, s27
	s_wait_alu 0xfffe
	s_cbranch_vccnz .LBB131_2
	s_branch .LBB131_10
.LBB131_9:                              ;   in Loop: Header=BB131_3 Depth=1
	v_mul_f64_e32 v[8:9], s[40:41], v[26:27]
	v_mul_f64_e32 v[10:11], s[38:39], v[26:27]
	s_delay_alu instid0(VALU_DEP_3)
	v_mul_f64_e32 v[48:49], s[38:39], v[14:15]
	v_mul_f64_e32 v[38:39], s[40:41], v[22:23]
	;; [unrolled: 1-line block ×6, first 2 shown]
	v_fma_f64 v[34:35], s[38:39], v[24:25], -v[8:9]
	v_fma_f64 v[36:37], s[40:41], v[24:25], v[10:11]
	v_fma_f64 v[8:9], s[40:41], v[12:13], v[48:49]
	v_fma_f64 v[38:39], s[38:39], v[20:21], -v[38:39]
	v_fma_f64 v[40:41], s[40:41], v[20:21], v[40:41]
	v_fma_f64 v[42:43], s[38:39], v[16:17], -v[42:43]
	;; [unrolled: 2-line block ×3, first 2 shown]
	v_lshlrev_b64_e32 v[10:11], 4, v[0:1]
	s_wait_alu 0xfffe
	s_delay_alu instid0(VALU_DEP_1) | instskip(SKIP_1) | instid1(VALU_DEP_2)
	v_add_co_u32 v50, vcc_lo, s24, v10
	s_wait_alu 0xfffd
	v_add_co_ci_u32_e64 v51, null, s25, v11, vcc_lo
	v_lshlrev_b64_e32 v[10:11], 4, v[2:3]
	s_delay_alu instid0(VALU_DEP_3) | instskip(SKIP_1) | instid1(VALU_DEP_3)
	v_add_co_u32 v48, vcc_lo, v50, s22
	s_wait_alu 0xfffd
	v_add_co_ci_u32_e64 v49, null, s23, v51, vcc_lo
	s_delay_alu instid0(VALU_DEP_2) | instskip(SKIP_1) | instid1(VALU_DEP_2)
	v_add_co_u32 v48, vcc_lo, v48, v10
	s_wait_alu 0xfffd
	v_add_co_ci_u32_e64 v49, null, v49, v11, vcc_lo
	v_add_co_u32 v50, vcc_lo, v50, v10
	s_wait_alu 0xfffd
	v_add_co_ci_u32_e64 v51, null, v51, v11, vcc_lo
	;; [unrolled: 3-line block ×3, first 2 shown]
	s_clause 0x3
	global_store_b128 v[50:51], v[34:37], off
	global_store_b128 v[50:51], v[38:41], off offset:256
	global_store_b128 v[48:49], v[42:45], off
	global_store_b64 v[48:49], v[46:47], off offset:256
	s_cbranch_execnz .LBB131_2
.LBB131_10:                             ;   in Loop: Header=BB131_3 Depth=1
	s_mul_u64 s[28:29], s[14:15], s[2:3]
	v_lshlrev_b64_e32 v[34:35], 4, v[2:3]
	s_wait_alu 0xfffe
	s_lshl_b64 s[28:29], s[28:29], 4
	v_mul_f64_e32 v[38:39], s[40:41], v[26:27]
	s_wait_alu 0xfffe
	v_add_co_u32 v42, vcc_lo, v32, s28
	s_wait_alu 0xfffd
	v_add_co_ci_u32_e64 v43, null, s29, v33, vcc_lo
	v_mul_f64_e32 v[26:27], s[38:39], v[26:27]
	s_delay_alu instid0(VALU_DEP_3) | instskip(SKIP_1) | instid1(VALU_DEP_3)
	v_add_co_u32 v36, vcc_lo, v42, v34
	s_wait_alu 0xfffd
	v_add_co_ci_u32_e64 v37, null, v43, v35, vcc_lo
	global_load_b128 v[8:11], v[36:37], off
	v_fma_f64 v[38:39], s[38:39], v[24:25], -v[38:39]
	v_fma_f64 v[24:25], s[40:41], v[24:25], v[26:27]
	s_wait_loadcnt 0x0
	v_mul_f64_e32 v[40:41], s[8:9], v[10:11]
	v_mul_f64_e32 v[10:11], s[6:7], v[10:11]
	s_delay_alu instid0(VALU_DEP_2) | instskip(NEXT) | instid1(VALU_DEP_2)
	v_fma_f64 v[26:27], s[6:7], v[8:9], -v[40:41]
	v_fma_f64 v[10:11], s[8:9], v[8:9], v[10:11]
	s_delay_alu instid0(VALU_DEP_2) | instskip(NEXT) | instid1(VALU_DEP_2)
	v_add_f64_e32 v[8:9], v[38:39], v[26:27]
	v_add_f64_e32 v[10:11], v[24:25], v[10:11]
	v_lshlrev_b64_e32 v[24:25], 4, v[0:1]
	v_mul_f64_e32 v[26:27], s[40:41], v[22:23]
	v_mul_f64_e32 v[22:23], s[38:39], v[22:23]
	s_delay_alu instid0(VALU_DEP_3) | instskip(SKIP_1) | instid1(VALU_DEP_4)
	v_add_co_u32 v38, vcc_lo, s24, v24
	s_wait_alu 0xfffd
	v_add_co_ci_u32_e64 v39, null, s25, v25, vcc_lo
	s_delay_alu instid0(VALU_DEP_2) | instskip(SKIP_1) | instid1(VALU_DEP_2)
	v_add_co_u32 v24, vcc_lo, v38, v34
	s_wait_alu 0xfffd
	v_add_co_ci_u32_e64 v25, null, v39, v35, vcc_lo
	global_store_b128 v[24:25], v[8:11], off
	global_load_b128 v[8:11], v[36:37], off offset:256
	v_fma_f64 v[26:27], s[38:39], v[20:21], -v[26:27]
	v_fma_f64 v[20:21], s[40:41], v[20:21], v[22:23]
	s_wait_loadcnt 0x0
	v_mul_f64_e32 v[36:37], s[8:9], v[10:11]
	v_mul_f64_e32 v[10:11], s[6:7], v[10:11]
	s_delay_alu instid0(VALU_DEP_2) | instskip(NEXT) | instid1(VALU_DEP_2)
	v_fma_f64 v[22:23], s[6:7], v[8:9], -v[36:37]
	v_fma_f64 v[10:11], s[8:9], v[8:9], v[10:11]
	s_delay_alu instid0(VALU_DEP_2) | instskip(NEXT) | instid1(VALU_DEP_2)
	v_add_f64_e32 v[8:9], v[26:27], v[22:23]
	v_add_f64_e32 v[10:11], v[20:21], v[10:11]
	v_add_co_u32 v20, vcc_lo, v42, s18
	s_wait_alu 0xfffd
	v_add_co_ci_u32_e64 v21, null, s19, v43, vcc_lo
	v_mul_f64_e32 v[22:23], s[40:41], v[18:19]
	s_delay_alu instid0(VALU_DEP_3) | instskip(SKIP_1) | instid1(VALU_DEP_3)
	v_add_co_u32 v20, vcc_lo, v20, v34
	s_wait_alu 0xfffd
	v_add_co_ci_u32_e64 v21, null, v21, v35, vcc_lo
	v_mul_f64_e32 v[18:19], s[38:39], v[18:19]
	global_store_b128 v[24:25], v[8:11], off offset:256
	global_load_b128 v[8:11], v[20:21], off
	v_fma_f64 v[22:23], s[38:39], v[16:17], -v[22:23]
	v_fma_f64 v[16:17], s[40:41], v[16:17], v[18:19]
	s_wait_loadcnt 0x0
	v_mul_f64_e32 v[24:25], s[8:9], v[10:11]
	v_mul_f64_e32 v[10:11], s[6:7], v[10:11]
	s_delay_alu instid0(VALU_DEP_2) | instskip(NEXT) | instid1(VALU_DEP_2)
	v_fma_f64 v[18:19], s[6:7], v[8:9], -v[24:25]
	v_fma_f64 v[10:11], s[8:9], v[8:9], v[10:11]
	s_delay_alu instid0(VALU_DEP_2) | instskip(NEXT) | instid1(VALU_DEP_2)
	v_add_f64_e32 v[8:9], v[22:23], v[18:19]
	v_add_f64_e32 v[10:11], v[16:17], v[10:11]
	v_add_co_u32 v16, vcc_lo, v38, s22
	s_wait_alu 0xfffd
	v_add_co_ci_u32_e64 v17, null, s23, v39, vcc_lo
	v_mul_f64_e32 v[18:19], s[40:41], v[14:15]
	s_delay_alu instid0(VALU_DEP_3) | instskip(SKIP_1) | instid1(VALU_DEP_3)
	v_add_co_u32 v16, vcc_lo, v16, v34
	s_wait_alu 0xfffd
	v_add_co_ci_u32_e64 v17, null, v17, v35, vcc_lo
	v_mul_f64_e32 v[14:15], s[38:39], v[14:15]
	global_store_b128 v[16:17], v[8:11], off
	global_load_b128 v[8:11], v[20:21], off offset:256
	v_fma_f64 v[18:19], s[38:39], v[12:13], -v[18:19]
	v_fma_f64 v[12:13], s[40:41], v[12:13], v[14:15]
	s_wait_loadcnt 0x0
	v_mul_f64_e32 v[20:21], s[8:9], v[10:11]
	v_mul_f64_e32 v[10:11], s[6:7], v[10:11]
	s_delay_alu instid0(VALU_DEP_2) | instskip(NEXT) | instid1(VALU_DEP_2)
	v_fma_f64 v[14:15], s[6:7], v[8:9], -v[20:21]
	v_fma_f64 v[8:9], s[8:9], v[8:9], v[10:11]
	v_add_co_u32 v10, vcc_lo, 0x100, v16
	s_wait_alu 0xfffd
	v_add_co_ci_u32_e64 v11, null, 0, v17, vcc_lo
	s_delay_alu instid0(VALU_DEP_4) | instskip(NEXT) | instid1(VALU_DEP_4)
	v_add_f64_e32 v[14:15], v[18:19], v[14:15]
	v_add_f64_e32 v[8:9], v[12:13], v[8:9]
	global_store_b64 v[16:17], v[14:15], off offset:256
	s_branch .LBB131_2
.LBB131_11:
	s_nop 0
	s_sendmsg sendmsg(MSG_DEALLOC_VGPRS)
	s_endpgm
	.section	.rodata,"a",@progbits
	.p2align	6, 0x0
	.amdhsa_kernel _ZN12_GLOBAL__N_127rocblas_gemm_batched_kernelI19rocblas_complex_numIdELi16ELi16ELi32ELi32ELi8ELi32ELi8ELi8ELi32ELc67ELc67EKS2_S3_S2_EEvlllT_PT11_llS6_llS4_PT12_llPT13_lli
		.amdhsa_group_segment_fixed_size 8192
		.amdhsa_private_segment_fixed_size 0
		.amdhsa_kernarg_size 156
		.amdhsa_user_sgpr_count 2
		.amdhsa_user_sgpr_dispatch_ptr 0
		.amdhsa_user_sgpr_queue_ptr 0
		.amdhsa_user_sgpr_kernarg_segment_ptr 1
		.amdhsa_user_sgpr_dispatch_id 0
		.amdhsa_user_sgpr_private_segment_size 0
		.amdhsa_wavefront_size32 1
		.amdhsa_uses_dynamic_stack 0
		.amdhsa_enable_private_segment 0
		.amdhsa_system_sgpr_workgroup_id_x 1
		.amdhsa_system_sgpr_workgroup_id_y 1
		.amdhsa_system_sgpr_workgroup_id_z 1
		.amdhsa_system_sgpr_workgroup_info 0
		.amdhsa_system_vgpr_workitem_id 1
		.amdhsa_next_free_vgpr 126
		.amdhsa_next_free_sgpr 52
		.amdhsa_reserve_vcc 1
		.amdhsa_float_round_mode_32 0
		.amdhsa_float_round_mode_16_64 0
		.amdhsa_float_denorm_mode_32 3
		.amdhsa_float_denorm_mode_16_64 3
		.amdhsa_fp16_overflow 0
		.amdhsa_workgroup_processor_mode 1
		.amdhsa_memory_ordered 1
		.amdhsa_forward_progress 1
		.amdhsa_inst_pref_size 26
		.amdhsa_round_robin_scheduling 0
		.amdhsa_exception_fp_ieee_invalid_op 0
		.amdhsa_exception_fp_denorm_src 0
		.amdhsa_exception_fp_ieee_div_zero 0
		.amdhsa_exception_fp_ieee_overflow 0
		.amdhsa_exception_fp_ieee_underflow 0
		.amdhsa_exception_fp_ieee_inexact 0
		.amdhsa_exception_int_div_zero 0
	.end_amdhsa_kernel
	.section	.text._ZN12_GLOBAL__N_127rocblas_gemm_batched_kernelI19rocblas_complex_numIdELi16ELi16ELi32ELi32ELi8ELi32ELi8ELi8ELi32ELc67ELc67EKS2_S3_S2_EEvlllT_PT11_llS6_llS4_PT12_llPT13_lli,"axG",@progbits,_ZN12_GLOBAL__N_127rocblas_gemm_batched_kernelI19rocblas_complex_numIdELi16ELi16ELi32ELi32ELi8ELi32ELi8ELi8ELi32ELc67ELc67EKS2_S3_S2_EEvlllT_PT11_llS6_llS4_PT12_llPT13_lli,comdat
.Lfunc_end131:
	.size	_ZN12_GLOBAL__N_127rocblas_gemm_batched_kernelI19rocblas_complex_numIdELi16ELi16ELi32ELi32ELi8ELi32ELi8ELi8ELi32ELc67ELc67EKS2_S3_S2_EEvlllT_PT11_llS6_llS4_PT12_llPT13_lli, .Lfunc_end131-_ZN12_GLOBAL__N_127rocblas_gemm_batched_kernelI19rocblas_complex_numIdELi16ELi16ELi32ELi32ELi8ELi32ELi8ELi8ELi32ELc67ELc67EKS2_S3_S2_EEvlllT_PT11_llS6_llS4_PT12_llPT13_lli
                                        ; -- End function
	.set _ZN12_GLOBAL__N_127rocblas_gemm_batched_kernelI19rocblas_complex_numIdELi16ELi16ELi32ELi32ELi8ELi32ELi8ELi8ELi32ELc67ELc67EKS2_S3_S2_EEvlllT_PT11_llS6_llS4_PT12_llPT13_lli.num_vgpr, 126
	.set _ZN12_GLOBAL__N_127rocblas_gemm_batched_kernelI19rocblas_complex_numIdELi16ELi16ELi32ELi32ELi8ELi32ELi8ELi8ELi32ELc67ELc67EKS2_S3_S2_EEvlllT_PT11_llS6_llS4_PT12_llPT13_lli.num_agpr, 0
	.set _ZN12_GLOBAL__N_127rocblas_gemm_batched_kernelI19rocblas_complex_numIdELi16ELi16ELi32ELi32ELi8ELi32ELi8ELi8ELi32ELc67ELc67EKS2_S3_S2_EEvlllT_PT11_llS6_llS4_PT12_llPT13_lli.numbered_sgpr, 52
	.set _ZN12_GLOBAL__N_127rocblas_gemm_batched_kernelI19rocblas_complex_numIdELi16ELi16ELi32ELi32ELi8ELi32ELi8ELi8ELi32ELc67ELc67EKS2_S3_S2_EEvlllT_PT11_llS6_llS4_PT12_llPT13_lli.num_named_barrier, 0
	.set _ZN12_GLOBAL__N_127rocblas_gemm_batched_kernelI19rocblas_complex_numIdELi16ELi16ELi32ELi32ELi8ELi32ELi8ELi8ELi32ELc67ELc67EKS2_S3_S2_EEvlllT_PT11_llS6_llS4_PT12_llPT13_lli.private_seg_size, 0
	.set _ZN12_GLOBAL__N_127rocblas_gemm_batched_kernelI19rocblas_complex_numIdELi16ELi16ELi32ELi32ELi8ELi32ELi8ELi8ELi32ELc67ELc67EKS2_S3_S2_EEvlllT_PT11_llS6_llS4_PT12_llPT13_lli.uses_vcc, 1
	.set _ZN12_GLOBAL__N_127rocblas_gemm_batched_kernelI19rocblas_complex_numIdELi16ELi16ELi32ELi32ELi8ELi32ELi8ELi8ELi32ELc67ELc67EKS2_S3_S2_EEvlllT_PT11_llS6_llS4_PT12_llPT13_lli.uses_flat_scratch, 0
	.set _ZN12_GLOBAL__N_127rocblas_gemm_batched_kernelI19rocblas_complex_numIdELi16ELi16ELi32ELi32ELi8ELi32ELi8ELi8ELi32ELc67ELc67EKS2_S3_S2_EEvlllT_PT11_llS6_llS4_PT12_llPT13_lli.has_dyn_sized_stack, 0
	.set _ZN12_GLOBAL__N_127rocblas_gemm_batched_kernelI19rocblas_complex_numIdELi16ELi16ELi32ELi32ELi8ELi32ELi8ELi8ELi32ELc67ELc67EKS2_S3_S2_EEvlllT_PT11_llS6_llS4_PT12_llPT13_lli.has_recursion, 0
	.set _ZN12_GLOBAL__N_127rocblas_gemm_batched_kernelI19rocblas_complex_numIdELi16ELi16ELi32ELi32ELi8ELi32ELi8ELi8ELi32ELc67ELc67EKS2_S3_S2_EEvlllT_PT11_llS6_llS4_PT12_llPT13_lli.has_indirect_call, 0
	.section	.AMDGPU.csdata,"",@progbits
; Kernel info:
; codeLenInByte = 3256
; TotalNumSgprs: 54
; NumVgprs: 126
; ScratchSize: 0
; MemoryBound: 0
; FloatMode: 240
; IeeeMode: 1
; LDSByteSize: 8192 bytes/workgroup (compile time only)
; SGPRBlocks: 0
; VGPRBlocks: 15
; NumSGPRsForWavesPerEU: 54
; NumVGPRsForWavesPerEU: 126
; Occupancy: 10
; WaveLimiterHint : 1
; COMPUTE_PGM_RSRC2:SCRATCH_EN: 0
; COMPUTE_PGM_RSRC2:USER_SGPR: 2
; COMPUTE_PGM_RSRC2:TRAP_HANDLER: 0
; COMPUTE_PGM_RSRC2:TGID_X_EN: 1
; COMPUTE_PGM_RSRC2:TGID_Y_EN: 1
; COMPUTE_PGM_RSRC2:TGID_Z_EN: 1
; COMPUTE_PGM_RSRC2:TIDIG_COMP_CNT: 1
	.section	.text._ZN12_GLOBAL__N_127rocblas_gemm_batched_kernelI19rocblas_complex_numIdELi16ELi16ELi32ELi32ELi8ELi32ELi8ELi8ELi32ELc67ELc78EKS2_S3_S2_EEvlllT_PT11_llS6_llS4_PT12_llPT13_lli,"axG",@progbits,_ZN12_GLOBAL__N_127rocblas_gemm_batched_kernelI19rocblas_complex_numIdELi16ELi16ELi32ELi32ELi8ELi32ELi8ELi8ELi32ELc67ELc78EKS2_S3_S2_EEvlllT_PT11_llS6_llS4_PT12_llPT13_lli,comdat
	.globl	_ZN12_GLOBAL__N_127rocblas_gemm_batched_kernelI19rocblas_complex_numIdELi16ELi16ELi32ELi32ELi8ELi32ELi8ELi8ELi32ELc67ELc78EKS2_S3_S2_EEvlllT_PT11_llS6_llS4_PT12_llPT13_lli ; -- Begin function _ZN12_GLOBAL__N_127rocblas_gemm_batched_kernelI19rocblas_complex_numIdELi16ELi16ELi32ELi32ELi8ELi32ELi8ELi8ELi32ELc67ELc78EKS2_S3_S2_EEvlllT_PT11_llS6_llS4_PT12_llPT13_lli
	.p2align	8
	.type	_ZN12_GLOBAL__N_127rocblas_gemm_batched_kernelI19rocblas_complex_numIdELi16ELi16ELi32ELi32ELi8ELi32ELi8ELi8ELi32ELc67ELc78EKS2_S3_S2_EEvlllT_PT11_llS6_llS4_PT12_llPT13_lli,@function
_ZN12_GLOBAL__N_127rocblas_gemm_batched_kernelI19rocblas_complex_numIdELi16ELi16ELi32ELi32ELi8ELi32ELi8ELi8ELi32ELc67ELc78EKS2_S3_S2_EEvlllT_PT11_llS6_llS4_PT12_llPT13_lli: ; @_ZN12_GLOBAL__N_127rocblas_gemm_batched_kernelI19rocblas_complex_numIdELi16ELi16ELi32ELi32ELi8ELi32ELi8ELi8ELi32ELc67ELc78EKS2_S3_S2_EEvlllT_PT11_llS6_llS4_PT12_llPT13_lli
; %bb.0:
	s_load_b32 s24, s[0:1], 0x98
	s_lshr_b32 s2, ttmp7, 16
	s_wait_kmcnt 0x0
	s_cmp_ge_i32 s2, s24
	s_cbranch_scc1 .LBB132_11
; %bb.1:
	v_and_b32_e32 v1, 0x3ff, v0
	v_bfe_u32 v2, v0, 10, 10
	s_clause 0x2
	s_load_b512 s[4:19], s[0:1], 0x50
	s_load_b512 s[36:51], s[0:1], 0x10
	s_load_b64 s[20:21], s[0:1], 0x90
	v_lshlrev_b32_e32 v0, 4, v0
	s_lshl_b32 s3, ttmp7, 5
	s_mov_b32 s22, ttmp9
	v_lshl_add_u32 v3, v2, 4, v1
	s_and_b32 s3, s3, 0x1fffe0
	v_and_b32_e32 v14, 0x70, v0
	v_lshl_add_u32 v29, v2, 7, 0x1000
	v_add_nc_u32_e32 v11, s3, v2
	v_and_b32_e32 v2, 31, v3
	v_lshrrev_b32_e32 v6, 3, v3
	s_ashr_i32 s23, ttmp9, 31
	v_lshrrev_b32_e32 v3, 5, v3
	s_lshl_b64 s[0:1], s[22:23], 5
	v_lshlrev_b32_e32 v7, 4, v2
	v_add_nc_u32_e32 v13, s3, v6
	v_lshl_or_b32 v12, v6, 7, v14
	v_or_b32_e32 v6, s0, v2
	s_wait_kmcnt 0x0
	v_mad_co_u64_u32 v[4:5], null, v11, s12, 0
	v_lshl_or_b32 v30, v3, 9, v7
	v_lshlrev_b32_e32 v15, 4, v3
	v_mul_lo_u32 v16, s45, v6
	v_mad_co_u64_u32 v[6:7], null, s44, v6, 0
	v_mad_co_u64_u32 v[2:3], null, v11, s18, 0
	v_add_nc_u32_e32 v31, 0x1000, v12
	v_cmp_eq_f64_e64 s22, s[6:7], 0
	v_cmp_eq_f64_e64 s23, s[8:9], 0
	s_lshl_b64 s[4:5], s[4:5], 4
	v_mad_co_u64_u32 v[8:9], null, v11, s13, v[5:6]
	v_mad_co_u64_u32 v[9:10], null, s50, v13, 0
	;; [unrolled: 1-line block ×3, first 2 shown]
	s_lshl_b64 s[18:19], s[18:19], 4
	s_lshl_b64 s[12:13], s[12:13], 4
	v_mov_b32_e32 v5, v8
	s_mov_b32 s3, 0
	v_mov_b32_e32 v3, v10
	s_wait_alu 0xfffe
	s_lshl_b64 s[12:13], s[12:13], 4
	s_lshl_b64 s[18:19], s[18:19], 4
	v_lshlrev_b64_e32 v[4:5], 4, v[4:5]
	s_delay_alu instid0(VALU_DEP_1) | instskip(SKIP_1) | instid1(VALU_DEP_1)
	v_mad_co_u64_u32 v[12:13], null, s51, v13, v[3:4]
	v_add_co_u32 v32, vcc_lo, s10, v4
	v_add_co_ci_u32_e64 v33, null, s11, v5, vcc_lo
	v_mov_b32_e32 v3, v11
	s_lshl_b64 s[10:11], s[46:47], 4
	s_delay_alu instid0(VALU_DEP_4)
	v_mov_b32_e32 v10, v12
	v_add_co_u32 v0, s25, s0, v1
	s_mul_i32 s0, s44, s1
	v_lshlrev_b32_e32 v28, 4, v1
	s_wait_alu 0xfffe
	v_add3_u32 v7, v7, s0, v16
	v_cmp_gt_i64_e64 s0, s[36:37], 0
	v_add_co_ci_u32_e64 v1, null, s1, 0, s25
	s_and_b32 s1, s22, s23
	v_lshlrev_b64_e32 v[6:7], 4, v[6:7]
	s_wait_alu 0xf1ff
	v_cndmask_b32_e64 v8, 0, 1, s0
	s_delay_alu instid0(VALU_DEP_2) | instskip(SKIP_1) | instid1(VALU_DEP_3)
	v_add_co_u32 v4, vcc_lo, v6, v15
	s_wait_alu 0xfffd
	v_add_co_ci_u32_e64 v5, null, 0, v7, vcc_lo
	v_lshlrev_b64_e32 v[6:7], 4, v[9:10]
	s_delay_alu instid0(VALU_DEP_3) | instskip(SKIP_1) | instid1(VALU_DEP_3)
	v_add_co_u32 v4, vcc_lo, s42, v4
	s_wait_alu 0xfffd
	v_add_co_ci_u32_e64 v5, null, s43, v5, vcc_lo
	v_cmp_ne_u32_e64 s0, 1, v8
	s_delay_alu instid0(VALU_DEP_3) | instskip(SKIP_1) | instid1(VALU_DEP_3)
	v_add_co_u32 v4, vcc_lo, v4, 8
	s_wait_alu 0xfffd
	v_add_co_ci_u32_e64 v5, null, 0, v5, vcc_lo
	v_add_co_u32 v6, vcc_lo, v6, v14
	s_wait_alu 0xfffd
	v_add_co_ci_u32_e64 v7, null, 0, v7, vcc_lo
	s_delay_alu instid0(VALU_DEP_2) | instskip(SKIP_1) | instid1(VALU_DEP_2)
	v_add_co_u32 v6, vcc_lo, s48, v6
	s_wait_alu 0xfffd
	v_add_co_ci_u32_e64 v7, null, s49, v7, vcc_lo
	s_branch .LBB132_3
.LBB132_2:                              ;   in Loop: Header=BB132_3 Depth=1
	s_add_co_i32 s2, s2, 0x10000
	global_store_b64 v[10:11], v[8:9], off offset:8
	s_wait_alu 0xfffe
	s_cmp_lt_i32 s2, s24
	s_cbranch_scc0 .LBB132_11
.LBB132_3:                              ; =>This Loop Header: Depth=1
                                        ;     Child Loop BB132_5 Depth 2
	s_and_b32 vcc_lo, exec_lo, s0
	s_wait_alu 0xfffe
	s_cbranch_vccnz .LBB132_6
; %bb.4:                                ;   in Loop: Header=BB132_3 Depth=1
	v_mad_co_u64_u32 v[8:9], null, s10, s2, v[4:5]
	v_mad_co_u64_u32 v[10:11], null, s4, s2, v[6:7]
	v_mov_b32_e32 v14, 0
	v_dual_mov_b32 v15, 0 :: v_dual_mov_b32 v12, 0
	v_dual_mov_b32 v13, 0 :: v_dual_mov_b32 v18, 0
	v_mov_b32_e32 v22, 0
	v_mad_co_u64_u32 v[34:35], null, s11, s2, v[9:10]
	s_delay_alu instid0(VALU_DEP_4)
	v_mad_co_u64_u32 v[35:36], null, s5, s2, v[11:12]
	v_dual_mov_b32 v26, 0 :: v_dual_mov_b32 v19, 0
	v_dual_mov_b32 v16, 0 :: v_dual_mov_b32 v23, 0
	;; [unrolled: 1-line block ×4, first 2 shown]
	v_mov_b32_e32 v21, 0
	v_mov_b32_e32 v25, 0
	;; [unrolled: 1-line block ×4, first 2 shown]
	s_mov_b64 s[22:23], 0
.LBB132_5:                              ;   Parent Loop BB132_3 Depth=1
                                        ; =>  This Inner Loop Header: Depth=2
	global_load_b128 v[34:37], v[8:9], off offset:-8
	global_load_b128 v[38:41], v[10:11], off
	s_wait_alu 0xfffe
	s_add_nc_u64 s[22:23], s[22:23], 8
	v_add_co_u32 v8, vcc_lo, 0x80, v8
	s_wait_alu 0xfffe
	v_cmp_lt_i64_e64 s25, s[22:23], s[36:37]
	s_wait_alu 0xfffd
	v_add_co_ci_u32_e64 v9, null, 0, v9, vcc_lo
	v_add_co_u32 v10, vcc_lo, 0x80, v10
	s_wait_alu 0xfffd
	v_add_co_ci_u32_e64 v11, null, 0, v11, vcc_lo
	s_and_b32 vcc_lo, exec_lo, s25
	s_wait_loadcnt 0x1
	v_xor_b32_e32 v37, 0x80000000, v37
	ds_store_b128 v30, v[34:37]
	s_wait_loadcnt 0x0
	ds_store_2addr_b64 v31, v[38:39], v[40:41] offset1:1
	s_wait_dscnt 0x0
	s_barrier_signal -1
	s_barrier_wait -1
	global_inv scope:SCOPE_SE
	ds_load_b128 v[34:37], v29
	ds_load_b128 v[38:41], v28
	ds_load_b128 v[42:45], v28 offset:256
	ds_load_b128 v[46:49], v29 offset:2048
	;; [unrolled: 1-line block ×13, first 2 shown]
	s_wait_dscnt 0xd
	v_mul_f64_e32 v[94:95], v[36:37], v[40:41]
	v_mul_f64_e32 v[96:97], v[34:35], v[40:41]
	s_wait_dscnt 0xc
	v_mul_f64_e32 v[98:99], v[36:37], v[44:45]
	v_mul_f64_e32 v[100:101], v[34:35], v[44:45]
	;; [unrolled: 3-line block ×3, first 2 shown]
	v_mul_f64_e32 v[104:105], v[48:49], v[44:45]
	v_mul_f64_e32 v[44:45], v[46:47], v[44:45]
	s_wait_dscnt 0x9
	v_mul_f64_e32 v[106:107], v[52:53], v[56:57]
	v_mul_f64_e32 v[108:109], v[50:51], v[56:57]
	s_wait_dscnt 0x7
	v_mul_f64_e32 v[110:111], v[52:53], v[64:65]
	v_mul_f64_e32 v[112:113], v[50:51], v[64:65]
	;; [unrolled: 1-line block ×6, first 2 shown]
	s_wait_dscnt 0x3
	v_mul_f64_e32 v[120:121], v[66:67], v[80:81]
	s_wait_dscnt 0x1
	v_mul_f64_e32 v[122:123], v[88:89], v[76:77]
	v_mul_f64_e32 v[124:125], v[88:89], v[80:81]
	v_fma_f64 v[94:95], v[34:35], v[38:39], -v[94:95]
	v_fma_f64 v[96:97], v[36:37], v[38:39], v[96:97]
	v_fma_f64 v[98:99], v[34:35], v[42:43], -v[98:99]
	v_fma_f64 v[100:101], v[36:37], v[42:43], v[100:101]
	;; [unrolled: 2-line block ×4, first 2 shown]
	v_mul_f64_e32 v[44:45], v[68:69], v[76:77]
	v_mul_f64_e32 v[48:49], v[66:67], v[76:77]
	v_mul_f64_e32 v[104:105], v[68:69], v[80:81]
	v_mul_f64_e32 v[76:77], v[86:87], v[76:77]
	v_mul_f64_e32 v[80:81], v[86:87], v[80:81]
	v_fma_f64 v[106:107], v[50:51], v[54:55], -v[106:107]
	v_fma_f64 v[108:109], v[52:53], v[54:55], v[108:109]
	v_fma_f64 v[50:51], v[50:51], v[62:63], -v[110:111]
	v_fma_f64 v[52:53], v[52:53], v[62:63], v[112:113]
	v_fma_f64 v[110:111], v[58:59], v[54:55], -v[114:115]
	v_fma_f64 v[54:55], v[60:61], v[54:55], v[56:57]
	v_fma_f64 v[56:57], v[58:59], v[62:63], -v[116:117]
	v_fma_f64 v[58:59], v[60:61], v[62:63], v[64:65]
	ds_load_b128 v[34:37], v28 offset:1792
	ds_load_b128 v[38:41], v29 offset:64
	v_mul_f64_e32 v[64:65], v[72:73], v[84:85]
	v_add_f64_e32 v[24:25], v[24:25], v[94:95]
	v_add_f64_e32 v[26:27], v[96:97], v[26:27]
	;; [unrolled: 1-line block ×8, first 2 shown]
	v_mul_f64_e32 v[94:95], v[70:71], v[84:85]
	s_wait_dscnt 0x1
	v_mul_f64_e32 v[96:97], v[72:73], v[36:37]
	v_mul_f64_e32 v[98:99], v[70:71], v[36:37]
	;; [unrolled: 1-line block ×6, first 2 shown]
	v_fma_f64 v[112:113], v[66:67], v[74:75], -v[44:45]
	v_fma_f64 v[114:115], v[68:69], v[74:75], v[48:49]
	v_fma_f64 v[66:67], v[66:67], v[78:79], -v[104:105]
	v_fma_f64 v[68:69], v[68:69], v[78:79], v[120:121]
	;; [unrolled: 2-line block ×4, first 2 shown]
	ds_load_b128 v[12:15], v28 offset:2048
	ds_load_b128 v[16:19], v28 offset:2304
	v_fma_f64 v[64:65], v[70:71], v[82:83], -v[64:65]
	v_add_f64_e32 v[80:81], v[24:25], v[106:107]
	v_add_f64_e32 v[86:87], v[108:109], v[26:27]
	;; [unrolled: 1-line block ×8, first 2 shown]
	ds_load_b128 v[20:23], v29 offset:2112
	ds_load_b128 v[24:27], v29 offset:80
	;; [unrolled: 1-line block ×4, first 2 shown]
	s_wait_dscnt 0x5
	v_mul_f64_e32 v[62:63], v[40:41], v[14:15]
	v_mul_f64_e32 v[88:89], v[38:39], v[14:15]
	s_wait_dscnt 0x4
	v_mul_f64_e32 v[106:107], v[40:41], v[18:19]
	v_mul_f64_e32 v[108:109], v[38:39], v[18:19]
	v_fma_f64 v[94:95], v[72:73], v[82:83], v[94:95]
	v_fma_f64 v[70:71], v[70:71], v[34:35], -v[96:97]
	v_fma_f64 v[72:73], v[72:73], v[34:35], v[98:99]
	v_fma_f64 v[96:97], v[90:91], v[82:83], -v[100:101]
	;; [unrolled: 2-line block ×3, first 2 shown]
	v_fma_f64 v[90:91], v[92:93], v[34:35], v[36:37]
	s_wait_dscnt 0x3
	v_mul_f64_e32 v[110:111], v[22:23], v[14:15]
	v_mul_f64_e32 v[14:15], v[20:21], v[14:15]
	;; [unrolled: 1-line block ×4, first 2 shown]
	s_wait_dscnt 0x1
	v_mul_f64_e32 v[98:99], v[26:27], v[44:45]
	v_mul_f64_e32 v[100:101], v[24:25], v[44:45]
	v_add_f64_e32 v[80:81], v[80:81], v[112:113]
	v_add_f64_e32 v[86:87], v[114:115], v[86:87]
	;; [unrolled: 1-line block ×8, first 2 shown]
	ds_load_b128 v[34:37], v28 offset:2816
	ds_load_b128 v[50:53], v29 offset:96
	;; [unrolled: 1-line block ×4, first 2 shown]
	s_wait_dscnt 0x4
	v_mul_f64_e32 v[112:113], v[48:49], v[44:45]
	v_mul_f64_e32 v[44:45], v[46:47], v[44:45]
	v_fma_f64 v[62:63], v[38:39], v[12:13], -v[62:63]
	v_fma_f64 v[88:89], v[40:41], v[12:13], v[88:89]
	v_fma_f64 v[106:107], v[38:39], v[16:17], -v[106:107]
	v_fma_f64 v[40:41], v[40:41], v[16:17], v[108:109]
	s_wait_dscnt 0x3
	v_mul_f64_e32 v[102:103], v[26:27], v[36:37]
	v_mul_f64_e32 v[104:105], v[24:25], v[36:37]
	;; [unrolled: 1-line block ×4, first 2 shown]
	v_fma_f64 v[108:109], v[20:21], v[12:13], -v[110:111]
	v_fma_f64 v[110:111], v[22:23], v[12:13], v[14:15]
	v_fma_f64 v[116:117], v[20:21], v[16:17], -v[116:117]
	v_fma_f64 v[120:121], v[22:23], v[16:17], v[18:19]
	ds_load_b128 v[12:15], v29 offset:2144
	ds_load_b128 v[16:19], v29 offset:112
	;; [unrolled: 1-line block ×4, first 2 shown]
	v_add_f64_e32 v[64:65], v[80:81], v[64:65]
	v_add_f64_e32 v[80:81], v[94:95], v[86:87]
	;; [unrolled: 1-line block ×8, first 2 shown]
	s_wait_dscnt 0x5
	v_mul_f64_e32 v[78:79], v[52:53], v[56:57]
	v_mul_f64_e32 v[82:83], v[50:51], v[56:57]
	s_wait_dscnt 0x4
	v_mul_f64_e32 v[84:85], v[52:53], v[60:61]
	v_mul_f64_e32 v[86:87], v[50:51], v[60:61]
	;; [unrolled: 3-line block ×3, first 2 shown]
	v_mul_f64_e32 v[92:93], v[14:15], v[60:61]
	v_mul_f64_e32 v[60:61], v[12:13], v[60:61]
	v_fma_f64 v[94:95], v[24:25], v[42:43], -v[98:99]
	v_fma_f64 v[96:97], v[26:27], v[42:43], v[100:101]
	v_fma_f64 v[98:99], v[24:25], v[34:35], -v[102:103]
	v_fma_f64 v[100:101], v[26:27], v[34:35], v[104:105]
	;; [unrolled: 2-line block ×4, first 2 shown]
	ds_load_b128 v[24:27], v28 offset:3840
	s_wait_loadcnt_dscnt 0x0
	s_barrier_signal -1
	s_barrier_wait -1
	global_inv scope:SCOPE_SE
	v_add_f64_e32 v[46:47], v[64:65], v[62:63]
	v_add_f64_e32 v[48:49], v[88:89], v[80:81]
	;; [unrolled: 1-line block ×8, first 2 shown]
	v_mul_f64_e32 v[72:73], v[18:19], v[22:23]
	v_mul_f64_e32 v[74:75], v[16:17], v[22:23]
	v_mul_f64_e32 v[88:89], v[38:39], v[22:23]
	v_mul_f64_e32 v[22:23], v[36:37], v[22:23]
	v_fma_f64 v[78:79], v[50:51], v[54:55], -v[78:79]
	v_mul_f64_e32 v[76:77], v[18:19], v[26:27]
	v_mul_f64_e32 v[80:81], v[16:17], v[26:27]
	;; [unrolled: 1-line block ×4, first 2 shown]
	v_fma_f64 v[82:83], v[52:53], v[54:55], v[82:83]
	v_fma_f64 v[50:51], v[50:51], v[58:59], -v[84:85]
	v_fma_f64 v[52:53], v[52:53], v[58:59], v[86:87]
	v_fma_f64 v[84:85], v[12:13], v[54:55], -v[90:91]
	;; [unrolled: 2-line block ×3, first 2 shown]
	v_fma_f64 v[14:15], v[14:15], v[58:59], v[60:61]
	v_add_f64_e32 v[46:47], v[46:47], v[94:95]
	v_add_f64_e32 v[48:49], v[96:97], v[48:49]
	;; [unrolled: 1-line block ×8, first 2 shown]
	v_fma_f64 v[60:61], v[16:17], v[20:21], -v[72:73]
	v_fma_f64 v[62:63], v[18:19], v[20:21], v[74:75]
	v_fma_f64 v[64:65], v[36:37], v[20:21], -v[88:89]
	v_fma_f64 v[66:67], v[38:39], v[20:21], v[22:23]
	;; [unrolled: 2-line block ×4, first 2 shown]
	v_add_f64_e32 v[20:21], v[46:47], v[78:79]
	v_add_f64_e32 v[22:23], v[82:83], v[48:49]
	;; [unrolled: 1-line block ×16, first 2 shown]
	s_wait_alu 0xfffe
	s_cbranch_vccnz .LBB132_5
	s_branch .LBB132_7
.LBB132_6:                              ;   in Loop: Header=BB132_3 Depth=1
	v_mov_b32_e32 v24, 0
	v_mov_b32_e32 v20, 0
	;; [unrolled: 1-line block ×3, first 2 shown]
	v_dual_mov_b32 v12, 0 :: v_dual_mov_b32 v25, 0
	v_dual_mov_b32 v26, 0 :: v_dual_mov_b32 v21, 0
	;; [unrolled: 1-line block ×5, first 2 shown]
	v_mov_b32_e32 v23, 0
	v_mov_b32_e32 v19, 0
	;; [unrolled: 1-line block ×3, first 2 shown]
.LBB132_7:                              ;   in Loop: Header=BB132_3 Depth=1
	s_mul_u64 s[22:23], s[20:21], s[2:3]
	s_and_not1_b32 vcc_lo, exec_lo, s1
	s_wait_alu 0xfffe
	s_lshl_b64 s[22:23], s[22:23], 4
	s_mov_b32 s25, -1
	s_wait_alu 0xfffe
	s_add_nc_u64 s[22:23], s[16:17], s[22:23]
                                        ; implicit-def: $vgpr8_vgpr9
                                        ; implicit-def: $vgpr10_vgpr11
	s_cbranch_vccz .LBB132_9
; %bb.8:                                ;   in Loop: Header=BB132_3 Depth=1
	s_and_not1_b32 vcc_lo, exec_lo, s25
	s_wait_alu 0xfffe
	s_cbranch_vccnz .LBB132_2
	s_branch .LBB132_10
.LBB132_9:                              ;   in Loop: Header=BB132_3 Depth=1
	v_mul_f64_e32 v[8:9], s[40:41], v[26:27]
	v_mul_f64_e32 v[10:11], s[38:39], v[26:27]
	s_delay_alu instid0(VALU_DEP_3)
	v_mul_f64_e32 v[48:49], s[38:39], v[14:15]
	v_mul_f64_e32 v[38:39], s[40:41], v[22:23]
	;; [unrolled: 1-line block ×6, first 2 shown]
	v_fma_f64 v[34:35], s[38:39], v[24:25], -v[8:9]
	v_fma_f64 v[36:37], s[40:41], v[24:25], v[10:11]
	v_fma_f64 v[8:9], s[40:41], v[12:13], v[48:49]
	v_fma_f64 v[38:39], s[38:39], v[20:21], -v[38:39]
	v_fma_f64 v[40:41], s[40:41], v[20:21], v[40:41]
	v_fma_f64 v[42:43], s[38:39], v[16:17], -v[42:43]
	;; [unrolled: 2-line block ×3, first 2 shown]
	v_lshlrev_b64_e32 v[10:11], 4, v[2:3]
	s_wait_alu 0xfffe
	s_delay_alu instid0(VALU_DEP_1) | instskip(SKIP_1) | instid1(VALU_DEP_2)
	v_add_co_u32 v50, vcc_lo, s22, v10
	s_wait_alu 0xfffd
	v_add_co_ci_u32_e64 v51, null, s23, v11, vcc_lo
	v_lshlrev_b64_e32 v[10:11], 4, v[0:1]
	s_delay_alu instid0(VALU_DEP_3) | instskip(SKIP_1) | instid1(VALU_DEP_3)
	v_add_co_u32 v48, vcc_lo, v50, s18
	s_wait_alu 0xfffd
	v_add_co_ci_u32_e64 v49, null, s19, v51, vcc_lo
	s_delay_alu instid0(VALU_DEP_2) | instskip(SKIP_1) | instid1(VALU_DEP_2)
	v_add_co_u32 v48, vcc_lo, v48, v10
	s_wait_alu 0xfffd
	v_add_co_ci_u32_e64 v49, null, v49, v11, vcc_lo
	v_add_co_u32 v50, vcc_lo, v50, v10
	s_wait_alu 0xfffd
	v_add_co_ci_u32_e64 v51, null, v51, v11, vcc_lo
	;; [unrolled: 3-line block ×3, first 2 shown]
	s_clause 0x3
	global_store_b128 v[50:51], v[34:37], off
	global_store_b128 v[50:51], v[38:41], off offset:256
	global_store_b128 v[48:49], v[42:45], off
	global_store_b64 v[48:49], v[46:47], off offset:256
	s_cbranch_execnz .LBB132_2
.LBB132_10:                             ;   in Loop: Header=BB132_3 Depth=1
	s_mul_u64 s[26:27], s[14:15], s[2:3]
	v_lshlrev_b64_e32 v[34:35], 4, v[0:1]
	s_wait_alu 0xfffe
	s_lshl_b64 s[26:27], s[26:27], 4
	v_mul_f64_e32 v[38:39], s[40:41], v[26:27]
	s_wait_alu 0xfffe
	v_add_co_u32 v42, vcc_lo, v32, s26
	s_wait_alu 0xfffd
	v_add_co_ci_u32_e64 v43, null, s27, v33, vcc_lo
	v_mul_f64_e32 v[26:27], s[38:39], v[26:27]
	s_delay_alu instid0(VALU_DEP_3) | instskip(SKIP_1) | instid1(VALU_DEP_3)
	v_add_co_u32 v36, vcc_lo, v42, v34
	s_wait_alu 0xfffd
	v_add_co_ci_u32_e64 v37, null, v43, v35, vcc_lo
	global_load_b128 v[8:11], v[36:37], off
	v_fma_f64 v[38:39], s[38:39], v[24:25], -v[38:39]
	v_fma_f64 v[24:25], s[40:41], v[24:25], v[26:27]
	s_wait_loadcnt 0x0
	v_mul_f64_e32 v[40:41], s[8:9], v[10:11]
	v_mul_f64_e32 v[10:11], s[6:7], v[10:11]
	s_delay_alu instid0(VALU_DEP_2) | instskip(NEXT) | instid1(VALU_DEP_2)
	v_fma_f64 v[26:27], s[6:7], v[8:9], -v[40:41]
	v_fma_f64 v[10:11], s[8:9], v[8:9], v[10:11]
	s_delay_alu instid0(VALU_DEP_2) | instskip(NEXT) | instid1(VALU_DEP_2)
	v_add_f64_e32 v[8:9], v[38:39], v[26:27]
	v_add_f64_e32 v[10:11], v[24:25], v[10:11]
	v_lshlrev_b64_e32 v[24:25], 4, v[2:3]
	v_mul_f64_e32 v[26:27], s[40:41], v[22:23]
	v_mul_f64_e32 v[22:23], s[38:39], v[22:23]
	s_delay_alu instid0(VALU_DEP_3) | instskip(SKIP_1) | instid1(VALU_DEP_4)
	v_add_co_u32 v38, vcc_lo, s22, v24
	s_wait_alu 0xfffd
	v_add_co_ci_u32_e64 v39, null, s23, v25, vcc_lo
	s_delay_alu instid0(VALU_DEP_2) | instskip(SKIP_1) | instid1(VALU_DEP_2)
	v_add_co_u32 v24, vcc_lo, v38, v34
	s_wait_alu 0xfffd
	v_add_co_ci_u32_e64 v25, null, v39, v35, vcc_lo
	global_store_b128 v[24:25], v[8:11], off
	global_load_b128 v[8:11], v[36:37], off offset:256
	v_fma_f64 v[26:27], s[38:39], v[20:21], -v[26:27]
	v_fma_f64 v[20:21], s[40:41], v[20:21], v[22:23]
	s_wait_loadcnt 0x0
	v_mul_f64_e32 v[36:37], s[8:9], v[10:11]
	v_mul_f64_e32 v[10:11], s[6:7], v[10:11]
	s_delay_alu instid0(VALU_DEP_2) | instskip(NEXT) | instid1(VALU_DEP_2)
	v_fma_f64 v[22:23], s[6:7], v[8:9], -v[36:37]
	v_fma_f64 v[10:11], s[8:9], v[8:9], v[10:11]
	s_delay_alu instid0(VALU_DEP_2) | instskip(NEXT) | instid1(VALU_DEP_2)
	v_add_f64_e32 v[8:9], v[26:27], v[22:23]
	v_add_f64_e32 v[10:11], v[20:21], v[10:11]
	v_add_co_u32 v20, vcc_lo, v42, s12
	s_wait_alu 0xfffd
	v_add_co_ci_u32_e64 v21, null, s13, v43, vcc_lo
	v_mul_f64_e32 v[22:23], s[40:41], v[18:19]
	s_delay_alu instid0(VALU_DEP_3) | instskip(SKIP_1) | instid1(VALU_DEP_3)
	v_add_co_u32 v20, vcc_lo, v20, v34
	s_wait_alu 0xfffd
	v_add_co_ci_u32_e64 v21, null, v21, v35, vcc_lo
	v_mul_f64_e32 v[18:19], s[38:39], v[18:19]
	global_store_b128 v[24:25], v[8:11], off offset:256
	global_load_b128 v[8:11], v[20:21], off
	v_fma_f64 v[22:23], s[38:39], v[16:17], -v[22:23]
	v_fma_f64 v[16:17], s[40:41], v[16:17], v[18:19]
	s_wait_loadcnt 0x0
	v_mul_f64_e32 v[24:25], s[8:9], v[10:11]
	v_mul_f64_e32 v[10:11], s[6:7], v[10:11]
	s_delay_alu instid0(VALU_DEP_2) | instskip(NEXT) | instid1(VALU_DEP_2)
	v_fma_f64 v[18:19], s[6:7], v[8:9], -v[24:25]
	v_fma_f64 v[10:11], s[8:9], v[8:9], v[10:11]
	s_delay_alu instid0(VALU_DEP_2) | instskip(NEXT) | instid1(VALU_DEP_2)
	v_add_f64_e32 v[8:9], v[22:23], v[18:19]
	v_add_f64_e32 v[10:11], v[16:17], v[10:11]
	v_add_co_u32 v16, vcc_lo, v38, s18
	s_wait_alu 0xfffd
	v_add_co_ci_u32_e64 v17, null, s19, v39, vcc_lo
	v_mul_f64_e32 v[18:19], s[40:41], v[14:15]
	s_delay_alu instid0(VALU_DEP_3) | instskip(SKIP_1) | instid1(VALU_DEP_3)
	v_add_co_u32 v16, vcc_lo, v16, v34
	s_wait_alu 0xfffd
	v_add_co_ci_u32_e64 v17, null, v17, v35, vcc_lo
	v_mul_f64_e32 v[14:15], s[38:39], v[14:15]
	global_store_b128 v[16:17], v[8:11], off
	global_load_b128 v[8:11], v[20:21], off offset:256
	v_fma_f64 v[18:19], s[38:39], v[12:13], -v[18:19]
	v_fma_f64 v[12:13], s[40:41], v[12:13], v[14:15]
	s_wait_loadcnt 0x0
	v_mul_f64_e32 v[20:21], s[8:9], v[10:11]
	v_mul_f64_e32 v[10:11], s[6:7], v[10:11]
	s_delay_alu instid0(VALU_DEP_2) | instskip(NEXT) | instid1(VALU_DEP_2)
	v_fma_f64 v[14:15], s[6:7], v[8:9], -v[20:21]
	v_fma_f64 v[8:9], s[8:9], v[8:9], v[10:11]
	v_add_co_u32 v10, vcc_lo, 0x100, v16
	s_wait_alu 0xfffd
	v_add_co_ci_u32_e64 v11, null, 0, v17, vcc_lo
	s_delay_alu instid0(VALU_DEP_4) | instskip(NEXT) | instid1(VALU_DEP_4)
	v_add_f64_e32 v[14:15], v[18:19], v[14:15]
	v_add_f64_e32 v[8:9], v[12:13], v[8:9]
	global_store_b64 v[16:17], v[14:15], off offset:256
	s_branch .LBB132_2
.LBB132_11:
	s_nop 0
	s_sendmsg sendmsg(MSG_DEALLOC_VGPRS)
	s_endpgm
	.section	.rodata,"a",@progbits
	.p2align	6, 0x0
	.amdhsa_kernel _ZN12_GLOBAL__N_127rocblas_gemm_batched_kernelI19rocblas_complex_numIdELi16ELi16ELi32ELi32ELi8ELi32ELi8ELi8ELi32ELc67ELc78EKS2_S3_S2_EEvlllT_PT11_llS6_llS4_PT12_llPT13_lli
		.amdhsa_group_segment_fixed_size 8192
		.amdhsa_private_segment_fixed_size 0
		.amdhsa_kernarg_size 156
		.amdhsa_user_sgpr_count 2
		.amdhsa_user_sgpr_dispatch_ptr 0
		.amdhsa_user_sgpr_queue_ptr 0
		.amdhsa_user_sgpr_kernarg_segment_ptr 1
		.amdhsa_user_sgpr_dispatch_id 0
		.amdhsa_user_sgpr_private_segment_size 0
		.amdhsa_wavefront_size32 1
		.amdhsa_uses_dynamic_stack 0
		.amdhsa_enable_private_segment 0
		.amdhsa_system_sgpr_workgroup_id_x 1
		.amdhsa_system_sgpr_workgroup_id_y 1
		.amdhsa_system_sgpr_workgroup_id_z 1
		.amdhsa_system_sgpr_workgroup_info 0
		.amdhsa_system_vgpr_workitem_id 1
		.amdhsa_next_free_vgpr 126
		.amdhsa_next_free_sgpr 52
		.amdhsa_reserve_vcc 1
		.amdhsa_float_round_mode_32 0
		.amdhsa_float_round_mode_16_64 0
		.amdhsa_float_denorm_mode_32 3
		.amdhsa_float_denorm_mode_16_64 3
		.amdhsa_fp16_overflow 0
		.amdhsa_workgroup_processor_mode 1
		.amdhsa_memory_ordered 1
		.amdhsa_forward_progress 1
		.amdhsa_inst_pref_size 26
		.amdhsa_round_robin_scheduling 0
		.amdhsa_exception_fp_ieee_invalid_op 0
		.amdhsa_exception_fp_denorm_src 0
		.amdhsa_exception_fp_ieee_div_zero 0
		.amdhsa_exception_fp_ieee_overflow 0
		.amdhsa_exception_fp_ieee_underflow 0
		.amdhsa_exception_fp_ieee_inexact 0
		.amdhsa_exception_int_div_zero 0
	.end_amdhsa_kernel
	.section	.text._ZN12_GLOBAL__N_127rocblas_gemm_batched_kernelI19rocblas_complex_numIdELi16ELi16ELi32ELi32ELi8ELi32ELi8ELi8ELi32ELc67ELc78EKS2_S3_S2_EEvlllT_PT11_llS6_llS4_PT12_llPT13_lli,"axG",@progbits,_ZN12_GLOBAL__N_127rocblas_gemm_batched_kernelI19rocblas_complex_numIdELi16ELi16ELi32ELi32ELi8ELi32ELi8ELi8ELi32ELc67ELc78EKS2_S3_S2_EEvlllT_PT11_llS6_llS4_PT12_llPT13_lli,comdat
.Lfunc_end132:
	.size	_ZN12_GLOBAL__N_127rocblas_gemm_batched_kernelI19rocblas_complex_numIdELi16ELi16ELi32ELi32ELi8ELi32ELi8ELi8ELi32ELc67ELc78EKS2_S3_S2_EEvlllT_PT11_llS6_llS4_PT12_llPT13_lli, .Lfunc_end132-_ZN12_GLOBAL__N_127rocblas_gemm_batched_kernelI19rocblas_complex_numIdELi16ELi16ELi32ELi32ELi8ELi32ELi8ELi8ELi32ELc67ELc78EKS2_S3_S2_EEvlllT_PT11_llS6_llS4_PT12_llPT13_lli
                                        ; -- End function
	.set _ZN12_GLOBAL__N_127rocblas_gemm_batched_kernelI19rocblas_complex_numIdELi16ELi16ELi32ELi32ELi8ELi32ELi8ELi8ELi32ELc67ELc78EKS2_S3_S2_EEvlllT_PT11_llS6_llS4_PT12_llPT13_lli.num_vgpr, 126
	.set _ZN12_GLOBAL__N_127rocblas_gemm_batched_kernelI19rocblas_complex_numIdELi16ELi16ELi32ELi32ELi8ELi32ELi8ELi8ELi32ELc67ELc78EKS2_S3_S2_EEvlllT_PT11_llS6_llS4_PT12_llPT13_lli.num_agpr, 0
	.set _ZN12_GLOBAL__N_127rocblas_gemm_batched_kernelI19rocblas_complex_numIdELi16ELi16ELi32ELi32ELi8ELi32ELi8ELi8ELi32ELc67ELc78EKS2_S3_S2_EEvlllT_PT11_llS6_llS4_PT12_llPT13_lli.numbered_sgpr, 52
	.set _ZN12_GLOBAL__N_127rocblas_gemm_batched_kernelI19rocblas_complex_numIdELi16ELi16ELi32ELi32ELi8ELi32ELi8ELi8ELi32ELc67ELc78EKS2_S3_S2_EEvlllT_PT11_llS6_llS4_PT12_llPT13_lli.num_named_barrier, 0
	.set _ZN12_GLOBAL__N_127rocblas_gemm_batched_kernelI19rocblas_complex_numIdELi16ELi16ELi32ELi32ELi8ELi32ELi8ELi8ELi32ELc67ELc78EKS2_S3_S2_EEvlllT_PT11_llS6_llS4_PT12_llPT13_lli.private_seg_size, 0
	.set _ZN12_GLOBAL__N_127rocblas_gemm_batched_kernelI19rocblas_complex_numIdELi16ELi16ELi32ELi32ELi8ELi32ELi8ELi8ELi32ELc67ELc78EKS2_S3_S2_EEvlllT_PT11_llS6_llS4_PT12_llPT13_lli.uses_vcc, 1
	.set _ZN12_GLOBAL__N_127rocblas_gemm_batched_kernelI19rocblas_complex_numIdELi16ELi16ELi32ELi32ELi8ELi32ELi8ELi8ELi32ELc67ELc78EKS2_S3_S2_EEvlllT_PT11_llS6_llS4_PT12_llPT13_lli.uses_flat_scratch, 0
	.set _ZN12_GLOBAL__N_127rocblas_gemm_batched_kernelI19rocblas_complex_numIdELi16ELi16ELi32ELi32ELi8ELi32ELi8ELi8ELi32ELc67ELc78EKS2_S3_S2_EEvlllT_PT11_llS6_llS4_PT12_llPT13_lli.has_dyn_sized_stack, 0
	.set _ZN12_GLOBAL__N_127rocblas_gemm_batched_kernelI19rocblas_complex_numIdELi16ELi16ELi32ELi32ELi8ELi32ELi8ELi8ELi32ELc67ELc78EKS2_S3_S2_EEvlllT_PT11_llS6_llS4_PT12_llPT13_lli.has_recursion, 0
	.set _ZN12_GLOBAL__N_127rocblas_gemm_batched_kernelI19rocblas_complex_numIdELi16ELi16ELi32ELi32ELi8ELi32ELi8ELi8ELi32ELc67ELc78EKS2_S3_S2_EEvlllT_PT11_llS6_llS4_PT12_llPT13_lli.has_indirect_call, 0
	.section	.AMDGPU.csdata,"",@progbits
; Kernel info:
; codeLenInByte = 3236
; TotalNumSgprs: 54
; NumVgprs: 126
; ScratchSize: 0
; MemoryBound: 0
; FloatMode: 240
; IeeeMode: 1
; LDSByteSize: 8192 bytes/workgroup (compile time only)
; SGPRBlocks: 0
; VGPRBlocks: 15
; NumSGPRsForWavesPerEU: 54
; NumVGPRsForWavesPerEU: 126
; Occupancy: 10
; WaveLimiterHint : 1
; COMPUTE_PGM_RSRC2:SCRATCH_EN: 0
; COMPUTE_PGM_RSRC2:USER_SGPR: 2
; COMPUTE_PGM_RSRC2:TRAP_HANDLER: 0
; COMPUTE_PGM_RSRC2:TGID_X_EN: 1
; COMPUTE_PGM_RSRC2:TGID_Y_EN: 1
; COMPUTE_PGM_RSRC2:TGID_Z_EN: 1
; COMPUTE_PGM_RSRC2:TIDIG_COMP_CNT: 1
	.section	.text._ZN12_GLOBAL__N_127rocblas_gemm_batched_kernelI19rocblas_complex_numIdELi16ELi16ELi32ELi32ELi8ELi32ELi8ELi8ELi32ELc67ELc84EKS2_S3_S2_EEvlllT_PT11_llS6_llS4_PT12_llPT13_lli,"axG",@progbits,_ZN12_GLOBAL__N_127rocblas_gemm_batched_kernelI19rocblas_complex_numIdELi16ELi16ELi32ELi32ELi8ELi32ELi8ELi8ELi32ELc67ELc84EKS2_S3_S2_EEvlllT_PT11_llS6_llS4_PT12_llPT13_lli,comdat
	.globl	_ZN12_GLOBAL__N_127rocblas_gemm_batched_kernelI19rocblas_complex_numIdELi16ELi16ELi32ELi32ELi8ELi32ELi8ELi8ELi32ELc67ELc84EKS2_S3_S2_EEvlllT_PT11_llS6_llS4_PT12_llPT13_lli ; -- Begin function _ZN12_GLOBAL__N_127rocblas_gemm_batched_kernelI19rocblas_complex_numIdELi16ELi16ELi32ELi32ELi8ELi32ELi8ELi8ELi32ELc67ELc84EKS2_S3_S2_EEvlllT_PT11_llS6_llS4_PT12_llPT13_lli
	.p2align	8
	.type	_ZN12_GLOBAL__N_127rocblas_gemm_batched_kernelI19rocblas_complex_numIdELi16ELi16ELi32ELi32ELi8ELi32ELi8ELi8ELi32ELc67ELc84EKS2_S3_S2_EEvlllT_PT11_llS6_llS4_PT12_llPT13_lli,@function
_ZN12_GLOBAL__N_127rocblas_gemm_batched_kernelI19rocblas_complex_numIdELi16ELi16ELi32ELi32ELi8ELi32ELi8ELi8ELi32ELc67ELc84EKS2_S3_S2_EEvlllT_PT11_llS6_llS4_PT12_llPT13_lli: ; @_ZN12_GLOBAL__N_127rocblas_gemm_batched_kernelI19rocblas_complex_numIdELi16ELi16ELi32ELi32ELi8ELi32ELi8ELi8ELi32ELc67ELc84EKS2_S3_S2_EEvlllT_PT11_llS6_llS4_PT12_llPT13_lli
; %bb.0:
	s_load_b32 s26, s[0:1], 0x98
	s_lshr_b32 s2, ttmp7, 16
	s_wait_kmcnt 0x0
	s_cmp_ge_i32 s2, s26
	s_cbranch_scc1 .LBB133_11
; %bb.1:
	s_clause 0x2
	s_load_b512 s[4:19], s[0:1], 0x50
	s_load_b512 s[36:51], s[0:1], 0x10
	s_load_b64 s[20:21], s[0:1], 0x90
	v_and_b32_e32 v13, 0x3ff, v0
	v_bfe_u32 v2, v0, 10, 10
	s_mov_b32 s22, ttmp9
	s_ashr_i32 s23, ttmp9, 31
	s_lshl_b32 s24, ttmp7, 5
	s_lshl_b64 s[0:1], s[22:23], 5
	v_lshl_add_u32 v3, v2, 4, v13
	s_and_b32 s22, s24, 0x1fffe0
	v_lshl_add_u32 v29, v2, 7, 0x1000
	v_add_nc_u32_e32 v12, s22, v2
	s_mov_b32 s3, 0
	v_lshrrev_b32_e32 v9, 3, v3
	v_and_b32_e32 v11, 31, v3
	v_lshrrev_b32_e32 v14, 5, v3
	s_delay_alu instid0(VALU_DEP_2) | instskip(SKIP_4) | instid1(VALU_DEP_1)
	v_or_b32_e32 v3, s0, v11
	s_wait_kmcnt 0x0
	v_mad_co_u64_u32 v[6:7], null, v12, s12, 0
	v_and_b32_e32 v10, 7, v0
	v_add_co_u32 v0, s25, v9, s22
	v_add_co_ci_u32_e64 v1, null, 0, 0, s25
	s_delay_alu instid0(VALU_DEP_3)
	v_lshlrev_b32_e32 v8, 4, v10
	v_mul_lo_u32 v17, s45, v3
	v_cmp_eq_f64_e64 s23, s[6:7], 0
	v_cmp_eq_f64_e64 s24, s[8:9], 0
	v_lshlrev_b32_e32 v15, 4, v11
	v_lshl_or_b32 v16, v9, 7, v8
	v_mad_co_u64_u32 v[8:9], null, s44, v3, 0
	v_mov_b32_e32 v3, v7
	v_mad_co_u64_u32 v[4:5], null, s50, v10, v[0:1]
	v_mad_co_u64_u32 v[0:1], null, v12, s18, 0
	v_lshl_or_b32 v30, v14, 9, v15
	v_add_nc_u32_e32 v31, 0x1000, v16
	s_lshl_b64 s[4:5], s[4:5], 4
	s_delay_alu instid0(VALU_DEP_4) | instskip(NEXT) | instid1(VALU_DEP_1)
	v_mov_b32_e32 v2, v5
	v_mad_co_u64_u32 v[10:11], null, s51, v10, v[2:3]
	v_mad_co_u64_u32 v[1:2], null, v12, s19, v[1:2]
	;; [unrolled: 1-line block ×3, first 2 shown]
	v_add_co_u32 v2, s0, s0, v13
	s_wait_alu 0xf1ff
	v_add_co_ci_u32_e64 v3, null, s1, 0, s0
	s_mul_i32 s0, s44, s1
	v_dual_mov_b32 v7, v11 :: v_dual_lshlrev_b32 v28, 4, v13
	s_wait_alu 0xfffe
	v_add3_u32 v9, v9, s0, v17
	v_dual_mov_b32 v5, v10 :: v_dual_lshlrev_b32 v10, 4, v14
	v_cmp_gt_i64_e64 s0, s[36:37], 0
	v_lshlrev_b64_e32 v[6:7], 4, v[6:7]
	s_delay_alu instid0(VALU_DEP_4)
	v_lshlrev_b64_e32 v[8:9], 4, v[8:9]
	s_and_b32 s1, s23, s24
	s_lshl_b64 s[22:23], s[18:19], 4
	s_lshl_b64 s[18:19], s[12:13], 4
	;; [unrolled: 1-line block ×3, first 2 shown]
	s_wait_alu 0xfffe
	s_lshl_b64 s[18:19], s[18:19], 4
	v_add_co_u32 v8, vcc_lo, v8, v10
	s_delay_alu instid0(VALU_DEP_1)
	v_add_co_ci_u32_e64 v9, null, 0, v9, vcc_lo
	v_add_co_u32 v32, vcc_lo, s10, v6
	s_wait_alu 0xfffd
	v_add_co_ci_u32_e64 v33, null, s11, v7, vcc_lo
	v_add_co_u32 v8, vcc_lo, s42, v8
	v_lshlrev_b64_e32 v[6:7], 4, v[4:5]
	s_wait_alu 0xfffd
	v_add_co_ci_u32_e64 v9, null, s43, v9, vcc_lo
	s_delay_alu instid0(VALU_DEP_3) | instskip(SKIP_2) | instid1(VALU_DEP_3)
	v_add_co_u32 v4, vcc_lo, v8, 8
	v_cndmask_b32_e64 v8, 0, 1, s0
	s_wait_alu 0xfffd
	v_add_co_ci_u32_e64 v5, null, 0, v9, vcc_lo
	v_add_co_u32 v6, vcc_lo, s48, v6
	s_wait_alu 0xfffd
	v_add_co_ci_u32_e64 v7, null, s49, v7, vcc_lo
	v_cmp_ne_u32_e64 s0, 1, v8
	s_lshl_b64 s[10:11], s[46:47], 4
	s_lshl_b64 s[22:23], s[22:23], 4
	s_branch .LBB133_3
.LBB133_2:                              ;   in Loop: Header=BB133_3 Depth=1
	s_add_co_i32 s2, s2, 0x10000
	global_store_b64 v[10:11], v[8:9], off offset:8
	s_wait_alu 0xfffe
	s_cmp_lt_i32 s2, s26
	s_cbranch_scc0 .LBB133_11
.LBB133_3:                              ; =>This Loop Header: Depth=1
                                        ;     Child Loop BB133_5 Depth 2
	s_and_b32 vcc_lo, exec_lo, s0
	s_wait_alu 0xfffe
	s_cbranch_vccnz .LBB133_6
; %bb.4:                                ;   in Loop: Header=BB133_3 Depth=1
	v_mad_co_u64_u32 v[8:9], null, s10, s2, v[4:5]
	v_mad_co_u64_u32 v[10:11], null, s4, s2, v[6:7]
	v_mov_b32_e32 v14, 0
	v_dual_mov_b32 v15, 0 :: v_dual_mov_b32 v12, 0
	v_dual_mov_b32 v13, 0 :: v_dual_mov_b32 v18, 0
	v_mov_b32_e32 v22, 0
	v_mad_co_u64_u32 v[34:35], null, s11, s2, v[9:10]
	s_delay_alu instid0(VALU_DEP_4)
	v_mad_co_u64_u32 v[35:36], null, s5, s2, v[11:12]
	v_dual_mov_b32 v26, 0 :: v_dual_mov_b32 v19, 0
	v_dual_mov_b32 v16, 0 :: v_dual_mov_b32 v23, 0
	;; [unrolled: 1-line block ×4, first 2 shown]
	v_mov_b32_e32 v21, 0
	v_mov_b32_e32 v25, 0
	;; [unrolled: 1-line block ×4, first 2 shown]
	s_mov_b64 s[24:25], 0
.LBB133_5:                              ;   Parent Loop BB133_3 Depth=1
                                        ; =>  This Inner Loop Header: Depth=2
	global_load_b128 v[34:37], v[8:9], off offset:-8
	global_load_b128 v[38:41], v[10:11], off
	s_wait_alu 0xfffe
	s_add_nc_u64 s[24:25], s[24:25], 8
	v_add_co_u32 v8, vcc_lo, 0x80, v8
	s_wait_alu 0xfffe
	v_cmp_lt_i64_e64 s27, s[24:25], s[36:37]
	s_wait_alu 0xfffd
	v_add_co_ci_u32_e64 v9, null, 0, v9, vcc_lo
	v_add_co_u32 v10, vcc_lo, v10, s12
	s_wait_alu 0xfffd
	v_add_co_ci_u32_e64 v11, null, s13, v11, vcc_lo
	s_and_b32 vcc_lo, exec_lo, s27
	s_wait_loadcnt 0x1
	v_xor_b32_e32 v37, 0x80000000, v37
	ds_store_b128 v30, v[34:37]
	s_wait_loadcnt 0x0
	ds_store_2addr_b64 v31, v[38:39], v[40:41] offset1:1
	s_wait_dscnt 0x0
	s_barrier_signal -1
	s_barrier_wait -1
	global_inv scope:SCOPE_SE
	ds_load_b128 v[34:37], v29
	ds_load_b128 v[38:41], v28
	ds_load_b128 v[42:45], v28 offset:256
	ds_load_b128 v[46:49], v29 offset:2048
	;; [unrolled: 1-line block ×13, first 2 shown]
	s_wait_dscnt 0xd
	v_mul_f64_e32 v[94:95], v[36:37], v[40:41]
	v_mul_f64_e32 v[96:97], v[34:35], v[40:41]
	s_wait_dscnt 0xc
	v_mul_f64_e32 v[98:99], v[36:37], v[44:45]
	v_mul_f64_e32 v[100:101], v[34:35], v[44:45]
	;; [unrolled: 3-line block ×3, first 2 shown]
	v_mul_f64_e32 v[104:105], v[48:49], v[44:45]
	v_mul_f64_e32 v[44:45], v[46:47], v[44:45]
	s_wait_dscnt 0x9
	v_mul_f64_e32 v[106:107], v[52:53], v[56:57]
	v_mul_f64_e32 v[108:109], v[50:51], v[56:57]
	s_wait_dscnt 0x7
	v_mul_f64_e32 v[110:111], v[52:53], v[64:65]
	v_mul_f64_e32 v[112:113], v[50:51], v[64:65]
	;; [unrolled: 1-line block ×6, first 2 shown]
	s_wait_dscnt 0x3
	v_mul_f64_e32 v[120:121], v[66:67], v[80:81]
	s_wait_dscnt 0x1
	v_mul_f64_e32 v[122:123], v[88:89], v[76:77]
	v_mul_f64_e32 v[124:125], v[88:89], v[80:81]
	v_fma_f64 v[94:95], v[34:35], v[38:39], -v[94:95]
	v_fma_f64 v[96:97], v[36:37], v[38:39], v[96:97]
	v_fma_f64 v[98:99], v[34:35], v[42:43], -v[98:99]
	v_fma_f64 v[100:101], v[36:37], v[42:43], v[100:101]
	;; [unrolled: 2-line block ×4, first 2 shown]
	v_mul_f64_e32 v[44:45], v[68:69], v[76:77]
	v_mul_f64_e32 v[48:49], v[66:67], v[76:77]
	;; [unrolled: 1-line block ×5, first 2 shown]
	v_fma_f64 v[106:107], v[50:51], v[54:55], -v[106:107]
	v_fma_f64 v[108:109], v[52:53], v[54:55], v[108:109]
	v_fma_f64 v[50:51], v[50:51], v[62:63], -v[110:111]
	v_fma_f64 v[52:53], v[52:53], v[62:63], v[112:113]
	;; [unrolled: 2-line block ×4, first 2 shown]
	ds_load_b128 v[34:37], v28 offset:1792
	ds_load_b128 v[38:41], v29 offset:64
	v_mul_f64_e32 v[64:65], v[72:73], v[84:85]
	v_add_f64_e32 v[24:25], v[24:25], v[94:95]
	v_add_f64_e32 v[26:27], v[96:97], v[26:27]
	;; [unrolled: 1-line block ×8, first 2 shown]
	v_mul_f64_e32 v[94:95], v[70:71], v[84:85]
	s_wait_dscnt 0x1
	v_mul_f64_e32 v[96:97], v[72:73], v[36:37]
	v_mul_f64_e32 v[98:99], v[70:71], v[36:37]
	;; [unrolled: 1-line block ×6, first 2 shown]
	v_fma_f64 v[112:113], v[66:67], v[74:75], -v[44:45]
	v_fma_f64 v[114:115], v[68:69], v[74:75], v[48:49]
	v_fma_f64 v[66:67], v[66:67], v[78:79], -v[104:105]
	v_fma_f64 v[68:69], v[68:69], v[78:79], v[120:121]
	;; [unrolled: 2-line block ×4, first 2 shown]
	ds_load_b128 v[12:15], v28 offset:2048
	ds_load_b128 v[16:19], v28 offset:2304
	v_fma_f64 v[64:65], v[70:71], v[82:83], -v[64:65]
	v_add_f64_e32 v[80:81], v[24:25], v[106:107]
	v_add_f64_e32 v[86:87], v[108:109], v[26:27]
	;; [unrolled: 1-line block ×8, first 2 shown]
	ds_load_b128 v[20:23], v29 offset:2112
	ds_load_b128 v[24:27], v29 offset:80
	;; [unrolled: 1-line block ×4, first 2 shown]
	s_wait_dscnt 0x5
	v_mul_f64_e32 v[62:63], v[40:41], v[14:15]
	v_mul_f64_e32 v[88:89], v[38:39], v[14:15]
	s_wait_dscnt 0x4
	v_mul_f64_e32 v[106:107], v[40:41], v[18:19]
	v_mul_f64_e32 v[108:109], v[38:39], v[18:19]
	v_fma_f64 v[94:95], v[72:73], v[82:83], v[94:95]
	v_fma_f64 v[70:71], v[70:71], v[34:35], -v[96:97]
	v_fma_f64 v[72:73], v[72:73], v[34:35], v[98:99]
	v_fma_f64 v[96:97], v[90:91], v[82:83], -v[100:101]
	;; [unrolled: 2-line block ×3, first 2 shown]
	v_fma_f64 v[90:91], v[92:93], v[34:35], v[36:37]
	s_wait_dscnt 0x3
	v_mul_f64_e32 v[110:111], v[22:23], v[14:15]
	v_mul_f64_e32 v[14:15], v[20:21], v[14:15]
	;; [unrolled: 1-line block ×4, first 2 shown]
	s_wait_dscnt 0x1
	v_mul_f64_e32 v[98:99], v[26:27], v[44:45]
	v_mul_f64_e32 v[100:101], v[24:25], v[44:45]
	v_add_f64_e32 v[80:81], v[80:81], v[112:113]
	v_add_f64_e32 v[86:87], v[114:115], v[86:87]
	;; [unrolled: 1-line block ×8, first 2 shown]
	ds_load_b128 v[34:37], v28 offset:2816
	ds_load_b128 v[50:53], v29 offset:96
	;; [unrolled: 1-line block ×4, first 2 shown]
	s_wait_dscnt 0x4
	v_mul_f64_e32 v[112:113], v[48:49], v[44:45]
	v_mul_f64_e32 v[44:45], v[46:47], v[44:45]
	v_fma_f64 v[62:63], v[38:39], v[12:13], -v[62:63]
	v_fma_f64 v[88:89], v[40:41], v[12:13], v[88:89]
	v_fma_f64 v[106:107], v[38:39], v[16:17], -v[106:107]
	v_fma_f64 v[40:41], v[40:41], v[16:17], v[108:109]
	s_wait_dscnt 0x3
	v_mul_f64_e32 v[102:103], v[26:27], v[36:37]
	v_mul_f64_e32 v[104:105], v[24:25], v[36:37]
	;; [unrolled: 1-line block ×4, first 2 shown]
	v_fma_f64 v[108:109], v[20:21], v[12:13], -v[110:111]
	v_fma_f64 v[110:111], v[22:23], v[12:13], v[14:15]
	v_fma_f64 v[116:117], v[20:21], v[16:17], -v[116:117]
	v_fma_f64 v[120:121], v[22:23], v[16:17], v[18:19]
	ds_load_b128 v[12:15], v29 offset:2144
	ds_load_b128 v[16:19], v29 offset:112
	;; [unrolled: 1-line block ×4, first 2 shown]
	v_add_f64_e32 v[64:65], v[80:81], v[64:65]
	v_add_f64_e32 v[80:81], v[94:95], v[86:87]
	;; [unrolled: 1-line block ×8, first 2 shown]
	s_wait_dscnt 0x5
	v_mul_f64_e32 v[78:79], v[52:53], v[56:57]
	v_mul_f64_e32 v[82:83], v[50:51], v[56:57]
	s_wait_dscnt 0x4
	v_mul_f64_e32 v[84:85], v[52:53], v[60:61]
	v_mul_f64_e32 v[86:87], v[50:51], v[60:61]
	;; [unrolled: 3-line block ×3, first 2 shown]
	v_mul_f64_e32 v[92:93], v[14:15], v[60:61]
	v_mul_f64_e32 v[60:61], v[12:13], v[60:61]
	v_fma_f64 v[94:95], v[24:25], v[42:43], -v[98:99]
	v_fma_f64 v[96:97], v[26:27], v[42:43], v[100:101]
	v_fma_f64 v[98:99], v[24:25], v[34:35], -v[102:103]
	v_fma_f64 v[100:101], v[26:27], v[34:35], v[104:105]
	;; [unrolled: 2-line block ×4, first 2 shown]
	ds_load_b128 v[24:27], v28 offset:3840
	s_wait_loadcnt_dscnt 0x0
	s_barrier_signal -1
	s_barrier_wait -1
	global_inv scope:SCOPE_SE
	v_add_f64_e32 v[46:47], v[64:65], v[62:63]
	v_add_f64_e32 v[48:49], v[88:89], v[80:81]
	;; [unrolled: 1-line block ×8, first 2 shown]
	v_mul_f64_e32 v[72:73], v[18:19], v[22:23]
	v_mul_f64_e32 v[74:75], v[16:17], v[22:23]
	;; [unrolled: 1-line block ×4, first 2 shown]
	v_fma_f64 v[78:79], v[50:51], v[54:55], -v[78:79]
	v_mul_f64_e32 v[76:77], v[18:19], v[26:27]
	v_mul_f64_e32 v[80:81], v[16:17], v[26:27]
	;; [unrolled: 1-line block ×4, first 2 shown]
	v_fma_f64 v[82:83], v[52:53], v[54:55], v[82:83]
	v_fma_f64 v[50:51], v[50:51], v[58:59], -v[84:85]
	v_fma_f64 v[52:53], v[52:53], v[58:59], v[86:87]
	v_fma_f64 v[84:85], v[12:13], v[54:55], -v[90:91]
	;; [unrolled: 2-line block ×3, first 2 shown]
	v_fma_f64 v[14:15], v[14:15], v[58:59], v[60:61]
	v_add_f64_e32 v[46:47], v[46:47], v[94:95]
	v_add_f64_e32 v[48:49], v[96:97], v[48:49]
	v_add_f64_e32 v[56:57], v[62:63], v[98:99]
	v_add_f64_e32 v[40:41], v[100:101], v[40:41]
	v_add_f64_e32 v[58:59], v[64:65], v[102:103]
	v_add_f64_e32 v[42:43], v[42:43], v[66:67]
	v_add_f64_e32 v[44:45], v[68:69], v[44:45]
	v_add_f64_e32 v[34:35], v[34:35], v[70:71]
	v_fma_f64 v[60:61], v[16:17], v[20:21], -v[72:73]
	v_fma_f64 v[62:63], v[18:19], v[20:21], v[74:75]
	v_fma_f64 v[64:65], v[36:37], v[20:21], -v[88:89]
	v_fma_f64 v[66:67], v[38:39], v[20:21], v[22:23]
	;; [unrolled: 2-line block ×4, first 2 shown]
	v_add_f64_e32 v[20:21], v[46:47], v[78:79]
	v_add_f64_e32 v[22:23], v[82:83], v[48:49]
	;; [unrolled: 1-line block ×16, first 2 shown]
	s_wait_alu 0xfffe
	s_cbranch_vccnz .LBB133_5
	s_branch .LBB133_7
.LBB133_6:                              ;   in Loop: Header=BB133_3 Depth=1
	v_mov_b32_e32 v24, 0
	v_mov_b32_e32 v20, 0
	;; [unrolled: 1-line block ×3, first 2 shown]
	v_dual_mov_b32 v12, 0 :: v_dual_mov_b32 v25, 0
	v_dual_mov_b32 v26, 0 :: v_dual_mov_b32 v21, 0
	;; [unrolled: 1-line block ×5, first 2 shown]
	v_mov_b32_e32 v23, 0
	v_mov_b32_e32 v19, 0
	v_mov_b32_e32 v15, 0
.LBB133_7:                              ;   in Loop: Header=BB133_3 Depth=1
	s_mul_u64 s[24:25], s[20:21], s[2:3]
	s_and_not1_b32 vcc_lo, exec_lo, s1
	s_wait_alu 0xfffe
	s_lshl_b64 s[24:25], s[24:25], 4
	s_mov_b32 s27, -1
	s_wait_alu 0xfffe
	s_add_nc_u64 s[24:25], s[16:17], s[24:25]
                                        ; implicit-def: $vgpr8_vgpr9
                                        ; implicit-def: $vgpr10_vgpr11
	s_cbranch_vccz .LBB133_9
; %bb.8:                                ;   in Loop: Header=BB133_3 Depth=1
	s_and_not1_b32 vcc_lo, exec_lo, s27
	s_wait_alu 0xfffe
	s_cbranch_vccnz .LBB133_2
	s_branch .LBB133_10
.LBB133_9:                              ;   in Loop: Header=BB133_3 Depth=1
	v_mul_f64_e32 v[8:9], s[40:41], v[26:27]
	v_mul_f64_e32 v[10:11], s[38:39], v[26:27]
	s_delay_alu instid0(VALU_DEP_3)
	v_mul_f64_e32 v[48:49], s[38:39], v[14:15]
	v_mul_f64_e32 v[38:39], s[40:41], v[22:23]
	;; [unrolled: 1-line block ×6, first 2 shown]
	v_fma_f64 v[34:35], s[38:39], v[24:25], -v[8:9]
	v_fma_f64 v[36:37], s[40:41], v[24:25], v[10:11]
	v_fma_f64 v[8:9], s[40:41], v[12:13], v[48:49]
	v_fma_f64 v[38:39], s[38:39], v[20:21], -v[38:39]
	v_fma_f64 v[40:41], s[40:41], v[20:21], v[40:41]
	v_fma_f64 v[42:43], s[38:39], v[16:17], -v[42:43]
	;; [unrolled: 2-line block ×3, first 2 shown]
	v_lshlrev_b64_e32 v[10:11], 4, v[0:1]
	s_wait_alu 0xfffe
	s_delay_alu instid0(VALU_DEP_1) | instskip(SKIP_1) | instid1(VALU_DEP_2)
	v_add_co_u32 v50, vcc_lo, s24, v10
	s_wait_alu 0xfffd
	v_add_co_ci_u32_e64 v51, null, s25, v11, vcc_lo
	v_lshlrev_b64_e32 v[10:11], 4, v[2:3]
	s_delay_alu instid0(VALU_DEP_3) | instskip(SKIP_1) | instid1(VALU_DEP_3)
	v_add_co_u32 v48, vcc_lo, v50, s22
	s_wait_alu 0xfffd
	v_add_co_ci_u32_e64 v49, null, s23, v51, vcc_lo
	s_delay_alu instid0(VALU_DEP_2) | instskip(SKIP_1) | instid1(VALU_DEP_2)
	v_add_co_u32 v48, vcc_lo, v48, v10
	s_wait_alu 0xfffd
	v_add_co_ci_u32_e64 v49, null, v49, v11, vcc_lo
	v_add_co_u32 v50, vcc_lo, v50, v10
	s_wait_alu 0xfffd
	v_add_co_ci_u32_e64 v51, null, v51, v11, vcc_lo
	;; [unrolled: 3-line block ×3, first 2 shown]
	s_clause 0x3
	global_store_b128 v[50:51], v[34:37], off
	global_store_b128 v[50:51], v[38:41], off offset:256
	global_store_b128 v[48:49], v[42:45], off
	global_store_b64 v[48:49], v[46:47], off offset:256
	s_cbranch_execnz .LBB133_2
.LBB133_10:                             ;   in Loop: Header=BB133_3 Depth=1
	s_mul_u64 s[28:29], s[14:15], s[2:3]
	v_lshlrev_b64_e32 v[34:35], 4, v[2:3]
	s_wait_alu 0xfffe
	s_lshl_b64 s[28:29], s[28:29], 4
	v_mul_f64_e32 v[38:39], s[40:41], v[26:27]
	s_wait_alu 0xfffe
	v_add_co_u32 v42, vcc_lo, v32, s28
	s_wait_alu 0xfffd
	v_add_co_ci_u32_e64 v43, null, s29, v33, vcc_lo
	v_mul_f64_e32 v[26:27], s[38:39], v[26:27]
	s_delay_alu instid0(VALU_DEP_3) | instskip(SKIP_1) | instid1(VALU_DEP_3)
	v_add_co_u32 v36, vcc_lo, v42, v34
	s_wait_alu 0xfffd
	v_add_co_ci_u32_e64 v37, null, v43, v35, vcc_lo
	global_load_b128 v[8:11], v[36:37], off
	v_fma_f64 v[38:39], s[38:39], v[24:25], -v[38:39]
	v_fma_f64 v[24:25], s[40:41], v[24:25], v[26:27]
	s_wait_loadcnt 0x0
	v_mul_f64_e32 v[40:41], s[8:9], v[10:11]
	v_mul_f64_e32 v[10:11], s[6:7], v[10:11]
	s_delay_alu instid0(VALU_DEP_2) | instskip(NEXT) | instid1(VALU_DEP_2)
	v_fma_f64 v[26:27], s[6:7], v[8:9], -v[40:41]
	v_fma_f64 v[10:11], s[8:9], v[8:9], v[10:11]
	s_delay_alu instid0(VALU_DEP_2) | instskip(NEXT) | instid1(VALU_DEP_2)
	v_add_f64_e32 v[8:9], v[38:39], v[26:27]
	v_add_f64_e32 v[10:11], v[24:25], v[10:11]
	v_lshlrev_b64_e32 v[24:25], 4, v[0:1]
	v_mul_f64_e32 v[26:27], s[40:41], v[22:23]
	v_mul_f64_e32 v[22:23], s[38:39], v[22:23]
	s_delay_alu instid0(VALU_DEP_3) | instskip(SKIP_1) | instid1(VALU_DEP_4)
	v_add_co_u32 v38, vcc_lo, s24, v24
	s_wait_alu 0xfffd
	v_add_co_ci_u32_e64 v39, null, s25, v25, vcc_lo
	s_delay_alu instid0(VALU_DEP_2) | instskip(SKIP_1) | instid1(VALU_DEP_2)
	v_add_co_u32 v24, vcc_lo, v38, v34
	s_wait_alu 0xfffd
	v_add_co_ci_u32_e64 v25, null, v39, v35, vcc_lo
	global_store_b128 v[24:25], v[8:11], off
	global_load_b128 v[8:11], v[36:37], off offset:256
	v_fma_f64 v[26:27], s[38:39], v[20:21], -v[26:27]
	v_fma_f64 v[20:21], s[40:41], v[20:21], v[22:23]
	s_wait_loadcnt 0x0
	v_mul_f64_e32 v[36:37], s[8:9], v[10:11]
	v_mul_f64_e32 v[10:11], s[6:7], v[10:11]
	s_delay_alu instid0(VALU_DEP_2) | instskip(NEXT) | instid1(VALU_DEP_2)
	v_fma_f64 v[22:23], s[6:7], v[8:9], -v[36:37]
	v_fma_f64 v[10:11], s[8:9], v[8:9], v[10:11]
	s_delay_alu instid0(VALU_DEP_2) | instskip(NEXT) | instid1(VALU_DEP_2)
	v_add_f64_e32 v[8:9], v[26:27], v[22:23]
	v_add_f64_e32 v[10:11], v[20:21], v[10:11]
	v_add_co_u32 v20, vcc_lo, v42, s18
	s_wait_alu 0xfffd
	v_add_co_ci_u32_e64 v21, null, s19, v43, vcc_lo
	v_mul_f64_e32 v[22:23], s[40:41], v[18:19]
	s_delay_alu instid0(VALU_DEP_3) | instskip(SKIP_1) | instid1(VALU_DEP_3)
	v_add_co_u32 v20, vcc_lo, v20, v34
	s_wait_alu 0xfffd
	v_add_co_ci_u32_e64 v21, null, v21, v35, vcc_lo
	v_mul_f64_e32 v[18:19], s[38:39], v[18:19]
	global_store_b128 v[24:25], v[8:11], off offset:256
	global_load_b128 v[8:11], v[20:21], off
	v_fma_f64 v[22:23], s[38:39], v[16:17], -v[22:23]
	v_fma_f64 v[16:17], s[40:41], v[16:17], v[18:19]
	s_wait_loadcnt 0x0
	v_mul_f64_e32 v[24:25], s[8:9], v[10:11]
	v_mul_f64_e32 v[10:11], s[6:7], v[10:11]
	s_delay_alu instid0(VALU_DEP_2) | instskip(NEXT) | instid1(VALU_DEP_2)
	v_fma_f64 v[18:19], s[6:7], v[8:9], -v[24:25]
	v_fma_f64 v[10:11], s[8:9], v[8:9], v[10:11]
	s_delay_alu instid0(VALU_DEP_2) | instskip(NEXT) | instid1(VALU_DEP_2)
	v_add_f64_e32 v[8:9], v[22:23], v[18:19]
	v_add_f64_e32 v[10:11], v[16:17], v[10:11]
	v_add_co_u32 v16, vcc_lo, v38, s22
	s_wait_alu 0xfffd
	v_add_co_ci_u32_e64 v17, null, s23, v39, vcc_lo
	v_mul_f64_e32 v[18:19], s[40:41], v[14:15]
	s_delay_alu instid0(VALU_DEP_3) | instskip(SKIP_1) | instid1(VALU_DEP_3)
	v_add_co_u32 v16, vcc_lo, v16, v34
	s_wait_alu 0xfffd
	v_add_co_ci_u32_e64 v17, null, v17, v35, vcc_lo
	v_mul_f64_e32 v[14:15], s[38:39], v[14:15]
	global_store_b128 v[16:17], v[8:11], off
	global_load_b128 v[8:11], v[20:21], off offset:256
	v_fma_f64 v[18:19], s[38:39], v[12:13], -v[18:19]
	v_fma_f64 v[12:13], s[40:41], v[12:13], v[14:15]
	s_wait_loadcnt 0x0
	v_mul_f64_e32 v[20:21], s[8:9], v[10:11]
	v_mul_f64_e32 v[10:11], s[6:7], v[10:11]
	s_delay_alu instid0(VALU_DEP_2) | instskip(NEXT) | instid1(VALU_DEP_2)
	v_fma_f64 v[14:15], s[6:7], v[8:9], -v[20:21]
	v_fma_f64 v[8:9], s[8:9], v[8:9], v[10:11]
	v_add_co_u32 v10, vcc_lo, 0x100, v16
	s_wait_alu 0xfffd
	v_add_co_ci_u32_e64 v11, null, 0, v17, vcc_lo
	s_delay_alu instid0(VALU_DEP_4) | instskip(NEXT) | instid1(VALU_DEP_4)
	v_add_f64_e32 v[14:15], v[18:19], v[14:15]
	v_add_f64_e32 v[8:9], v[12:13], v[8:9]
	global_store_b64 v[16:17], v[14:15], off offset:256
	s_branch .LBB133_2
.LBB133_11:
	s_nop 0
	s_sendmsg sendmsg(MSG_DEALLOC_VGPRS)
	s_endpgm
	.section	.rodata,"a",@progbits
	.p2align	6, 0x0
	.amdhsa_kernel _ZN12_GLOBAL__N_127rocblas_gemm_batched_kernelI19rocblas_complex_numIdELi16ELi16ELi32ELi32ELi8ELi32ELi8ELi8ELi32ELc67ELc84EKS2_S3_S2_EEvlllT_PT11_llS6_llS4_PT12_llPT13_lli
		.amdhsa_group_segment_fixed_size 8192
		.amdhsa_private_segment_fixed_size 0
		.amdhsa_kernarg_size 156
		.amdhsa_user_sgpr_count 2
		.amdhsa_user_sgpr_dispatch_ptr 0
		.amdhsa_user_sgpr_queue_ptr 0
		.amdhsa_user_sgpr_kernarg_segment_ptr 1
		.amdhsa_user_sgpr_dispatch_id 0
		.amdhsa_user_sgpr_private_segment_size 0
		.amdhsa_wavefront_size32 1
		.amdhsa_uses_dynamic_stack 0
		.amdhsa_enable_private_segment 0
		.amdhsa_system_sgpr_workgroup_id_x 1
		.amdhsa_system_sgpr_workgroup_id_y 1
		.amdhsa_system_sgpr_workgroup_id_z 1
		.amdhsa_system_sgpr_workgroup_info 0
		.amdhsa_system_vgpr_workitem_id 1
		.amdhsa_next_free_vgpr 126
		.amdhsa_next_free_sgpr 52
		.amdhsa_reserve_vcc 1
		.amdhsa_float_round_mode_32 0
		.amdhsa_float_round_mode_16_64 0
		.amdhsa_float_denorm_mode_32 3
		.amdhsa_float_denorm_mode_16_64 3
		.amdhsa_fp16_overflow 0
		.amdhsa_workgroup_processor_mode 1
		.amdhsa_memory_ordered 1
		.amdhsa_forward_progress 1
		.amdhsa_inst_pref_size 26
		.amdhsa_round_robin_scheduling 0
		.amdhsa_exception_fp_ieee_invalid_op 0
		.amdhsa_exception_fp_denorm_src 0
		.amdhsa_exception_fp_ieee_div_zero 0
		.amdhsa_exception_fp_ieee_overflow 0
		.amdhsa_exception_fp_ieee_underflow 0
		.amdhsa_exception_fp_ieee_inexact 0
		.amdhsa_exception_int_div_zero 0
	.end_amdhsa_kernel
	.section	.text._ZN12_GLOBAL__N_127rocblas_gemm_batched_kernelI19rocblas_complex_numIdELi16ELi16ELi32ELi32ELi8ELi32ELi8ELi8ELi32ELc67ELc84EKS2_S3_S2_EEvlllT_PT11_llS6_llS4_PT12_llPT13_lli,"axG",@progbits,_ZN12_GLOBAL__N_127rocblas_gemm_batched_kernelI19rocblas_complex_numIdELi16ELi16ELi32ELi32ELi8ELi32ELi8ELi8ELi32ELc67ELc84EKS2_S3_S2_EEvlllT_PT11_llS6_llS4_PT12_llPT13_lli,comdat
.Lfunc_end133:
	.size	_ZN12_GLOBAL__N_127rocblas_gemm_batched_kernelI19rocblas_complex_numIdELi16ELi16ELi32ELi32ELi8ELi32ELi8ELi8ELi32ELc67ELc84EKS2_S3_S2_EEvlllT_PT11_llS6_llS4_PT12_llPT13_lli, .Lfunc_end133-_ZN12_GLOBAL__N_127rocblas_gemm_batched_kernelI19rocblas_complex_numIdELi16ELi16ELi32ELi32ELi8ELi32ELi8ELi8ELi32ELc67ELc84EKS2_S3_S2_EEvlllT_PT11_llS6_llS4_PT12_llPT13_lli
                                        ; -- End function
	.set _ZN12_GLOBAL__N_127rocblas_gemm_batched_kernelI19rocblas_complex_numIdELi16ELi16ELi32ELi32ELi8ELi32ELi8ELi8ELi32ELc67ELc84EKS2_S3_S2_EEvlllT_PT11_llS6_llS4_PT12_llPT13_lli.num_vgpr, 126
	.set _ZN12_GLOBAL__N_127rocblas_gemm_batched_kernelI19rocblas_complex_numIdELi16ELi16ELi32ELi32ELi8ELi32ELi8ELi8ELi32ELc67ELc84EKS2_S3_S2_EEvlllT_PT11_llS6_llS4_PT12_llPT13_lli.num_agpr, 0
	.set _ZN12_GLOBAL__N_127rocblas_gemm_batched_kernelI19rocblas_complex_numIdELi16ELi16ELi32ELi32ELi8ELi32ELi8ELi8ELi32ELc67ELc84EKS2_S3_S2_EEvlllT_PT11_llS6_llS4_PT12_llPT13_lli.numbered_sgpr, 52
	.set _ZN12_GLOBAL__N_127rocblas_gemm_batched_kernelI19rocblas_complex_numIdELi16ELi16ELi32ELi32ELi8ELi32ELi8ELi8ELi32ELc67ELc84EKS2_S3_S2_EEvlllT_PT11_llS6_llS4_PT12_llPT13_lli.num_named_barrier, 0
	.set _ZN12_GLOBAL__N_127rocblas_gemm_batched_kernelI19rocblas_complex_numIdELi16ELi16ELi32ELi32ELi8ELi32ELi8ELi8ELi32ELc67ELc84EKS2_S3_S2_EEvlllT_PT11_llS6_llS4_PT12_llPT13_lli.private_seg_size, 0
	.set _ZN12_GLOBAL__N_127rocblas_gemm_batched_kernelI19rocblas_complex_numIdELi16ELi16ELi32ELi32ELi8ELi32ELi8ELi8ELi32ELc67ELc84EKS2_S3_S2_EEvlllT_PT11_llS6_llS4_PT12_llPT13_lli.uses_vcc, 1
	.set _ZN12_GLOBAL__N_127rocblas_gemm_batched_kernelI19rocblas_complex_numIdELi16ELi16ELi32ELi32ELi8ELi32ELi8ELi8ELi32ELc67ELc84EKS2_S3_S2_EEvlllT_PT11_llS6_llS4_PT12_llPT13_lli.uses_flat_scratch, 0
	.set _ZN12_GLOBAL__N_127rocblas_gemm_batched_kernelI19rocblas_complex_numIdELi16ELi16ELi32ELi32ELi8ELi32ELi8ELi8ELi32ELc67ELc84EKS2_S3_S2_EEvlllT_PT11_llS6_llS4_PT12_llPT13_lli.has_dyn_sized_stack, 0
	.set _ZN12_GLOBAL__N_127rocblas_gemm_batched_kernelI19rocblas_complex_numIdELi16ELi16ELi32ELi32ELi8ELi32ELi8ELi8ELi32ELc67ELc84EKS2_S3_S2_EEvlllT_PT11_llS6_llS4_PT12_llPT13_lli.has_recursion, 0
	.set _ZN12_GLOBAL__N_127rocblas_gemm_batched_kernelI19rocblas_complex_numIdELi16ELi16ELi32ELi32ELi8ELi32ELi8ELi8ELi32ELc67ELc84EKS2_S3_S2_EEvlllT_PT11_llS6_llS4_PT12_llPT13_lli.has_indirect_call, 0
	.section	.AMDGPU.csdata,"",@progbits
; Kernel info:
; codeLenInByte = 3224
; TotalNumSgprs: 54
; NumVgprs: 126
; ScratchSize: 0
; MemoryBound: 0
; FloatMode: 240
; IeeeMode: 1
; LDSByteSize: 8192 bytes/workgroup (compile time only)
; SGPRBlocks: 0
; VGPRBlocks: 15
; NumSGPRsForWavesPerEU: 54
; NumVGPRsForWavesPerEU: 126
; Occupancy: 10
; WaveLimiterHint : 1
; COMPUTE_PGM_RSRC2:SCRATCH_EN: 0
; COMPUTE_PGM_RSRC2:USER_SGPR: 2
; COMPUTE_PGM_RSRC2:TRAP_HANDLER: 0
; COMPUTE_PGM_RSRC2:TGID_X_EN: 1
; COMPUTE_PGM_RSRC2:TGID_Y_EN: 1
; COMPUTE_PGM_RSRC2:TGID_Z_EN: 1
; COMPUTE_PGM_RSRC2:TIDIG_COMP_CNT: 1
	.section	.text._ZN12_GLOBAL__N_127rocblas_gemm_batched_kernelI19rocblas_complex_numIdELi16ELi16ELi32ELi32ELi8ELi32ELi8ELi8ELi32ELc78ELc67EKS2_S3_S2_EEvlllT_PT11_llS6_llS4_PT12_llPT13_lli,"axG",@progbits,_ZN12_GLOBAL__N_127rocblas_gemm_batched_kernelI19rocblas_complex_numIdELi16ELi16ELi32ELi32ELi8ELi32ELi8ELi8ELi32ELc78ELc67EKS2_S3_S2_EEvlllT_PT11_llS6_llS4_PT12_llPT13_lli,comdat
	.globl	_ZN12_GLOBAL__N_127rocblas_gemm_batched_kernelI19rocblas_complex_numIdELi16ELi16ELi32ELi32ELi8ELi32ELi8ELi8ELi32ELc78ELc67EKS2_S3_S2_EEvlllT_PT11_llS6_llS4_PT12_llPT13_lli ; -- Begin function _ZN12_GLOBAL__N_127rocblas_gemm_batched_kernelI19rocblas_complex_numIdELi16ELi16ELi32ELi32ELi8ELi32ELi8ELi8ELi32ELc78ELc67EKS2_S3_S2_EEvlllT_PT11_llS6_llS4_PT12_llPT13_lli
	.p2align	8
	.type	_ZN12_GLOBAL__N_127rocblas_gemm_batched_kernelI19rocblas_complex_numIdELi16ELi16ELi32ELi32ELi8ELi32ELi8ELi8ELi32ELc78ELc67EKS2_S3_S2_EEvlllT_PT11_llS6_llS4_PT12_llPT13_lli,@function
_ZN12_GLOBAL__N_127rocblas_gemm_batched_kernelI19rocblas_complex_numIdELi16ELi16ELi32ELi32ELi8ELi32ELi8ELi8ELi32ELc78ELc67EKS2_S3_S2_EEvlllT_PT11_llS6_llS4_PT12_llPT13_lli: ; @_ZN12_GLOBAL__N_127rocblas_gemm_batched_kernelI19rocblas_complex_numIdELi16ELi16ELi32ELi32ELi8ELi32ELi8ELi8ELi32ELc78ELc67EKS2_S3_S2_EEvlllT_PT11_llS6_llS4_PT12_llPT13_lli
; %bb.0:
	s_load_b32 s28, s[0:1], 0x98
	s_lshr_b32 s2, ttmp7, 16
	s_wait_kmcnt 0x0
	s_cmp_ge_i32 s2, s28
	s_cbranch_scc1 .LBB134_11
; %bb.1:
	v_and_b32_e32 v1, 0x3ff, v0
	v_bfe_u32 v2, v0, 10, 10
	s_clause 0x2
	s_load_b512 s[4:19], s[0:1], 0x50
	s_load_b512 s[36:51], s[0:1], 0x10
	s_load_b64 s[20:21], s[0:1], 0x90
	s_mov_b32 s22, ttmp9
	s_ashr_i32 s23, ttmp9, 31
	s_lshl_b32 s24, ttmp7, 5
	v_lshl_add_u32 v4, v2, 4, v1
	s_lshl_b64 s[0:1], s[22:23], 5
	s_and_b32 s22, s24, 0x1fffe0
	v_lshl_add_u32 v29, v2, 7, 0x1000
	v_add_nc_u32_e32 v14, s22, v2
	v_lshrrev_b32_e32 v12, 3, v4
	v_and_b32_e32 v10, 7, v0
	v_lshrrev_b32_e32 v13, 5, v4
	v_and_b32_e32 v15, 31, v4
	s_mov_b32 s3, 0
	v_add_co_u32 v2, s22, v12, s22
	s_wait_alu 0xf1ff
	v_add_co_ci_u32_e64 v3, null, 0, 0, s22
	s_wait_kmcnt 0x0
	v_mad_co_u64_u32 v[6:7], null, v14, s12, 0
	v_mad_co_u64_u32 v[8:9], null, s44, v13, s[0:1]
	s_delay_alu instid0(VALU_DEP_3)
	v_mad_co_u64_u32 v[4:5], null, s50, v10, v[2:3]
	v_lshlrev_b32_e32 v11, 4, v10
	v_cmp_eq_f64_e64 s23, s[6:7], 0
	v_cmp_eq_f64_e64 s24, s[8:9], 0
	v_lshlrev_b32_e32 v16, 4, v15
	v_mad_co_u64_u32 v[2:3], null, v14, s18, 0
	v_lshl_or_b32 v17, v12, 7, v11
	v_mad_co_u64_u32 v[10:11], null, s51, v10, v[5:6]
	v_mad_co_u64_u32 v[11:12], null, v14, s13, v[7:8]
	v_lshl_or_b32 v30, v13, 9, v16
	v_add_co_u32 v8, vcc_lo, v8, v15
	s_delay_alu instid0(VALU_DEP_4)
	v_dual_mov_b32 v5, v10 :: v_dual_lshlrev_b32 v28, 4, v1
	v_mad_co_u64_u32 v[12:13], null, s45, v13, v[9:10]
	v_mov_b32_e32 v7, v11
	v_add_co_u32 v0, s22, s0, v1
	v_cmp_gt_i64_e64 s0, s[36:37], 0
	v_mad_co_u64_u32 v[13:14], null, v14, s19, v[3:4]
	s_delay_alu instid0(VALU_DEP_4) | instskip(SKIP_4) | instid1(VALU_DEP_3)
	v_lshlrev_b64_e32 v[6:7], 4, v[6:7]
	v_add_co_ci_u32_e64 v9, null, 0, v12, vcc_lo
	s_wait_alu 0xf1ff
	v_add_co_ci_u32_e64 v1, null, s1, 0, s22
	v_add_nc_u32_e32 v31, 0x1000, v17
	v_lshlrev_b64_e32 v[8:9], 4, v[8:9]
	v_add_co_u32 v32, vcc_lo, s10, v6
	s_wait_alu 0xfffd
	v_add_co_ci_u32_e64 v33, null, s11, v7, vcc_lo
	v_lshlrev_b64_e32 v[6:7], 4, v[4:5]
	s_delay_alu instid0(VALU_DEP_4) | instskip(SKIP_3) | instid1(VALU_DEP_4)
	v_add_co_u32 v4, vcc_lo, s42, v8
	s_wait_alu 0xfffd
	v_add_co_ci_u32_e64 v5, null, s43, v9, vcc_lo
	v_cndmask_b32_e64 v8, 0, 1, s0
	v_add_co_u32 v6, vcc_lo, s48, v6
	s_wait_alu 0xfffd
	v_add_co_ci_u32_e64 v7, null, s49, v7, vcc_lo
	v_mov_b32_e32 v3, v13
	s_delay_alu instid0(VALU_DEP_3) | instskip(SKIP_1) | instid1(VALU_DEP_3)
	v_add_co_u32 v6, vcc_lo, v6, 8
	s_wait_alu 0xfffd
	v_add_co_ci_u32_e64 v7, null, 0, v7, vcc_lo
	v_cmp_ne_u32_e64 s0, 1, v8
	s_and_b32 s1, s23, s24
	s_lshl_b64 s[24:25], s[18:19], 4
	s_lshl_b64 s[22:23], s[12:13], 4
	;; [unrolled: 1-line block ×6, first 2 shown]
	s_wait_alu 0xfffe
	s_lshl_b64 s[22:23], s[22:23], 4
	s_lshl_b64 s[24:25], s[24:25], 4
	s_branch .LBB134_3
.LBB134_2:                              ;   in Loop: Header=BB134_3 Depth=1
	s_add_co_i32 s2, s2, 0x10000
	global_store_b64 v[10:11], v[8:9], off offset:8
	s_wait_alu 0xfffe
	s_cmp_lt_i32 s2, s28
	s_cbranch_scc0 .LBB134_11
.LBB134_3:                              ; =>This Loop Header: Depth=1
                                        ;     Child Loop BB134_5 Depth 2
	s_and_b32 vcc_lo, exec_lo, s0
	s_wait_alu 0xfffe
	s_cbranch_vccnz .LBB134_6
; %bb.4:                                ;   in Loop: Header=BB134_3 Depth=1
	v_mad_co_u64_u32 v[8:9], null, s10, s2, v[4:5]
	v_mad_co_u64_u32 v[10:11], null, s4, s2, v[6:7]
	v_mov_b32_e32 v14, 0
	v_dual_mov_b32 v15, 0 :: v_dual_mov_b32 v12, 0
	v_dual_mov_b32 v13, 0 :: v_dual_mov_b32 v18, 0
	v_mov_b32_e32 v22, 0
	v_mad_co_u64_u32 v[34:35], null, s11, s2, v[9:10]
	s_delay_alu instid0(VALU_DEP_4)
	v_mad_co_u64_u32 v[35:36], null, s5, s2, v[11:12]
	v_dual_mov_b32 v26, 0 :: v_dual_mov_b32 v19, 0
	v_dual_mov_b32 v16, 0 :: v_dual_mov_b32 v23, 0
	;; [unrolled: 1-line block ×4, first 2 shown]
	v_mov_b32_e32 v21, 0
	v_mov_b32_e32 v25, 0
	;; [unrolled: 1-line block ×4, first 2 shown]
	s_mov_b64 s[26:27], 0
.LBB134_5:                              ;   Parent Loop BB134_3 Depth=1
                                        ; =>  This Inner Loop Header: Depth=2
	global_load_b128 v[34:37], v[10:11], off offset:-8
	global_load_b128 v[38:41], v[8:9], off
	s_wait_alu 0xfffe
	s_add_nc_u64 s[26:27], s[26:27], 8
	v_add_co_u32 v8, vcc_lo, v8, s12
	s_wait_alu 0xfffe
	v_cmp_lt_i64_e64 s29, s[26:27], s[36:37]
	s_wait_alu 0xfffd
	v_add_co_ci_u32_e64 v9, null, s13, v9, vcc_lo
	v_add_co_u32 v10, vcc_lo, v10, s18
	s_wait_alu 0xfffd
	v_add_co_ci_u32_e64 v11, null, s19, v11, vcc_lo
	s_and_b32 vcc_lo, exec_lo, s29
	s_wait_loadcnt 0x1
	v_xor_b32_e32 v37, 0x80000000, v37
	s_wait_loadcnt 0x0
	ds_store_2addr_b64 v30, v[38:39], v[40:41] offset1:1
	ds_store_b128 v31, v[34:37]
	s_wait_dscnt 0x0
	s_barrier_signal -1
	s_barrier_wait -1
	global_inv scope:SCOPE_SE
	ds_load_b128 v[34:37], v29
	ds_load_b128 v[38:41], v28
	ds_load_b128 v[42:45], v28 offset:256
	ds_load_b128 v[46:49], v29 offset:2048
	;; [unrolled: 1-line block ×13, first 2 shown]
	s_wait_dscnt 0xd
	v_mul_f64_e32 v[94:95], v[36:37], v[40:41]
	v_mul_f64_e32 v[96:97], v[34:35], v[40:41]
	s_wait_dscnt 0xc
	v_mul_f64_e32 v[98:99], v[36:37], v[44:45]
	v_mul_f64_e32 v[100:101], v[34:35], v[44:45]
	;; [unrolled: 3-line block ×3, first 2 shown]
	v_mul_f64_e32 v[104:105], v[48:49], v[44:45]
	v_mul_f64_e32 v[44:45], v[46:47], v[44:45]
	s_wait_dscnt 0x9
	v_mul_f64_e32 v[106:107], v[52:53], v[56:57]
	v_mul_f64_e32 v[108:109], v[50:51], v[56:57]
	s_wait_dscnt 0x7
	v_mul_f64_e32 v[110:111], v[52:53], v[64:65]
	v_mul_f64_e32 v[112:113], v[50:51], v[64:65]
	;; [unrolled: 1-line block ×6, first 2 shown]
	s_wait_dscnt 0x3
	v_mul_f64_e32 v[120:121], v[66:67], v[80:81]
	s_wait_dscnt 0x1
	v_mul_f64_e32 v[122:123], v[88:89], v[76:77]
	v_mul_f64_e32 v[124:125], v[88:89], v[80:81]
	v_fma_f64 v[94:95], v[34:35], v[38:39], -v[94:95]
	v_fma_f64 v[96:97], v[36:37], v[38:39], v[96:97]
	v_fma_f64 v[98:99], v[34:35], v[42:43], -v[98:99]
	v_fma_f64 v[100:101], v[36:37], v[42:43], v[100:101]
	;; [unrolled: 2-line block ×4, first 2 shown]
	v_mul_f64_e32 v[44:45], v[68:69], v[76:77]
	v_mul_f64_e32 v[48:49], v[66:67], v[76:77]
	;; [unrolled: 1-line block ×5, first 2 shown]
	v_fma_f64 v[106:107], v[50:51], v[54:55], -v[106:107]
	v_fma_f64 v[108:109], v[52:53], v[54:55], v[108:109]
	v_fma_f64 v[50:51], v[50:51], v[62:63], -v[110:111]
	v_fma_f64 v[52:53], v[52:53], v[62:63], v[112:113]
	;; [unrolled: 2-line block ×4, first 2 shown]
	ds_load_b128 v[34:37], v28 offset:1792
	ds_load_b128 v[38:41], v29 offset:64
	v_mul_f64_e32 v[64:65], v[72:73], v[84:85]
	v_add_f64_e32 v[24:25], v[24:25], v[94:95]
	v_add_f64_e32 v[26:27], v[96:97], v[26:27]
	;; [unrolled: 1-line block ×8, first 2 shown]
	v_mul_f64_e32 v[94:95], v[70:71], v[84:85]
	s_wait_dscnt 0x1
	v_mul_f64_e32 v[96:97], v[72:73], v[36:37]
	v_mul_f64_e32 v[98:99], v[70:71], v[36:37]
	;; [unrolled: 1-line block ×6, first 2 shown]
	v_fma_f64 v[112:113], v[66:67], v[74:75], -v[44:45]
	v_fma_f64 v[114:115], v[68:69], v[74:75], v[48:49]
	v_fma_f64 v[66:67], v[66:67], v[78:79], -v[104:105]
	v_fma_f64 v[68:69], v[68:69], v[78:79], v[120:121]
	;; [unrolled: 2-line block ×4, first 2 shown]
	ds_load_b128 v[12:15], v28 offset:2048
	ds_load_b128 v[16:19], v28 offset:2304
	v_fma_f64 v[64:65], v[70:71], v[82:83], -v[64:65]
	v_add_f64_e32 v[80:81], v[24:25], v[106:107]
	v_add_f64_e32 v[86:87], v[108:109], v[26:27]
	;; [unrolled: 1-line block ×8, first 2 shown]
	ds_load_b128 v[20:23], v29 offset:2112
	ds_load_b128 v[24:27], v29 offset:80
	;; [unrolled: 1-line block ×4, first 2 shown]
	s_wait_dscnt 0x5
	v_mul_f64_e32 v[62:63], v[40:41], v[14:15]
	v_mul_f64_e32 v[88:89], v[38:39], v[14:15]
	s_wait_dscnt 0x4
	v_mul_f64_e32 v[106:107], v[40:41], v[18:19]
	v_mul_f64_e32 v[108:109], v[38:39], v[18:19]
	v_fma_f64 v[94:95], v[72:73], v[82:83], v[94:95]
	v_fma_f64 v[70:71], v[70:71], v[34:35], -v[96:97]
	v_fma_f64 v[72:73], v[72:73], v[34:35], v[98:99]
	v_fma_f64 v[96:97], v[90:91], v[82:83], -v[100:101]
	;; [unrolled: 2-line block ×3, first 2 shown]
	v_fma_f64 v[90:91], v[92:93], v[34:35], v[36:37]
	s_wait_dscnt 0x3
	v_mul_f64_e32 v[110:111], v[22:23], v[14:15]
	v_mul_f64_e32 v[14:15], v[20:21], v[14:15]
	;; [unrolled: 1-line block ×4, first 2 shown]
	s_wait_dscnt 0x1
	v_mul_f64_e32 v[98:99], v[26:27], v[44:45]
	v_mul_f64_e32 v[100:101], v[24:25], v[44:45]
	v_add_f64_e32 v[80:81], v[80:81], v[112:113]
	v_add_f64_e32 v[86:87], v[114:115], v[86:87]
	;; [unrolled: 1-line block ×8, first 2 shown]
	ds_load_b128 v[34:37], v28 offset:2816
	ds_load_b128 v[50:53], v29 offset:96
	;; [unrolled: 1-line block ×4, first 2 shown]
	s_wait_dscnt 0x4
	v_mul_f64_e32 v[112:113], v[48:49], v[44:45]
	v_mul_f64_e32 v[44:45], v[46:47], v[44:45]
	v_fma_f64 v[62:63], v[38:39], v[12:13], -v[62:63]
	v_fma_f64 v[88:89], v[40:41], v[12:13], v[88:89]
	v_fma_f64 v[106:107], v[38:39], v[16:17], -v[106:107]
	v_fma_f64 v[40:41], v[40:41], v[16:17], v[108:109]
	s_wait_dscnt 0x3
	v_mul_f64_e32 v[102:103], v[26:27], v[36:37]
	v_mul_f64_e32 v[104:105], v[24:25], v[36:37]
	;; [unrolled: 1-line block ×4, first 2 shown]
	v_fma_f64 v[108:109], v[20:21], v[12:13], -v[110:111]
	v_fma_f64 v[110:111], v[22:23], v[12:13], v[14:15]
	v_fma_f64 v[116:117], v[20:21], v[16:17], -v[116:117]
	v_fma_f64 v[120:121], v[22:23], v[16:17], v[18:19]
	ds_load_b128 v[12:15], v29 offset:2144
	ds_load_b128 v[16:19], v29 offset:112
	;; [unrolled: 1-line block ×4, first 2 shown]
	v_add_f64_e32 v[64:65], v[80:81], v[64:65]
	v_add_f64_e32 v[80:81], v[94:95], v[86:87]
	;; [unrolled: 1-line block ×8, first 2 shown]
	s_wait_dscnt 0x5
	v_mul_f64_e32 v[78:79], v[52:53], v[56:57]
	v_mul_f64_e32 v[82:83], v[50:51], v[56:57]
	s_wait_dscnt 0x4
	v_mul_f64_e32 v[84:85], v[52:53], v[60:61]
	v_mul_f64_e32 v[86:87], v[50:51], v[60:61]
	s_wait_dscnt 0x3
	v_mul_f64_e32 v[90:91], v[14:15], v[56:57]
	v_mul_f64_e32 v[56:57], v[12:13], v[56:57]
	v_mul_f64_e32 v[92:93], v[14:15], v[60:61]
	v_mul_f64_e32 v[60:61], v[12:13], v[60:61]
	v_fma_f64 v[94:95], v[24:25], v[42:43], -v[98:99]
	v_fma_f64 v[96:97], v[26:27], v[42:43], v[100:101]
	v_fma_f64 v[98:99], v[24:25], v[34:35], -v[102:103]
	v_fma_f64 v[100:101], v[26:27], v[34:35], v[104:105]
	;; [unrolled: 2-line block ×4, first 2 shown]
	ds_load_b128 v[24:27], v28 offset:3840
	s_wait_loadcnt_dscnt 0x0
	s_barrier_signal -1
	s_barrier_wait -1
	global_inv scope:SCOPE_SE
	v_add_f64_e32 v[46:47], v[64:65], v[62:63]
	v_add_f64_e32 v[48:49], v[88:89], v[80:81]
	;; [unrolled: 1-line block ×8, first 2 shown]
	v_mul_f64_e32 v[72:73], v[18:19], v[22:23]
	v_mul_f64_e32 v[74:75], v[16:17], v[22:23]
	;; [unrolled: 1-line block ×4, first 2 shown]
	v_fma_f64 v[78:79], v[50:51], v[54:55], -v[78:79]
	v_mul_f64_e32 v[76:77], v[18:19], v[26:27]
	v_mul_f64_e32 v[80:81], v[16:17], v[26:27]
	v_mul_f64_e32 v[104:105], v[38:39], v[26:27]
	v_mul_f64_e32 v[26:27], v[36:37], v[26:27]
	v_fma_f64 v[82:83], v[52:53], v[54:55], v[82:83]
	v_fma_f64 v[50:51], v[50:51], v[58:59], -v[84:85]
	v_fma_f64 v[52:53], v[52:53], v[58:59], v[86:87]
	v_fma_f64 v[84:85], v[12:13], v[54:55], -v[90:91]
	v_fma_f64 v[54:55], v[14:15], v[54:55], v[56:57]
	v_fma_f64 v[12:13], v[12:13], v[58:59], -v[92:93]
	v_fma_f64 v[14:15], v[14:15], v[58:59], v[60:61]
	v_add_f64_e32 v[46:47], v[46:47], v[94:95]
	v_add_f64_e32 v[48:49], v[96:97], v[48:49]
	;; [unrolled: 1-line block ×8, first 2 shown]
	v_fma_f64 v[60:61], v[16:17], v[20:21], -v[72:73]
	v_fma_f64 v[62:63], v[18:19], v[20:21], v[74:75]
	v_fma_f64 v[64:65], v[36:37], v[20:21], -v[88:89]
	v_fma_f64 v[66:67], v[38:39], v[20:21], v[22:23]
	;; [unrolled: 2-line block ×4, first 2 shown]
	v_add_f64_e32 v[20:21], v[46:47], v[78:79]
	v_add_f64_e32 v[22:23], v[82:83], v[48:49]
	;; [unrolled: 1-line block ×16, first 2 shown]
	s_wait_alu 0xfffe
	s_cbranch_vccnz .LBB134_5
	s_branch .LBB134_7
.LBB134_6:                              ;   in Loop: Header=BB134_3 Depth=1
	v_mov_b32_e32 v24, 0
	v_mov_b32_e32 v20, 0
	;; [unrolled: 1-line block ×3, first 2 shown]
	v_dual_mov_b32 v12, 0 :: v_dual_mov_b32 v25, 0
	v_dual_mov_b32 v26, 0 :: v_dual_mov_b32 v21, 0
	;; [unrolled: 1-line block ×5, first 2 shown]
	v_mov_b32_e32 v23, 0
	v_mov_b32_e32 v19, 0
	;; [unrolled: 1-line block ×3, first 2 shown]
.LBB134_7:                              ;   in Loop: Header=BB134_3 Depth=1
	s_mul_u64 s[26:27], s[20:21], s[2:3]
	s_and_not1_b32 vcc_lo, exec_lo, s1
	s_wait_alu 0xfffe
	s_lshl_b64 s[26:27], s[26:27], 4
	s_mov_b32 s29, -1
	s_wait_alu 0xfffe
	s_add_nc_u64 s[26:27], s[16:17], s[26:27]
                                        ; implicit-def: $vgpr8_vgpr9
                                        ; implicit-def: $vgpr10_vgpr11
	s_cbranch_vccz .LBB134_9
; %bb.8:                                ;   in Loop: Header=BB134_3 Depth=1
	s_and_not1_b32 vcc_lo, exec_lo, s29
	s_wait_alu 0xfffe
	s_cbranch_vccnz .LBB134_2
	s_branch .LBB134_10
.LBB134_9:                              ;   in Loop: Header=BB134_3 Depth=1
	v_mul_f64_e32 v[8:9], s[40:41], v[26:27]
	v_mul_f64_e32 v[10:11], s[38:39], v[26:27]
	s_delay_alu instid0(VALU_DEP_3)
	v_mul_f64_e32 v[48:49], s[38:39], v[14:15]
	v_mul_f64_e32 v[38:39], s[40:41], v[22:23]
	;; [unrolled: 1-line block ×6, first 2 shown]
	v_fma_f64 v[34:35], s[38:39], v[24:25], -v[8:9]
	v_fma_f64 v[36:37], s[40:41], v[24:25], v[10:11]
	v_fma_f64 v[8:9], s[40:41], v[12:13], v[48:49]
	v_fma_f64 v[38:39], s[38:39], v[20:21], -v[38:39]
	v_fma_f64 v[40:41], s[40:41], v[20:21], v[40:41]
	v_fma_f64 v[42:43], s[38:39], v[16:17], -v[42:43]
	;; [unrolled: 2-line block ×3, first 2 shown]
	v_lshlrev_b64_e32 v[10:11], 4, v[2:3]
	s_wait_alu 0xfffe
	s_delay_alu instid0(VALU_DEP_1) | instskip(SKIP_1) | instid1(VALU_DEP_2)
	v_add_co_u32 v50, vcc_lo, s26, v10
	s_wait_alu 0xfffd
	v_add_co_ci_u32_e64 v51, null, s27, v11, vcc_lo
	v_lshlrev_b64_e32 v[10:11], 4, v[0:1]
	s_delay_alu instid0(VALU_DEP_3) | instskip(SKIP_1) | instid1(VALU_DEP_3)
	v_add_co_u32 v48, vcc_lo, v50, s24
	s_wait_alu 0xfffd
	v_add_co_ci_u32_e64 v49, null, s25, v51, vcc_lo
	s_delay_alu instid0(VALU_DEP_2) | instskip(SKIP_1) | instid1(VALU_DEP_2)
	v_add_co_u32 v48, vcc_lo, v48, v10
	s_wait_alu 0xfffd
	v_add_co_ci_u32_e64 v49, null, v49, v11, vcc_lo
	v_add_co_u32 v50, vcc_lo, v50, v10
	s_wait_alu 0xfffd
	v_add_co_ci_u32_e64 v51, null, v51, v11, vcc_lo
	;; [unrolled: 3-line block ×3, first 2 shown]
	s_clause 0x3
	global_store_b128 v[50:51], v[34:37], off
	global_store_b128 v[50:51], v[38:41], off offset:256
	global_store_b128 v[48:49], v[42:45], off
	global_store_b64 v[48:49], v[46:47], off offset:256
	s_cbranch_execnz .LBB134_2
.LBB134_10:                             ;   in Loop: Header=BB134_3 Depth=1
	s_mul_u64 s[30:31], s[14:15], s[2:3]
	v_lshlrev_b64_e32 v[34:35], 4, v[0:1]
	s_wait_alu 0xfffe
	s_lshl_b64 s[30:31], s[30:31], 4
	v_mul_f64_e32 v[38:39], s[40:41], v[26:27]
	s_wait_alu 0xfffe
	v_add_co_u32 v42, vcc_lo, v32, s30
	s_wait_alu 0xfffd
	v_add_co_ci_u32_e64 v43, null, s31, v33, vcc_lo
	v_mul_f64_e32 v[26:27], s[38:39], v[26:27]
	s_delay_alu instid0(VALU_DEP_3) | instskip(SKIP_1) | instid1(VALU_DEP_3)
	v_add_co_u32 v36, vcc_lo, v42, v34
	s_wait_alu 0xfffd
	v_add_co_ci_u32_e64 v37, null, v43, v35, vcc_lo
	global_load_b128 v[8:11], v[36:37], off
	v_fma_f64 v[38:39], s[38:39], v[24:25], -v[38:39]
	v_fma_f64 v[24:25], s[40:41], v[24:25], v[26:27]
	s_wait_loadcnt 0x0
	v_mul_f64_e32 v[40:41], s[8:9], v[10:11]
	v_mul_f64_e32 v[10:11], s[6:7], v[10:11]
	s_delay_alu instid0(VALU_DEP_2) | instskip(NEXT) | instid1(VALU_DEP_2)
	v_fma_f64 v[26:27], s[6:7], v[8:9], -v[40:41]
	v_fma_f64 v[10:11], s[8:9], v[8:9], v[10:11]
	s_delay_alu instid0(VALU_DEP_2) | instskip(NEXT) | instid1(VALU_DEP_2)
	v_add_f64_e32 v[8:9], v[38:39], v[26:27]
	v_add_f64_e32 v[10:11], v[24:25], v[10:11]
	v_lshlrev_b64_e32 v[24:25], 4, v[2:3]
	v_mul_f64_e32 v[26:27], s[40:41], v[22:23]
	v_mul_f64_e32 v[22:23], s[38:39], v[22:23]
	s_delay_alu instid0(VALU_DEP_3) | instskip(SKIP_1) | instid1(VALU_DEP_4)
	v_add_co_u32 v38, vcc_lo, s26, v24
	s_wait_alu 0xfffd
	v_add_co_ci_u32_e64 v39, null, s27, v25, vcc_lo
	s_delay_alu instid0(VALU_DEP_2) | instskip(SKIP_1) | instid1(VALU_DEP_2)
	v_add_co_u32 v24, vcc_lo, v38, v34
	s_wait_alu 0xfffd
	v_add_co_ci_u32_e64 v25, null, v39, v35, vcc_lo
	global_store_b128 v[24:25], v[8:11], off
	global_load_b128 v[8:11], v[36:37], off offset:256
	v_fma_f64 v[26:27], s[38:39], v[20:21], -v[26:27]
	v_fma_f64 v[20:21], s[40:41], v[20:21], v[22:23]
	s_wait_loadcnt 0x0
	v_mul_f64_e32 v[36:37], s[8:9], v[10:11]
	v_mul_f64_e32 v[10:11], s[6:7], v[10:11]
	s_delay_alu instid0(VALU_DEP_2) | instskip(NEXT) | instid1(VALU_DEP_2)
	v_fma_f64 v[22:23], s[6:7], v[8:9], -v[36:37]
	v_fma_f64 v[10:11], s[8:9], v[8:9], v[10:11]
	s_delay_alu instid0(VALU_DEP_2) | instskip(NEXT) | instid1(VALU_DEP_2)
	v_add_f64_e32 v[8:9], v[26:27], v[22:23]
	v_add_f64_e32 v[10:11], v[20:21], v[10:11]
	v_add_co_u32 v20, vcc_lo, v42, s22
	s_wait_alu 0xfffd
	v_add_co_ci_u32_e64 v21, null, s23, v43, vcc_lo
	v_mul_f64_e32 v[22:23], s[40:41], v[18:19]
	s_delay_alu instid0(VALU_DEP_3) | instskip(SKIP_1) | instid1(VALU_DEP_3)
	v_add_co_u32 v20, vcc_lo, v20, v34
	s_wait_alu 0xfffd
	v_add_co_ci_u32_e64 v21, null, v21, v35, vcc_lo
	v_mul_f64_e32 v[18:19], s[38:39], v[18:19]
	global_store_b128 v[24:25], v[8:11], off offset:256
	global_load_b128 v[8:11], v[20:21], off
	v_fma_f64 v[22:23], s[38:39], v[16:17], -v[22:23]
	v_fma_f64 v[16:17], s[40:41], v[16:17], v[18:19]
	s_wait_loadcnt 0x0
	v_mul_f64_e32 v[24:25], s[8:9], v[10:11]
	v_mul_f64_e32 v[10:11], s[6:7], v[10:11]
	s_delay_alu instid0(VALU_DEP_2) | instskip(NEXT) | instid1(VALU_DEP_2)
	v_fma_f64 v[18:19], s[6:7], v[8:9], -v[24:25]
	v_fma_f64 v[10:11], s[8:9], v[8:9], v[10:11]
	s_delay_alu instid0(VALU_DEP_2) | instskip(NEXT) | instid1(VALU_DEP_2)
	v_add_f64_e32 v[8:9], v[22:23], v[18:19]
	v_add_f64_e32 v[10:11], v[16:17], v[10:11]
	v_add_co_u32 v16, vcc_lo, v38, s24
	s_wait_alu 0xfffd
	v_add_co_ci_u32_e64 v17, null, s25, v39, vcc_lo
	v_mul_f64_e32 v[18:19], s[40:41], v[14:15]
	s_delay_alu instid0(VALU_DEP_3) | instskip(SKIP_1) | instid1(VALU_DEP_3)
	v_add_co_u32 v16, vcc_lo, v16, v34
	s_wait_alu 0xfffd
	v_add_co_ci_u32_e64 v17, null, v17, v35, vcc_lo
	v_mul_f64_e32 v[14:15], s[38:39], v[14:15]
	global_store_b128 v[16:17], v[8:11], off
	global_load_b128 v[8:11], v[20:21], off offset:256
	v_fma_f64 v[18:19], s[38:39], v[12:13], -v[18:19]
	v_fma_f64 v[12:13], s[40:41], v[12:13], v[14:15]
	s_wait_loadcnt 0x0
	v_mul_f64_e32 v[20:21], s[8:9], v[10:11]
	v_mul_f64_e32 v[10:11], s[6:7], v[10:11]
	s_delay_alu instid0(VALU_DEP_2) | instskip(NEXT) | instid1(VALU_DEP_2)
	v_fma_f64 v[14:15], s[6:7], v[8:9], -v[20:21]
	v_fma_f64 v[8:9], s[8:9], v[8:9], v[10:11]
	v_add_co_u32 v10, vcc_lo, 0x100, v16
	s_wait_alu 0xfffd
	v_add_co_ci_u32_e64 v11, null, 0, v17, vcc_lo
	s_delay_alu instid0(VALU_DEP_4) | instskip(NEXT) | instid1(VALU_DEP_4)
	v_add_f64_e32 v[14:15], v[18:19], v[14:15]
	v_add_f64_e32 v[8:9], v[12:13], v[8:9]
	global_store_b64 v[16:17], v[14:15], off offset:256
	s_branch .LBB134_2
.LBB134_11:
	s_nop 0
	s_sendmsg sendmsg(MSG_DEALLOC_VGPRS)
	s_endpgm
	.section	.rodata,"a",@progbits
	.p2align	6, 0x0
	.amdhsa_kernel _ZN12_GLOBAL__N_127rocblas_gemm_batched_kernelI19rocblas_complex_numIdELi16ELi16ELi32ELi32ELi8ELi32ELi8ELi8ELi32ELc78ELc67EKS2_S3_S2_EEvlllT_PT11_llS6_llS4_PT12_llPT13_lli
		.amdhsa_group_segment_fixed_size 8192
		.amdhsa_private_segment_fixed_size 0
		.amdhsa_kernarg_size 156
		.amdhsa_user_sgpr_count 2
		.amdhsa_user_sgpr_dispatch_ptr 0
		.amdhsa_user_sgpr_queue_ptr 0
		.amdhsa_user_sgpr_kernarg_segment_ptr 1
		.amdhsa_user_sgpr_dispatch_id 0
		.amdhsa_user_sgpr_private_segment_size 0
		.amdhsa_wavefront_size32 1
		.amdhsa_uses_dynamic_stack 0
		.amdhsa_enable_private_segment 0
		.amdhsa_system_sgpr_workgroup_id_x 1
		.amdhsa_system_sgpr_workgroup_id_y 1
		.amdhsa_system_sgpr_workgroup_id_z 1
		.amdhsa_system_sgpr_workgroup_info 0
		.amdhsa_system_vgpr_workitem_id 1
		.amdhsa_next_free_vgpr 126
		.amdhsa_next_free_sgpr 52
		.amdhsa_reserve_vcc 1
		.amdhsa_float_round_mode_32 0
		.amdhsa_float_round_mode_16_64 0
		.amdhsa_float_denorm_mode_32 3
		.amdhsa_float_denorm_mode_16_64 3
		.amdhsa_fp16_overflow 0
		.amdhsa_workgroup_processor_mode 1
		.amdhsa_memory_ordered 1
		.amdhsa_forward_progress 1
		.amdhsa_inst_pref_size 25
		.amdhsa_round_robin_scheduling 0
		.amdhsa_exception_fp_ieee_invalid_op 0
		.amdhsa_exception_fp_denorm_src 0
		.amdhsa_exception_fp_ieee_div_zero 0
		.amdhsa_exception_fp_ieee_overflow 0
		.amdhsa_exception_fp_ieee_underflow 0
		.amdhsa_exception_fp_ieee_inexact 0
		.amdhsa_exception_int_div_zero 0
	.end_amdhsa_kernel
	.section	.text._ZN12_GLOBAL__N_127rocblas_gemm_batched_kernelI19rocblas_complex_numIdELi16ELi16ELi32ELi32ELi8ELi32ELi8ELi8ELi32ELc78ELc67EKS2_S3_S2_EEvlllT_PT11_llS6_llS4_PT12_llPT13_lli,"axG",@progbits,_ZN12_GLOBAL__N_127rocblas_gemm_batched_kernelI19rocblas_complex_numIdELi16ELi16ELi32ELi32ELi8ELi32ELi8ELi8ELi32ELc78ELc67EKS2_S3_S2_EEvlllT_PT11_llS6_llS4_PT12_llPT13_lli,comdat
.Lfunc_end134:
	.size	_ZN12_GLOBAL__N_127rocblas_gemm_batched_kernelI19rocblas_complex_numIdELi16ELi16ELi32ELi32ELi8ELi32ELi8ELi8ELi32ELc78ELc67EKS2_S3_S2_EEvlllT_PT11_llS6_llS4_PT12_llPT13_lli, .Lfunc_end134-_ZN12_GLOBAL__N_127rocblas_gemm_batched_kernelI19rocblas_complex_numIdELi16ELi16ELi32ELi32ELi8ELi32ELi8ELi8ELi32ELc78ELc67EKS2_S3_S2_EEvlllT_PT11_llS6_llS4_PT12_llPT13_lli
                                        ; -- End function
	.set _ZN12_GLOBAL__N_127rocblas_gemm_batched_kernelI19rocblas_complex_numIdELi16ELi16ELi32ELi32ELi8ELi32ELi8ELi8ELi32ELc78ELc67EKS2_S3_S2_EEvlllT_PT11_llS6_llS4_PT12_llPT13_lli.num_vgpr, 126
	.set _ZN12_GLOBAL__N_127rocblas_gemm_batched_kernelI19rocblas_complex_numIdELi16ELi16ELi32ELi32ELi8ELi32ELi8ELi8ELi32ELc78ELc67EKS2_S3_S2_EEvlllT_PT11_llS6_llS4_PT12_llPT13_lli.num_agpr, 0
	.set _ZN12_GLOBAL__N_127rocblas_gemm_batched_kernelI19rocblas_complex_numIdELi16ELi16ELi32ELi32ELi8ELi32ELi8ELi8ELi32ELc78ELc67EKS2_S3_S2_EEvlllT_PT11_llS6_llS4_PT12_llPT13_lli.numbered_sgpr, 52
	.set _ZN12_GLOBAL__N_127rocblas_gemm_batched_kernelI19rocblas_complex_numIdELi16ELi16ELi32ELi32ELi8ELi32ELi8ELi8ELi32ELc78ELc67EKS2_S3_S2_EEvlllT_PT11_llS6_llS4_PT12_llPT13_lli.num_named_barrier, 0
	.set _ZN12_GLOBAL__N_127rocblas_gemm_batched_kernelI19rocblas_complex_numIdELi16ELi16ELi32ELi32ELi8ELi32ELi8ELi8ELi32ELc78ELc67EKS2_S3_S2_EEvlllT_PT11_llS6_llS4_PT12_llPT13_lli.private_seg_size, 0
	.set _ZN12_GLOBAL__N_127rocblas_gemm_batched_kernelI19rocblas_complex_numIdELi16ELi16ELi32ELi32ELi8ELi32ELi8ELi8ELi32ELc78ELc67EKS2_S3_S2_EEvlllT_PT11_llS6_llS4_PT12_llPT13_lli.uses_vcc, 1
	.set _ZN12_GLOBAL__N_127rocblas_gemm_batched_kernelI19rocblas_complex_numIdELi16ELi16ELi32ELi32ELi8ELi32ELi8ELi8ELi32ELc78ELc67EKS2_S3_S2_EEvlllT_PT11_llS6_llS4_PT12_llPT13_lli.uses_flat_scratch, 0
	.set _ZN12_GLOBAL__N_127rocblas_gemm_batched_kernelI19rocblas_complex_numIdELi16ELi16ELi32ELi32ELi8ELi32ELi8ELi8ELi32ELc78ELc67EKS2_S3_S2_EEvlllT_PT11_llS6_llS4_PT12_llPT13_lli.has_dyn_sized_stack, 0
	.set _ZN12_GLOBAL__N_127rocblas_gemm_batched_kernelI19rocblas_complex_numIdELi16ELi16ELi32ELi32ELi8ELi32ELi8ELi8ELi32ELc78ELc67EKS2_S3_S2_EEvlllT_PT11_llS6_llS4_PT12_llPT13_lli.has_recursion, 0
	.set _ZN12_GLOBAL__N_127rocblas_gemm_batched_kernelI19rocblas_complex_numIdELi16ELi16ELi32ELi32ELi8ELi32ELi8ELi8ELi32ELc78ELc67EKS2_S3_S2_EEvlllT_PT11_llS6_llS4_PT12_llPT13_lli.has_indirect_call, 0
	.section	.AMDGPU.csdata,"",@progbits
; Kernel info:
; codeLenInByte = 3196
; TotalNumSgprs: 54
; NumVgprs: 126
; ScratchSize: 0
; MemoryBound: 0
; FloatMode: 240
; IeeeMode: 1
; LDSByteSize: 8192 bytes/workgroup (compile time only)
; SGPRBlocks: 0
; VGPRBlocks: 15
; NumSGPRsForWavesPerEU: 54
; NumVGPRsForWavesPerEU: 126
; Occupancy: 10
; WaveLimiterHint : 1
; COMPUTE_PGM_RSRC2:SCRATCH_EN: 0
; COMPUTE_PGM_RSRC2:USER_SGPR: 2
; COMPUTE_PGM_RSRC2:TRAP_HANDLER: 0
; COMPUTE_PGM_RSRC2:TGID_X_EN: 1
; COMPUTE_PGM_RSRC2:TGID_Y_EN: 1
; COMPUTE_PGM_RSRC2:TGID_Z_EN: 1
; COMPUTE_PGM_RSRC2:TIDIG_COMP_CNT: 1
	.section	.text._ZN12_GLOBAL__N_127rocblas_gemm_batched_kernelI19rocblas_complex_numIdELi16ELi16ELi32ELi32ELi8ELi32ELi8ELi8ELi32ELc84ELc67EKS2_S3_S2_EEvlllT_PT11_llS6_llS4_PT12_llPT13_lli,"axG",@progbits,_ZN12_GLOBAL__N_127rocblas_gemm_batched_kernelI19rocblas_complex_numIdELi16ELi16ELi32ELi32ELi8ELi32ELi8ELi8ELi32ELc84ELc67EKS2_S3_S2_EEvlllT_PT11_llS6_llS4_PT12_llPT13_lli,comdat
	.globl	_ZN12_GLOBAL__N_127rocblas_gemm_batched_kernelI19rocblas_complex_numIdELi16ELi16ELi32ELi32ELi8ELi32ELi8ELi8ELi32ELc84ELc67EKS2_S3_S2_EEvlllT_PT11_llS6_llS4_PT12_llPT13_lli ; -- Begin function _ZN12_GLOBAL__N_127rocblas_gemm_batched_kernelI19rocblas_complex_numIdELi16ELi16ELi32ELi32ELi8ELi32ELi8ELi8ELi32ELc84ELc67EKS2_S3_S2_EEvlllT_PT11_llS6_llS4_PT12_llPT13_lli
	.p2align	8
	.type	_ZN12_GLOBAL__N_127rocblas_gemm_batched_kernelI19rocblas_complex_numIdELi16ELi16ELi32ELi32ELi8ELi32ELi8ELi8ELi32ELc84ELc67EKS2_S3_S2_EEvlllT_PT11_llS6_llS4_PT12_llPT13_lli,@function
_ZN12_GLOBAL__N_127rocblas_gemm_batched_kernelI19rocblas_complex_numIdELi16ELi16ELi32ELi32ELi8ELi32ELi8ELi8ELi32ELc84ELc67EKS2_S3_S2_EEvlllT_PT11_llS6_llS4_PT12_llPT13_lli: ; @_ZN12_GLOBAL__N_127rocblas_gemm_batched_kernelI19rocblas_complex_numIdELi16ELi16ELi32ELi32ELi8ELi32ELi8ELi8ELi32ELc84ELc67EKS2_S3_S2_EEvlllT_PT11_llS6_llS4_PT12_llPT13_lli
; %bb.0:
	s_load_b32 s26, s[0:1], 0x98
	s_lshr_b32 s2, ttmp7, 16
	s_wait_kmcnt 0x0
	s_cmp_ge_i32 s2, s26
	s_cbranch_scc1 .LBB135_11
; %bb.1:
	s_clause 0x2
	s_load_b512 s[4:19], s[0:1], 0x50
	s_load_b512 s[36:51], s[0:1], 0x10
	s_load_b64 s[20:21], s[0:1], 0x90
	v_and_b32_e32 v13, 0x3ff, v0
	v_bfe_u32 v2, v0, 10, 10
	s_mov_b32 s22, ttmp9
	s_ashr_i32 s23, ttmp9, 31
	s_lshl_b32 s24, ttmp7, 5
	s_lshl_b64 s[0:1], s[22:23], 5
	v_lshl_add_u32 v3, v2, 4, v13
	s_and_b32 s22, s24, 0x1fffe0
	v_lshl_add_u32 v29, v2, 7, 0x1000
	v_add_nc_u32_e32 v12, s22, v2
	s_mov_b32 s3, 0
	v_lshrrev_b32_e32 v9, 3, v3
	v_and_b32_e32 v11, 31, v3
	v_lshrrev_b32_e32 v14, 5, v3
	s_delay_alu instid0(VALU_DEP_2) | instskip(SKIP_4) | instid1(VALU_DEP_1)
	v_or_b32_e32 v3, s0, v11
	s_wait_kmcnt 0x0
	v_mad_co_u64_u32 v[6:7], null, v12, s12, 0
	v_and_b32_e32 v10, 7, v0
	v_add_co_u32 v0, s25, v9, s22
	v_add_co_ci_u32_e64 v1, null, 0, 0, s25
	s_delay_alu instid0(VALU_DEP_3)
	v_lshlrev_b32_e32 v8, 4, v10
	v_mul_lo_u32 v17, s45, v3
	v_cmp_eq_f64_e64 s23, s[6:7], 0
	v_cmp_eq_f64_e64 s24, s[8:9], 0
	v_lshlrev_b32_e32 v15, 4, v11
	v_lshl_or_b32 v16, v9, 7, v8
	v_mad_co_u64_u32 v[8:9], null, s44, v3, 0
	v_mov_b32_e32 v3, v7
	v_mad_co_u64_u32 v[4:5], null, s50, v10, v[0:1]
	v_mad_co_u64_u32 v[0:1], null, v12, s18, 0
	v_lshl_or_b32 v30, v14, 9, v15
	v_add_nc_u32_e32 v31, 0x1000, v16
	s_lshl_b64 s[4:5], s[4:5], 4
	s_delay_alu instid0(VALU_DEP_4) | instskip(NEXT) | instid1(VALU_DEP_1)
	v_mov_b32_e32 v2, v5
	v_mad_co_u64_u32 v[10:11], null, s51, v10, v[2:3]
	v_mad_co_u64_u32 v[1:2], null, v12, s19, v[1:2]
	;; [unrolled: 1-line block ×3, first 2 shown]
	v_add_co_u32 v2, s0, s0, v13
	s_wait_alu 0xf1ff
	v_add_co_ci_u32_e64 v3, null, s1, 0, s0
	s_mul_i32 s0, s44, s1
	v_dual_mov_b32 v5, v10 :: v_dual_lshlrev_b32 v28, 4, v13
	v_mov_b32_e32 v7, v11
	s_wait_alu 0xfffe
	v_add3_u32 v9, v9, s0, v17
	v_lshlrev_b32_e32 v10, 4, v14
	v_cmp_gt_i64_e64 s0, s[36:37], 0
	v_lshlrev_b64_e32 v[6:7], 4, v[6:7]
	s_delay_alu instid0(VALU_DEP_4)
	v_lshlrev_b64_e32 v[8:9], 4, v[8:9]
	s_and_b32 s1, s23, s24
	s_lshl_b64 s[22:23], s[18:19], 4
	s_lshl_b64 s[18:19], s[12:13], 4
	;; [unrolled: 1-line block ×3, first 2 shown]
	v_add_co_u32 v32, vcc_lo, s10, v6
	s_delay_alu instid0(VALU_DEP_1) | instskip(SKIP_4) | instid1(VALU_DEP_3)
	v_add_co_ci_u32_e64 v33, null, s11, v7, vcc_lo
	v_add_co_u32 v8, vcc_lo, v8, v10
	v_lshlrev_b64_e32 v[6:7], 4, v[4:5]
	s_wait_alu 0xfffd
	v_add_co_ci_u32_e64 v9, null, 0, v9, vcc_lo
	v_add_co_u32 v4, vcc_lo, s42, v8
	v_cndmask_b32_e64 v8, 0, 1, s0
	s_wait_alu 0xfffd
	s_delay_alu instid0(VALU_DEP_3) | instskip(SKIP_4) | instid1(VALU_DEP_3)
	v_add_co_ci_u32_e64 v5, null, s43, v9, vcc_lo
	v_add_co_u32 v6, vcc_lo, s48, v6
	s_wait_alu 0xfffd
	v_add_co_ci_u32_e64 v7, null, s49, v7, vcc_lo
	v_cmp_ne_u32_e64 s0, 1, v8
	v_add_co_u32 v6, vcc_lo, v6, 8
	s_wait_alu 0xfffd
	s_delay_alu instid0(VALU_DEP_3)
	v_add_co_ci_u32_e64 v7, null, 0, v7, vcc_lo
	s_lshl_b64 s[10:11], s[46:47], 4
	s_wait_alu 0xfffe
	s_lshl_b64 s[18:19], s[18:19], 4
	s_lshl_b64 s[22:23], s[22:23], 4
	s_branch .LBB135_3
.LBB135_2:                              ;   in Loop: Header=BB135_3 Depth=1
	s_add_co_i32 s2, s2, 0x10000
	global_store_b64 v[10:11], v[8:9], off offset:8
	s_wait_alu 0xfffe
	s_cmp_lt_i32 s2, s26
	s_cbranch_scc0 .LBB135_11
.LBB135_3:                              ; =>This Loop Header: Depth=1
                                        ;     Child Loop BB135_5 Depth 2
	s_and_b32 vcc_lo, exec_lo, s0
	s_wait_alu 0xfffe
	s_cbranch_vccnz .LBB135_6
; %bb.4:                                ;   in Loop: Header=BB135_3 Depth=1
	v_mad_co_u64_u32 v[8:9], null, s10, s2, v[4:5]
	v_mad_co_u64_u32 v[10:11], null, s4, s2, v[6:7]
	v_mov_b32_e32 v14, 0
	v_dual_mov_b32 v15, 0 :: v_dual_mov_b32 v12, 0
	v_dual_mov_b32 v13, 0 :: v_dual_mov_b32 v18, 0
	v_mov_b32_e32 v22, 0
	v_mad_co_u64_u32 v[34:35], null, s11, s2, v[9:10]
	s_delay_alu instid0(VALU_DEP_4)
	v_mad_co_u64_u32 v[35:36], null, s5, s2, v[11:12]
	v_dual_mov_b32 v26, 0 :: v_dual_mov_b32 v19, 0
	v_dual_mov_b32 v16, 0 :: v_dual_mov_b32 v23, 0
	v_dual_mov_b32 v20, 0 :: v_dual_mov_b32 v27, 0
	v_dual_mov_b32 v24, 0 :: v_dual_mov_b32 v17, 0
	v_mov_b32_e32 v21, 0
	v_mov_b32_e32 v25, 0
	;; [unrolled: 1-line block ×4, first 2 shown]
	s_mov_b64 s[24:25], 0
.LBB135_5:                              ;   Parent Loop BB135_3 Depth=1
                                        ; =>  This Inner Loop Header: Depth=2
	global_load_b128 v[34:37], v[10:11], off offset:-8
	global_load_b128 v[38:41], v[8:9], off
	s_wait_alu 0xfffe
	s_add_nc_u64 s[24:25], s[24:25], 8
	v_add_co_u32 v8, vcc_lo, 0x80, v8
	s_wait_alu 0xfffe
	v_cmp_lt_i64_e64 s27, s[24:25], s[36:37]
	s_wait_alu 0xfffd
	v_add_co_ci_u32_e64 v9, null, 0, v9, vcc_lo
	v_add_co_u32 v10, vcc_lo, v10, s12
	s_wait_alu 0xfffd
	v_add_co_ci_u32_e64 v11, null, s13, v11, vcc_lo
	s_and_b32 vcc_lo, exec_lo, s27
	s_wait_loadcnt 0x1
	v_xor_b32_e32 v37, 0x80000000, v37
	s_wait_loadcnt 0x0
	ds_store_2addr_b64 v30, v[38:39], v[40:41] offset1:1
	ds_store_b128 v31, v[34:37]
	s_wait_dscnt 0x0
	s_barrier_signal -1
	s_barrier_wait -1
	global_inv scope:SCOPE_SE
	ds_load_b128 v[34:37], v29
	ds_load_b128 v[38:41], v28
	ds_load_b128 v[42:45], v28 offset:256
	ds_load_b128 v[46:49], v29 offset:2048
	ds_load_b128 v[50:53], v29 offset:16
	ds_load_b128 v[54:57], v28 offset:512
	ds_load_b128 v[58:61], v29 offset:2064
	ds_load_b128 v[62:65], v28 offset:768
	ds_load_b128 v[66:69], v29 offset:32
	ds_load_b128 v[70:73], v29 offset:48
	ds_load_b128 v[74:77], v28 offset:1024
	ds_load_b128 v[78:81], v28 offset:1280
	ds_load_b128 v[82:85], v28 offset:1536
	ds_load_b128 v[86:89], v29 offset:2080
	ds_load_b128 v[90:93], v29 offset:2096
	s_wait_dscnt 0xd
	v_mul_f64_e32 v[94:95], v[36:37], v[40:41]
	v_mul_f64_e32 v[96:97], v[34:35], v[40:41]
	s_wait_dscnt 0xc
	v_mul_f64_e32 v[98:99], v[36:37], v[44:45]
	v_mul_f64_e32 v[100:101], v[34:35], v[44:45]
	;; [unrolled: 3-line block ×3, first 2 shown]
	v_mul_f64_e32 v[104:105], v[48:49], v[44:45]
	v_mul_f64_e32 v[44:45], v[46:47], v[44:45]
	s_wait_dscnt 0x9
	v_mul_f64_e32 v[106:107], v[52:53], v[56:57]
	v_mul_f64_e32 v[108:109], v[50:51], v[56:57]
	s_wait_dscnt 0x7
	v_mul_f64_e32 v[110:111], v[52:53], v[64:65]
	v_mul_f64_e32 v[112:113], v[50:51], v[64:65]
	;; [unrolled: 1-line block ×6, first 2 shown]
	s_wait_dscnt 0x3
	v_mul_f64_e32 v[120:121], v[66:67], v[80:81]
	s_wait_dscnt 0x1
	v_mul_f64_e32 v[122:123], v[88:89], v[76:77]
	v_mul_f64_e32 v[124:125], v[88:89], v[80:81]
	v_fma_f64 v[94:95], v[34:35], v[38:39], -v[94:95]
	v_fma_f64 v[96:97], v[36:37], v[38:39], v[96:97]
	v_fma_f64 v[98:99], v[34:35], v[42:43], -v[98:99]
	v_fma_f64 v[100:101], v[36:37], v[42:43], v[100:101]
	;; [unrolled: 2-line block ×4, first 2 shown]
	v_mul_f64_e32 v[44:45], v[68:69], v[76:77]
	v_mul_f64_e32 v[48:49], v[66:67], v[76:77]
	;; [unrolled: 1-line block ×5, first 2 shown]
	v_fma_f64 v[106:107], v[50:51], v[54:55], -v[106:107]
	v_fma_f64 v[108:109], v[52:53], v[54:55], v[108:109]
	v_fma_f64 v[50:51], v[50:51], v[62:63], -v[110:111]
	v_fma_f64 v[52:53], v[52:53], v[62:63], v[112:113]
	;; [unrolled: 2-line block ×4, first 2 shown]
	ds_load_b128 v[34:37], v28 offset:1792
	ds_load_b128 v[38:41], v29 offset:64
	v_mul_f64_e32 v[64:65], v[72:73], v[84:85]
	v_add_f64_e32 v[24:25], v[24:25], v[94:95]
	v_add_f64_e32 v[26:27], v[96:97], v[26:27]
	;; [unrolled: 1-line block ×8, first 2 shown]
	v_mul_f64_e32 v[94:95], v[70:71], v[84:85]
	s_wait_dscnt 0x1
	v_mul_f64_e32 v[96:97], v[72:73], v[36:37]
	v_mul_f64_e32 v[98:99], v[70:71], v[36:37]
	;; [unrolled: 1-line block ×6, first 2 shown]
	v_fma_f64 v[112:113], v[66:67], v[74:75], -v[44:45]
	v_fma_f64 v[114:115], v[68:69], v[74:75], v[48:49]
	v_fma_f64 v[66:67], v[66:67], v[78:79], -v[104:105]
	v_fma_f64 v[68:69], v[68:69], v[78:79], v[120:121]
	;; [unrolled: 2-line block ×4, first 2 shown]
	ds_load_b128 v[12:15], v28 offset:2048
	ds_load_b128 v[16:19], v28 offset:2304
	v_fma_f64 v[64:65], v[70:71], v[82:83], -v[64:65]
	v_add_f64_e32 v[80:81], v[24:25], v[106:107]
	v_add_f64_e32 v[86:87], v[108:109], v[26:27]
	;; [unrolled: 1-line block ×8, first 2 shown]
	ds_load_b128 v[20:23], v29 offset:2112
	ds_load_b128 v[24:27], v29 offset:80
	;; [unrolled: 1-line block ×4, first 2 shown]
	s_wait_dscnt 0x5
	v_mul_f64_e32 v[62:63], v[40:41], v[14:15]
	v_mul_f64_e32 v[88:89], v[38:39], v[14:15]
	s_wait_dscnt 0x4
	v_mul_f64_e32 v[106:107], v[40:41], v[18:19]
	v_mul_f64_e32 v[108:109], v[38:39], v[18:19]
	v_fma_f64 v[94:95], v[72:73], v[82:83], v[94:95]
	v_fma_f64 v[70:71], v[70:71], v[34:35], -v[96:97]
	v_fma_f64 v[72:73], v[72:73], v[34:35], v[98:99]
	v_fma_f64 v[96:97], v[90:91], v[82:83], -v[100:101]
	;; [unrolled: 2-line block ×3, first 2 shown]
	v_fma_f64 v[90:91], v[92:93], v[34:35], v[36:37]
	s_wait_dscnt 0x3
	v_mul_f64_e32 v[110:111], v[22:23], v[14:15]
	v_mul_f64_e32 v[14:15], v[20:21], v[14:15]
	v_mul_f64_e32 v[116:117], v[22:23], v[18:19]
	v_mul_f64_e32 v[18:19], v[20:21], v[18:19]
	s_wait_dscnt 0x1
	v_mul_f64_e32 v[98:99], v[26:27], v[44:45]
	v_mul_f64_e32 v[100:101], v[24:25], v[44:45]
	v_add_f64_e32 v[80:81], v[80:81], v[112:113]
	v_add_f64_e32 v[86:87], v[114:115], v[86:87]
	;; [unrolled: 1-line block ×8, first 2 shown]
	ds_load_b128 v[34:37], v28 offset:2816
	ds_load_b128 v[50:53], v29 offset:96
	;; [unrolled: 1-line block ×4, first 2 shown]
	s_wait_dscnt 0x4
	v_mul_f64_e32 v[112:113], v[48:49], v[44:45]
	v_mul_f64_e32 v[44:45], v[46:47], v[44:45]
	v_fma_f64 v[62:63], v[38:39], v[12:13], -v[62:63]
	v_fma_f64 v[88:89], v[40:41], v[12:13], v[88:89]
	v_fma_f64 v[106:107], v[38:39], v[16:17], -v[106:107]
	v_fma_f64 v[40:41], v[40:41], v[16:17], v[108:109]
	s_wait_dscnt 0x3
	v_mul_f64_e32 v[102:103], v[26:27], v[36:37]
	v_mul_f64_e32 v[104:105], v[24:25], v[36:37]
	;; [unrolled: 1-line block ×4, first 2 shown]
	v_fma_f64 v[108:109], v[20:21], v[12:13], -v[110:111]
	v_fma_f64 v[110:111], v[22:23], v[12:13], v[14:15]
	v_fma_f64 v[116:117], v[20:21], v[16:17], -v[116:117]
	v_fma_f64 v[120:121], v[22:23], v[16:17], v[18:19]
	ds_load_b128 v[12:15], v29 offset:2144
	ds_load_b128 v[16:19], v29 offset:112
	;; [unrolled: 1-line block ×4, first 2 shown]
	v_add_f64_e32 v[64:65], v[80:81], v[64:65]
	v_add_f64_e32 v[80:81], v[94:95], v[86:87]
	v_add_f64_e32 v[66:67], v[66:67], v[70:71]
	v_add_f64_e32 v[68:69], v[72:73], v[68:69]
	v_add_f64_e32 v[70:71], v[92:93], v[96:97]
	v_add_f64_e32 v[72:73], v[82:83], v[74:75]
	v_add_f64_e32 v[74:75], v[76:77], v[84:85]
	v_add_f64_e32 v[76:77], v[90:91], v[78:79]
	s_wait_dscnt 0x5
	v_mul_f64_e32 v[78:79], v[52:53], v[56:57]
	v_mul_f64_e32 v[82:83], v[50:51], v[56:57]
	s_wait_dscnt 0x4
	v_mul_f64_e32 v[84:85], v[52:53], v[60:61]
	v_mul_f64_e32 v[86:87], v[50:51], v[60:61]
	;; [unrolled: 3-line block ×3, first 2 shown]
	v_mul_f64_e32 v[92:93], v[14:15], v[60:61]
	v_mul_f64_e32 v[60:61], v[12:13], v[60:61]
	v_fma_f64 v[94:95], v[24:25], v[42:43], -v[98:99]
	v_fma_f64 v[96:97], v[26:27], v[42:43], v[100:101]
	v_fma_f64 v[98:99], v[24:25], v[34:35], -v[102:103]
	v_fma_f64 v[100:101], v[26:27], v[34:35], v[104:105]
	;; [unrolled: 2-line block ×4, first 2 shown]
	ds_load_b128 v[24:27], v28 offset:3840
	s_wait_loadcnt_dscnt 0x0
	s_barrier_signal -1
	s_barrier_wait -1
	global_inv scope:SCOPE_SE
	v_add_f64_e32 v[46:47], v[64:65], v[62:63]
	v_add_f64_e32 v[48:49], v[88:89], v[80:81]
	v_add_f64_e32 v[62:63], v[66:67], v[106:107]
	v_add_f64_e32 v[40:41], v[40:41], v[68:69]
	v_add_f64_e32 v[64:65], v[70:71], v[108:109]
	v_add_f64_e32 v[66:67], v[110:111], v[72:73]
	v_add_f64_e32 v[68:69], v[74:75], v[116:117]
	v_add_f64_e32 v[70:71], v[120:121], v[76:77]
	v_mul_f64_e32 v[72:73], v[18:19], v[22:23]
	v_mul_f64_e32 v[74:75], v[16:17], v[22:23]
	;; [unrolled: 1-line block ×4, first 2 shown]
	v_fma_f64 v[78:79], v[50:51], v[54:55], -v[78:79]
	v_mul_f64_e32 v[76:77], v[18:19], v[26:27]
	v_mul_f64_e32 v[80:81], v[16:17], v[26:27]
	v_mul_f64_e32 v[104:105], v[38:39], v[26:27]
	v_mul_f64_e32 v[26:27], v[36:37], v[26:27]
	v_fma_f64 v[82:83], v[52:53], v[54:55], v[82:83]
	v_fma_f64 v[50:51], v[50:51], v[58:59], -v[84:85]
	v_fma_f64 v[52:53], v[52:53], v[58:59], v[86:87]
	v_fma_f64 v[84:85], v[12:13], v[54:55], -v[90:91]
	v_fma_f64 v[54:55], v[14:15], v[54:55], v[56:57]
	v_fma_f64 v[12:13], v[12:13], v[58:59], -v[92:93]
	v_fma_f64 v[14:15], v[14:15], v[58:59], v[60:61]
	v_add_f64_e32 v[46:47], v[46:47], v[94:95]
	v_add_f64_e32 v[48:49], v[96:97], v[48:49]
	;; [unrolled: 1-line block ×8, first 2 shown]
	v_fma_f64 v[60:61], v[16:17], v[20:21], -v[72:73]
	v_fma_f64 v[62:63], v[18:19], v[20:21], v[74:75]
	v_fma_f64 v[64:65], v[36:37], v[20:21], -v[88:89]
	v_fma_f64 v[66:67], v[38:39], v[20:21], v[22:23]
	;; [unrolled: 2-line block ×4, first 2 shown]
	v_add_f64_e32 v[20:21], v[46:47], v[78:79]
	v_add_f64_e32 v[22:23], v[82:83], v[48:49]
	;; [unrolled: 1-line block ×16, first 2 shown]
	s_wait_alu 0xfffe
	s_cbranch_vccnz .LBB135_5
	s_branch .LBB135_7
.LBB135_6:                              ;   in Loop: Header=BB135_3 Depth=1
	v_mov_b32_e32 v24, 0
	v_mov_b32_e32 v20, 0
	;; [unrolled: 1-line block ×3, first 2 shown]
	v_dual_mov_b32 v12, 0 :: v_dual_mov_b32 v25, 0
	v_dual_mov_b32 v26, 0 :: v_dual_mov_b32 v21, 0
	;; [unrolled: 1-line block ×5, first 2 shown]
	v_mov_b32_e32 v23, 0
	v_mov_b32_e32 v19, 0
	;; [unrolled: 1-line block ×3, first 2 shown]
.LBB135_7:                              ;   in Loop: Header=BB135_3 Depth=1
	s_mul_u64 s[24:25], s[20:21], s[2:3]
	s_and_not1_b32 vcc_lo, exec_lo, s1
	s_wait_alu 0xfffe
	s_lshl_b64 s[24:25], s[24:25], 4
	s_mov_b32 s27, -1
	s_wait_alu 0xfffe
	s_add_nc_u64 s[24:25], s[16:17], s[24:25]
                                        ; implicit-def: $vgpr8_vgpr9
                                        ; implicit-def: $vgpr10_vgpr11
	s_cbranch_vccz .LBB135_9
; %bb.8:                                ;   in Loop: Header=BB135_3 Depth=1
	s_and_not1_b32 vcc_lo, exec_lo, s27
	s_wait_alu 0xfffe
	s_cbranch_vccnz .LBB135_2
	s_branch .LBB135_10
.LBB135_9:                              ;   in Loop: Header=BB135_3 Depth=1
	v_mul_f64_e32 v[8:9], s[40:41], v[26:27]
	v_mul_f64_e32 v[10:11], s[38:39], v[26:27]
	s_delay_alu instid0(VALU_DEP_3)
	v_mul_f64_e32 v[48:49], s[38:39], v[14:15]
	v_mul_f64_e32 v[38:39], s[40:41], v[22:23]
	;; [unrolled: 1-line block ×6, first 2 shown]
	v_fma_f64 v[34:35], s[38:39], v[24:25], -v[8:9]
	v_fma_f64 v[36:37], s[40:41], v[24:25], v[10:11]
	v_fma_f64 v[8:9], s[40:41], v[12:13], v[48:49]
	v_fma_f64 v[38:39], s[38:39], v[20:21], -v[38:39]
	v_fma_f64 v[40:41], s[40:41], v[20:21], v[40:41]
	v_fma_f64 v[42:43], s[38:39], v[16:17], -v[42:43]
	v_fma_f64 v[44:45], s[40:41], v[16:17], v[44:45]
	v_fma_f64 v[46:47], s[38:39], v[12:13], -v[46:47]
	v_lshlrev_b64_e32 v[10:11], 4, v[0:1]
	s_wait_alu 0xfffe
	s_delay_alu instid0(VALU_DEP_1) | instskip(SKIP_1) | instid1(VALU_DEP_2)
	v_add_co_u32 v50, vcc_lo, s24, v10
	s_wait_alu 0xfffd
	v_add_co_ci_u32_e64 v51, null, s25, v11, vcc_lo
	v_lshlrev_b64_e32 v[10:11], 4, v[2:3]
	s_delay_alu instid0(VALU_DEP_3) | instskip(SKIP_1) | instid1(VALU_DEP_3)
	v_add_co_u32 v48, vcc_lo, v50, s22
	s_wait_alu 0xfffd
	v_add_co_ci_u32_e64 v49, null, s23, v51, vcc_lo
	s_delay_alu instid0(VALU_DEP_2) | instskip(SKIP_1) | instid1(VALU_DEP_2)
	v_add_co_u32 v48, vcc_lo, v48, v10
	s_wait_alu 0xfffd
	v_add_co_ci_u32_e64 v49, null, v49, v11, vcc_lo
	v_add_co_u32 v50, vcc_lo, v50, v10
	s_wait_alu 0xfffd
	v_add_co_ci_u32_e64 v51, null, v51, v11, vcc_lo
	;; [unrolled: 3-line block ×3, first 2 shown]
	s_clause 0x3
	global_store_b128 v[50:51], v[34:37], off
	global_store_b128 v[50:51], v[38:41], off offset:256
	global_store_b128 v[48:49], v[42:45], off
	global_store_b64 v[48:49], v[46:47], off offset:256
	s_cbranch_execnz .LBB135_2
.LBB135_10:                             ;   in Loop: Header=BB135_3 Depth=1
	s_mul_u64 s[28:29], s[14:15], s[2:3]
	v_lshlrev_b64_e32 v[34:35], 4, v[2:3]
	s_wait_alu 0xfffe
	s_lshl_b64 s[28:29], s[28:29], 4
	v_mul_f64_e32 v[38:39], s[40:41], v[26:27]
	s_wait_alu 0xfffe
	v_add_co_u32 v42, vcc_lo, v32, s28
	s_wait_alu 0xfffd
	v_add_co_ci_u32_e64 v43, null, s29, v33, vcc_lo
	v_mul_f64_e32 v[26:27], s[38:39], v[26:27]
	s_delay_alu instid0(VALU_DEP_3) | instskip(SKIP_1) | instid1(VALU_DEP_3)
	v_add_co_u32 v36, vcc_lo, v42, v34
	s_wait_alu 0xfffd
	v_add_co_ci_u32_e64 v37, null, v43, v35, vcc_lo
	global_load_b128 v[8:11], v[36:37], off
	v_fma_f64 v[38:39], s[38:39], v[24:25], -v[38:39]
	v_fma_f64 v[24:25], s[40:41], v[24:25], v[26:27]
	s_wait_loadcnt 0x0
	v_mul_f64_e32 v[40:41], s[8:9], v[10:11]
	v_mul_f64_e32 v[10:11], s[6:7], v[10:11]
	s_delay_alu instid0(VALU_DEP_2) | instskip(NEXT) | instid1(VALU_DEP_2)
	v_fma_f64 v[26:27], s[6:7], v[8:9], -v[40:41]
	v_fma_f64 v[10:11], s[8:9], v[8:9], v[10:11]
	s_delay_alu instid0(VALU_DEP_2) | instskip(NEXT) | instid1(VALU_DEP_2)
	v_add_f64_e32 v[8:9], v[38:39], v[26:27]
	v_add_f64_e32 v[10:11], v[24:25], v[10:11]
	v_lshlrev_b64_e32 v[24:25], 4, v[0:1]
	v_mul_f64_e32 v[26:27], s[40:41], v[22:23]
	v_mul_f64_e32 v[22:23], s[38:39], v[22:23]
	s_delay_alu instid0(VALU_DEP_3) | instskip(SKIP_1) | instid1(VALU_DEP_4)
	v_add_co_u32 v38, vcc_lo, s24, v24
	s_wait_alu 0xfffd
	v_add_co_ci_u32_e64 v39, null, s25, v25, vcc_lo
	s_delay_alu instid0(VALU_DEP_2) | instskip(SKIP_1) | instid1(VALU_DEP_2)
	v_add_co_u32 v24, vcc_lo, v38, v34
	s_wait_alu 0xfffd
	v_add_co_ci_u32_e64 v25, null, v39, v35, vcc_lo
	global_store_b128 v[24:25], v[8:11], off
	global_load_b128 v[8:11], v[36:37], off offset:256
	v_fma_f64 v[26:27], s[38:39], v[20:21], -v[26:27]
	v_fma_f64 v[20:21], s[40:41], v[20:21], v[22:23]
	s_wait_loadcnt 0x0
	v_mul_f64_e32 v[36:37], s[8:9], v[10:11]
	v_mul_f64_e32 v[10:11], s[6:7], v[10:11]
	s_delay_alu instid0(VALU_DEP_2) | instskip(NEXT) | instid1(VALU_DEP_2)
	v_fma_f64 v[22:23], s[6:7], v[8:9], -v[36:37]
	v_fma_f64 v[10:11], s[8:9], v[8:9], v[10:11]
	s_delay_alu instid0(VALU_DEP_2) | instskip(NEXT) | instid1(VALU_DEP_2)
	v_add_f64_e32 v[8:9], v[26:27], v[22:23]
	v_add_f64_e32 v[10:11], v[20:21], v[10:11]
	v_add_co_u32 v20, vcc_lo, v42, s18
	s_wait_alu 0xfffd
	v_add_co_ci_u32_e64 v21, null, s19, v43, vcc_lo
	v_mul_f64_e32 v[22:23], s[40:41], v[18:19]
	s_delay_alu instid0(VALU_DEP_3) | instskip(SKIP_1) | instid1(VALU_DEP_3)
	v_add_co_u32 v20, vcc_lo, v20, v34
	s_wait_alu 0xfffd
	v_add_co_ci_u32_e64 v21, null, v21, v35, vcc_lo
	v_mul_f64_e32 v[18:19], s[38:39], v[18:19]
	global_store_b128 v[24:25], v[8:11], off offset:256
	global_load_b128 v[8:11], v[20:21], off
	v_fma_f64 v[22:23], s[38:39], v[16:17], -v[22:23]
	v_fma_f64 v[16:17], s[40:41], v[16:17], v[18:19]
	s_wait_loadcnt 0x0
	v_mul_f64_e32 v[24:25], s[8:9], v[10:11]
	v_mul_f64_e32 v[10:11], s[6:7], v[10:11]
	s_delay_alu instid0(VALU_DEP_2) | instskip(NEXT) | instid1(VALU_DEP_2)
	v_fma_f64 v[18:19], s[6:7], v[8:9], -v[24:25]
	v_fma_f64 v[10:11], s[8:9], v[8:9], v[10:11]
	s_delay_alu instid0(VALU_DEP_2) | instskip(NEXT) | instid1(VALU_DEP_2)
	v_add_f64_e32 v[8:9], v[22:23], v[18:19]
	v_add_f64_e32 v[10:11], v[16:17], v[10:11]
	v_add_co_u32 v16, vcc_lo, v38, s22
	s_wait_alu 0xfffd
	v_add_co_ci_u32_e64 v17, null, s23, v39, vcc_lo
	v_mul_f64_e32 v[18:19], s[40:41], v[14:15]
	s_delay_alu instid0(VALU_DEP_3) | instskip(SKIP_1) | instid1(VALU_DEP_3)
	v_add_co_u32 v16, vcc_lo, v16, v34
	s_wait_alu 0xfffd
	v_add_co_ci_u32_e64 v17, null, v17, v35, vcc_lo
	v_mul_f64_e32 v[14:15], s[38:39], v[14:15]
	global_store_b128 v[16:17], v[8:11], off
	global_load_b128 v[8:11], v[20:21], off offset:256
	v_fma_f64 v[18:19], s[38:39], v[12:13], -v[18:19]
	v_fma_f64 v[12:13], s[40:41], v[12:13], v[14:15]
	s_wait_loadcnt 0x0
	v_mul_f64_e32 v[20:21], s[8:9], v[10:11]
	v_mul_f64_e32 v[10:11], s[6:7], v[10:11]
	s_delay_alu instid0(VALU_DEP_2) | instskip(NEXT) | instid1(VALU_DEP_2)
	v_fma_f64 v[14:15], s[6:7], v[8:9], -v[20:21]
	v_fma_f64 v[8:9], s[8:9], v[8:9], v[10:11]
	v_add_co_u32 v10, vcc_lo, 0x100, v16
	s_wait_alu 0xfffd
	v_add_co_ci_u32_e64 v11, null, 0, v17, vcc_lo
	s_delay_alu instid0(VALU_DEP_4) | instskip(NEXT) | instid1(VALU_DEP_4)
	v_add_f64_e32 v[14:15], v[18:19], v[14:15]
	v_add_f64_e32 v[8:9], v[12:13], v[8:9]
	global_store_b64 v[16:17], v[14:15], off offset:256
	s_branch .LBB135_2
.LBB135_11:
	s_nop 0
	s_sendmsg sendmsg(MSG_DEALLOC_VGPRS)
	s_endpgm
	.section	.rodata,"a",@progbits
	.p2align	6, 0x0
	.amdhsa_kernel _ZN12_GLOBAL__N_127rocblas_gemm_batched_kernelI19rocblas_complex_numIdELi16ELi16ELi32ELi32ELi8ELi32ELi8ELi8ELi32ELc84ELc67EKS2_S3_S2_EEvlllT_PT11_llS6_llS4_PT12_llPT13_lli
		.amdhsa_group_segment_fixed_size 8192
		.amdhsa_private_segment_fixed_size 0
		.amdhsa_kernarg_size 156
		.amdhsa_user_sgpr_count 2
		.amdhsa_user_sgpr_dispatch_ptr 0
		.amdhsa_user_sgpr_queue_ptr 0
		.amdhsa_user_sgpr_kernarg_segment_ptr 1
		.amdhsa_user_sgpr_dispatch_id 0
		.amdhsa_user_sgpr_private_segment_size 0
		.amdhsa_wavefront_size32 1
		.amdhsa_uses_dynamic_stack 0
		.amdhsa_enable_private_segment 0
		.amdhsa_system_sgpr_workgroup_id_x 1
		.amdhsa_system_sgpr_workgroup_id_y 1
		.amdhsa_system_sgpr_workgroup_id_z 1
		.amdhsa_system_sgpr_workgroup_info 0
		.amdhsa_system_vgpr_workitem_id 1
		.amdhsa_next_free_vgpr 126
		.amdhsa_next_free_sgpr 52
		.amdhsa_reserve_vcc 1
		.amdhsa_float_round_mode_32 0
		.amdhsa_float_round_mode_16_64 0
		.amdhsa_float_denorm_mode_32 3
		.amdhsa_float_denorm_mode_16_64 3
		.amdhsa_fp16_overflow 0
		.amdhsa_workgroup_processor_mode 1
		.amdhsa_memory_ordered 1
		.amdhsa_forward_progress 1
		.amdhsa_inst_pref_size 26
		.amdhsa_round_robin_scheduling 0
		.amdhsa_exception_fp_ieee_invalid_op 0
		.amdhsa_exception_fp_denorm_src 0
		.amdhsa_exception_fp_ieee_div_zero 0
		.amdhsa_exception_fp_ieee_overflow 0
		.amdhsa_exception_fp_ieee_underflow 0
		.amdhsa_exception_fp_ieee_inexact 0
		.amdhsa_exception_int_div_zero 0
	.end_amdhsa_kernel
	.section	.text._ZN12_GLOBAL__N_127rocblas_gemm_batched_kernelI19rocblas_complex_numIdELi16ELi16ELi32ELi32ELi8ELi32ELi8ELi8ELi32ELc84ELc67EKS2_S3_S2_EEvlllT_PT11_llS6_llS4_PT12_llPT13_lli,"axG",@progbits,_ZN12_GLOBAL__N_127rocblas_gemm_batched_kernelI19rocblas_complex_numIdELi16ELi16ELi32ELi32ELi8ELi32ELi8ELi8ELi32ELc84ELc67EKS2_S3_S2_EEvlllT_PT11_llS6_llS4_PT12_llPT13_lli,comdat
.Lfunc_end135:
	.size	_ZN12_GLOBAL__N_127rocblas_gemm_batched_kernelI19rocblas_complex_numIdELi16ELi16ELi32ELi32ELi8ELi32ELi8ELi8ELi32ELc84ELc67EKS2_S3_S2_EEvlllT_PT11_llS6_llS4_PT12_llPT13_lli, .Lfunc_end135-_ZN12_GLOBAL__N_127rocblas_gemm_batched_kernelI19rocblas_complex_numIdELi16ELi16ELi32ELi32ELi8ELi32ELi8ELi8ELi32ELc84ELc67EKS2_S3_S2_EEvlllT_PT11_llS6_llS4_PT12_llPT13_lli
                                        ; -- End function
	.set _ZN12_GLOBAL__N_127rocblas_gemm_batched_kernelI19rocblas_complex_numIdELi16ELi16ELi32ELi32ELi8ELi32ELi8ELi8ELi32ELc84ELc67EKS2_S3_S2_EEvlllT_PT11_llS6_llS4_PT12_llPT13_lli.num_vgpr, 126
	.set _ZN12_GLOBAL__N_127rocblas_gemm_batched_kernelI19rocblas_complex_numIdELi16ELi16ELi32ELi32ELi8ELi32ELi8ELi8ELi32ELc84ELc67EKS2_S3_S2_EEvlllT_PT11_llS6_llS4_PT12_llPT13_lli.num_agpr, 0
	.set _ZN12_GLOBAL__N_127rocblas_gemm_batched_kernelI19rocblas_complex_numIdELi16ELi16ELi32ELi32ELi8ELi32ELi8ELi8ELi32ELc84ELc67EKS2_S3_S2_EEvlllT_PT11_llS6_llS4_PT12_llPT13_lli.numbered_sgpr, 52
	.set _ZN12_GLOBAL__N_127rocblas_gemm_batched_kernelI19rocblas_complex_numIdELi16ELi16ELi32ELi32ELi8ELi32ELi8ELi8ELi32ELc84ELc67EKS2_S3_S2_EEvlllT_PT11_llS6_llS4_PT12_llPT13_lli.num_named_barrier, 0
	.set _ZN12_GLOBAL__N_127rocblas_gemm_batched_kernelI19rocblas_complex_numIdELi16ELi16ELi32ELi32ELi8ELi32ELi8ELi8ELi32ELc84ELc67EKS2_S3_S2_EEvlllT_PT11_llS6_llS4_PT12_llPT13_lli.private_seg_size, 0
	.set _ZN12_GLOBAL__N_127rocblas_gemm_batched_kernelI19rocblas_complex_numIdELi16ELi16ELi32ELi32ELi8ELi32ELi8ELi8ELi32ELc84ELc67EKS2_S3_S2_EEvlllT_PT11_llS6_llS4_PT12_llPT13_lli.uses_vcc, 1
	.set _ZN12_GLOBAL__N_127rocblas_gemm_batched_kernelI19rocblas_complex_numIdELi16ELi16ELi32ELi32ELi8ELi32ELi8ELi8ELi32ELc84ELc67EKS2_S3_S2_EEvlllT_PT11_llS6_llS4_PT12_llPT13_lli.uses_flat_scratch, 0
	.set _ZN12_GLOBAL__N_127rocblas_gemm_batched_kernelI19rocblas_complex_numIdELi16ELi16ELi32ELi32ELi8ELi32ELi8ELi8ELi32ELc84ELc67EKS2_S3_S2_EEvlllT_PT11_llS6_llS4_PT12_llPT13_lli.has_dyn_sized_stack, 0
	.set _ZN12_GLOBAL__N_127rocblas_gemm_batched_kernelI19rocblas_complex_numIdELi16ELi16ELi32ELi32ELi8ELi32ELi8ELi8ELi32ELc84ELc67EKS2_S3_S2_EEvlllT_PT11_llS6_llS4_PT12_llPT13_lli.has_recursion, 0
	.set _ZN12_GLOBAL__N_127rocblas_gemm_batched_kernelI19rocblas_complex_numIdELi16ELi16ELi32ELi32ELi8ELi32ELi8ELi8ELi32ELc84ELc67EKS2_S3_S2_EEvlllT_PT11_llS6_llS4_PT12_llPT13_lli.has_indirect_call, 0
	.section	.AMDGPU.csdata,"",@progbits
; Kernel info:
; codeLenInByte = 3228
; TotalNumSgprs: 54
; NumVgprs: 126
; ScratchSize: 0
; MemoryBound: 0
; FloatMode: 240
; IeeeMode: 1
; LDSByteSize: 8192 bytes/workgroup (compile time only)
; SGPRBlocks: 0
; VGPRBlocks: 15
; NumSGPRsForWavesPerEU: 54
; NumVGPRsForWavesPerEU: 126
; Occupancy: 10
; WaveLimiterHint : 1
; COMPUTE_PGM_RSRC2:SCRATCH_EN: 0
; COMPUTE_PGM_RSRC2:USER_SGPR: 2
; COMPUTE_PGM_RSRC2:TRAP_HANDLER: 0
; COMPUTE_PGM_RSRC2:TGID_X_EN: 1
; COMPUTE_PGM_RSRC2:TGID_Y_EN: 1
; COMPUTE_PGM_RSRC2:TGID_Z_EN: 1
; COMPUTE_PGM_RSRC2:TIDIG_COMP_CNT: 1
	.section	.text._ZN12_GLOBAL__N_135rocblas_gemm_batched_general_kernelI19rocblas_complex_numIdELi16ELi16ELi32ELi32ELi8ELi32ELi8ELi8ELi32ELc78ELc78EKS2_S3_S2_EEvlllT_PT11_llS6_llS4_PT12_llPT13_lli,"axG",@progbits,_ZN12_GLOBAL__N_135rocblas_gemm_batched_general_kernelI19rocblas_complex_numIdELi16ELi16ELi32ELi32ELi8ELi32ELi8ELi8ELi32ELc78ELc78EKS2_S3_S2_EEvlllT_PT11_llS6_llS4_PT12_llPT13_lli,comdat
	.globl	_ZN12_GLOBAL__N_135rocblas_gemm_batched_general_kernelI19rocblas_complex_numIdELi16ELi16ELi32ELi32ELi8ELi32ELi8ELi8ELi32ELc78ELc78EKS2_S3_S2_EEvlllT_PT11_llS6_llS4_PT12_llPT13_lli ; -- Begin function _ZN12_GLOBAL__N_135rocblas_gemm_batched_general_kernelI19rocblas_complex_numIdELi16ELi16ELi32ELi32ELi8ELi32ELi8ELi8ELi32ELc78ELc78EKS2_S3_S2_EEvlllT_PT11_llS6_llS4_PT12_llPT13_lli
	.p2align	8
	.type	_ZN12_GLOBAL__N_135rocblas_gemm_batched_general_kernelI19rocblas_complex_numIdELi16ELi16ELi32ELi32ELi8ELi32ELi8ELi8ELi32ELc78ELc78EKS2_S3_S2_EEvlllT_PT11_llS6_llS4_PT12_llPT13_lli,@function
_ZN12_GLOBAL__N_135rocblas_gemm_batched_general_kernelI19rocblas_complex_numIdELi16ELi16ELi32ELi32ELi8ELi32ELi8ELi8ELi32ELc78ELc78EKS2_S3_S2_EEvlllT_PT11_llS6_llS4_PT12_llPT13_lli: ; @_ZN12_GLOBAL__N_135rocblas_gemm_batched_general_kernelI19rocblas_complex_numIdELi16ELi16ELi32ELi32ELi8ELi32ELi8ELi8ELi32ELc78ELc78EKS2_S3_S2_EEvlllT_PT11_llS6_llS4_PT12_llPT13_lli
; %bb.0:
	s_load_b32 s33, s[0:1], 0x98
	s_lshr_b32 s6, ttmp7, 16
	s_wait_kmcnt 0x0
	s_cmp_ge_i32 s6, s33
	s_cbranch_scc1 .LBB136_39
; %bb.1:
	s_clause 0x3
	s_load_b512 s[8:23], s[0:1], 0x40
	s_load_b512 s[36:51], s[0:1], 0x0
	s_load_b64 s[28:29], s[0:1], 0x90
	s_load_b128 s[24:27], s[0:1], 0x80
	v_bfe_u32 v2, v0, 10, 10
	v_dual_mov_b32 v1, 0 :: v_dual_and_b32 v4, 0x3ff, v0
	s_and_b32 s2, ttmp7, 0xffff
	s_mov_b32 s30, ttmp9
	s_ashr_i32 s31, ttmp9, 31
	s_lshl_b32 s2, s2, 5
	v_lshl_add_u32 v7, v2, 4, v4
	s_lshl_b64 s[0:1], s[30:31], 5
	s_delay_alu instid0(SALU_CYCLE_1) | instskip(SKIP_1) | instid1(VALU_DEP_3)
	v_dual_mov_b32 v3, s1 :: v_dual_and_b32 v0, 7, v0
	v_add_co_u32 v9, s4, s2, v2
	v_and_b32_e32 v8, 31, v7
	v_lshrrev_b32_e32 v15, 3, v7
	v_lshl_add_u32 v34, v2, 7, 0x1000
	s_wait_kmcnt 0x0
	v_cmp_eq_f64_e64 s3, s[14:15], 0
	v_cmp_eq_f64_e64 s5, s[16:17], 0
	v_add_co_ci_u32_e64 v10, null, 0, 0, s4
	v_add_co_u32 v5, s4, s0, v4
	v_lshrrev_b32_e32 v35, 5, v7
	v_or_b32_e32 v2, s0, v8
	v_add_co_u32 v11, s0, v15, s2
	v_lshlrev_b32_e32 v20, 4, v8
	v_mad_co_u64_u32 v[7:8], null, v9, s26, 0
	v_lshlrev_b32_e32 v19, 4, v0
	s_wait_alu 0xf1ff
	v_add_co_ci_u32_e64 v6, null, s1, 0, s4
	v_lshlrev_b32_e32 v33, 4, v4
	v_add_co_u32 v13, vcc_lo, v5, 16
	v_lshl_or_b32 v4, v15, 7, v19
	v_mad_co_u64_u32 v[15:16], null, s10, v11, 0
	v_add_co_ci_u32_e64 v12, null, 0, 0, s0
	v_add_co_ci_u32_e64 v14, null, 0, v6, vcc_lo
	v_cmp_gt_i64_e32 vcc_lo, s[36:37], v[2:3]
	v_mad_co_u64_u32 v[2:3], null, v9, s20, 0
	s_delay_alu instid0(VALU_DEP_4) | instskip(NEXT) | instid1(VALU_DEP_4)
	v_cmp_gt_i64_e64 s4, s[38:39], v[11:12]
	v_cmp_gt_i64_e64 s2, s[36:37], v[13:14]
	v_mad_co_u64_u32 v[12:13], null, s48, v35, 0
	v_dual_mov_b32 v4, v8 :: v_dual_add_nc_u32 v37, 0x1000, v4
	v_mov_b32_e32 v8, v16
	v_cmp_gt_i64_e64 s0, s[38:39], v[9:10]
	v_cmp_gt_i64_e64 s1, s[36:37], v[5:6]
	v_lshl_or_b32 v36, v35, 9, v20
	v_mad_co_u64_u32 v[16:17], null, v9, s27, v[4:5]
	v_mad_co_u64_u32 v[3:4], null, v9, s21, v[3:4]
	;; [unrolled: 1-line block ×3, first 2 shown]
	v_mov_b32_e32 v4, v13
	s_and_b32 s34, s3, s5
	v_add_co_u32 v9, s3, v9, 16
	s_delay_alu instid0(VALU_DEP_4) | instskip(NEXT) | instid1(VALU_DEP_3)
	v_lshlrev_b64_e32 v[2:3], 4, v[2:3]
	v_mad_co_u64_u32 v[13:14], null, s49, v35, v[4:5]
	s_wait_alu 0xf1ff
	v_add_co_ci_u32_e64 v10, null, 0, v10, s3
	v_mov_b32_e32 v8, v16
	v_mov_b32_e32 v16, v17
	v_add_co_u32 v38, s5, s18, v2
	s_delay_alu instid0(VALU_DEP_4)
	v_cmp_gt_i64_e64 s3, s[38:39], v[9:10]
	s_wait_alu 0xf1ff
	v_add_co_ci_u32_e64 v39, null, s19, v3, s5
	v_lshlrev_b64_e32 v[9:10], 4, v[15:16]
	v_lshlrev_b64_e32 v[2:3], 4, v[12:13]
	s_lshl_b64 s[18:19], s[30:31], 9
	s_lshl_b64 s[10:11], s[26:27], 4
	v_cmp_gt_i64_e64 s26, s[40:41], 0
	s_lshl_b64 s[20:21], s[20:21], 4
	v_add_co_u32 v4, s5, v9, v19
	s_wait_alu 0xf1ff
	v_add_co_ci_u32_e64 v10, null, 0, v10, s5
	s_wait_alu 0xfffe
	v_add_co_u32 v2, s5, v2, s18
	s_wait_alu 0xf1ff
	v_add_co_ci_u32_e64 v3, null, s19, v3, s5
	v_add_co_u32 v9, s5, s8, v4
	s_wait_alu 0xf1ff
	v_add_co_ci_u32_e64 v10, null, s9, v10, s5
	;; [unrolled: 3-line block ×3, first 2 shown]
	s_mov_b32 s7, 0
	v_add_co_u32 v11, s5, s46, v2
	s_wait_alu 0xf1ff
	v_add_co_ci_u32_e64 v12, null, s47, v3, s5
	s_lshl_b64 s[8:9], s[12:13], 4
	s_lshl_b64 s[12:13], s[50:51], 4
	;; [unrolled: 1-line block ×3, first 2 shown]
	s_xor_b32 s27, vcc_lo, -1
	s_xor_b32 s30, s4, -1
	s_lshl_b64 s[4:5], s[20:21], 4
	s_branch .LBB136_4
.LBB136_2:                              ;   in Loop: Header=BB136_4 Depth=1
	s_wait_alu 0xfffe
	s_or_b32 exec_lo, exec_lo, s31
.LBB136_3:                              ;   in Loop: Header=BB136_4 Depth=1
	s_add_co_i32 s6, s6, 0x10000
	s_wait_alu 0xfffe
	s_cmp_lt_i32 s6, s33
	s_cbranch_scc0 .LBB136_39
.LBB136_4:                              ; =>This Loop Header: Depth=1
                                        ;     Child Loop BB136_7 Depth 2
	s_and_not1_b32 vcc_lo, exec_lo, s26
	s_wait_alu 0xfffe
	s_cbranch_vccnz .LBB136_15
; %bb.5:                                ;   in Loop: Header=BB136_4 Depth=1
	v_mad_co_u64_u32 v[13:14], null, s8, s6, v[9:10]
	v_mad_co_u64_u32 v[15:16], null, s12, s6, v[11:12]
	v_mov_b32_e32 v19, 0
	v_dual_mov_b32 v21, 0 :: v_dual_mov_b32 v20, 0
	s_delay_alu instid0(VALU_DEP_4)
	v_dual_mov_b32 v27, 0 :: v_dual_mov_b32 v2, v14
	v_mov_b32_e32 v23, 0
	v_dual_mov_b32 v24, 0 :: v_dual_mov_b32 v3, v16
	v_dual_mov_b32 v22, 0 :: v_dual_mov_b32 v25, 0
	v_mov_b32_e32 v28, 0
	v_mov_b32_e32 v26, 0
	s_delay_alu instid0(VALU_DEP_4) | instskip(SKIP_3) | instid1(VALU_DEP_4)
	v_mad_co_u64_u32 v[16:17], null, s9, s6, v[2:3]
	v_mad_co_u64_u32 v[2:3], null, s13, s6, v[3:4]
	v_mov_b32_e32 v17, 0
	v_dual_mov_b32 v18, 0 :: v_dual_mov_b32 v31, 0
	v_dual_mov_b32 v29, 0 :: v_dual_mov_b32 v14, v16
	v_mov_b32_e32 v32, 0
	v_mov_b32_e32 v30, 0
	;; [unrolled: 1-line block ×3, first 2 shown]
	s_mov_b64 s[20:21], 0
	s_branch .LBB136_7
.LBB136_6:                              ;   in Loop: Header=BB136_7 Depth=2
	s_wait_alu 0xfffe
	s_or_b32 exec_lo, exec_lo, s31
	s_wait_dscnt 0x0
	s_barrier_signal -1
	s_barrier_wait -1
	global_inv scope:SCOPE_SE
	ds_load_b128 v[40:43], v34
	ds_load_b128 v[44:47], v34 offset:16
	ds_load_b128 v[48:51], v34 offset:32
	;; [unrolled: 1-line block ×3, first 2 shown]
	ds_load_b128 v[56:59], v33
	s_add_nc_u64 s[20:21], s[20:21], 8
	v_add_co_u32 v13, vcc_lo, 0x80, v13
	s_wait_alu 0xfffe
	v_cmp_lt_i64_e64 s31, s[20:21], s[40:41]
	s_wait_alu 0xfffd
	v_add_co_ci_u32_e64 v14, null, 0, v14, vcc_lo
	v_add_co_u32 v15, vcc_lo, v15, s18
	s_wait_alu 0xfffd
	v_add_co_ci_u32_e64 v16, null, s19, v16, vcc_lo
	s_and_b32 vcc_lo, exec_lo, s31
	s_wait_dscnt 0x0
	v_mul_f64_e32 v[2:3], v[42:43], v[58:59]
	v_mul_f64_e32 v[60:61], v[40:41], v[58:59]
	s_delay_alu instid0(VALU_DEP_2) | instskip(NEXT) | instid1(VALU_DEP_2)
	v_fma_f64 v[2:3], v[40:41], v[56:57], -v[2:3]
	v_fma_f64 v[60:61], v[42:43], v[56:57], v[60:61]
	s_delay_alu instid0(VALU_DEP_2) | instskip(NEXT) | instid1(VALU_DEP_2)
	v_add_f64_e32 v[2:3], v[29:30], v[2:3]
	v_add_f64_e32 v[60:61], v[60:61], v[31:32]
	ds_load_b128 v[29:32], v33 offset:256
	s_wait_dscnt 0x0
	v_mul_f64_e32 v[62:63], v[42:43], v[31:32]
	s_delay_alu instid0(VALU_DEP_1) | instskip(SKIP_1) | instid1(VALU_DEP_2)
	v_fma_f64 v[62:63], v[40:41], v[29:30], -v[62:63]
	v_mul_f64_e32 v[40:41], v[40:41], v[31:32]
	v_add_f64_e32 v[62:63], v[17:18], v[62:63]
	s_delay_alu instid0(VALU_DEP_2) | instskip(NEXT) | instid1(VALU_DEP_1)
	v_fma_f64 v[40:41], v[42:43], v[29:30], v[40:41]
	v_add_f64_e32 v[25:26], v[40:41], v[25:26]
	ds_load_b128 v[40:43], v34 offset:2048
	s_wait_dscnt 0x0
	v_mul_f64_e32 v[17:18], v[42:43], v[58:59]
	v_mul_f64_e32 v[58:59], v[40:41], v[58:59]
	s_delay_alu instid0(VALU_DEP_2) | instskip(NEXT) | instid1(VALU_DEP_2)
	v_fma_f64 v[17:18], v[40:41], v[56:57], -v[17:18]
	v_fma_f64 v[56:57], v[42:43], v[56:57], v[58:59]
	s_delay_alu instid0(VALU_DEP_2) | instskip(SKIP_2) | instid1(VALU_DEP_4)
	v_add_f64_e32 v[58:59], v[21:22], v[17:18]
	v_mul_f64_e32 v[17:18], v[42:43], v[31:32]
	v_mul_f64_e32 v[21:22], v[40:41], v[31:32]
	v_add_f64_e32 v[56:57], v[56:57], v[27:28]
	s_delay_alu instid0(VALU_DEP_3) | instskip(NEXT) | instid1(VALU_DEP_3)
	v_fma_f64 v[17:18], v[40:41], v[29:30], -v[17:18]
	v_fma_f64 v[21:22], v[42:43], v[29:30], v[21:22]
	s_delay_alu instid0(VALU_DEP_2)
	v_add_f64_e32 v[29:30], v[19:20], v[17:18]
	ds_load_b128 v[17:20], v33 offset:512
	v_add_f64_e32 v[31:32], v[21:22], v[23:24]
	s_wait_dscnt 0x0
	v_mul_f64_e32 v[21:22], v[46:47], v[19:20]
	v_mul_f64_e32 v[23:24], v[44:45], v[19:20]
	s_delay_alu instid0(VALU_DEP_2) | instskip(NEXT) | instid1(VALU_DEP_2)
	v_fma_f64 v[21:22], v[44:45], v[17:18], -v[21:22]
	v_fma_f64 v[23:24], v[46:47], v[17:18], v[23:24]
	s_delay_alu instid0(VALU_DEP_2) | instskip(NEXT) | instid1(VALU_DEP_2)
	v_add_f64_e32 v[2:3], v[2:3], v[21:22]
	v_add_f64_e32 v[40:41], v[23:24], v[60:61]
	ds_load_b128 v[21:24], v33 offset:768
	s_wait_dscnt 0x0
	v_mul_f64_e32 v[27:28], v[46:47], v[23:24]
	v_mul_f64_e32 v[42:43], v[44:45], v[23:24]
	s_delay_alu instid0(VALU_DEP_2) | instskip(NEXT) | instid1(VALU_DEP_2)
	v_fma_f64 v[27:28], v[44:45], v[21:22], -v[27:28]
	v_fma_f64 v[42:43], v[46:47], v[21:22], v[42:43]
	s_delay_alu instid0(VALU_DEP_2) | instskip(NEXT) | instid1(VALU_DEP_2)
	v_add_f64_e32 v[44:45], v[62:63], v[27:28]
	v_add_f64_e32 v[42:43], v[42:43], v[25:26]
	ds_load_b128 v[25:28], v34 offset:2064
	s_wait_dscnt 0x0
	v_mul_f64_e32 v[46:47], v[27:28], v[19:20]
	v_mul_f64_e32 v[19:20], v[25:26], v[19:20]
	s_delay_alu instid0(VALU_DEP_2) | instskip(NEXT) | instid1(VALU_DEP_2)
	v_fma_f64 v[46:47], v[25:26], v[17:18], -v[46:47]
	v_fma_f64 v[17:18], v[27:28], v[17:18], v[19:20]
	v_mul_f64_e32 v[19:20], v[25:26], v[23:24]
	s_delay_alu instid0(VALU_DEP_3) | instskip(NEXT) | instid1(VALU_DEP_3)
	v_add_f64_e32 v[46:47], v[58:59], v[46:47]
	v_add_f64_e32 v[56:57], v[17:18], v[56:57]
	v_mul_f64_e32 v[17:18], v[27:28], v[23:24]
	s_delay_alu instid0(VALU_DEP_4) | instskip(NEXT) | instid1(VALU_DEP_2)
	v_fma_f64 v[19:20], v[27:28], v[21:22], v[19:20]
	v_fma_f64 v[17:18], v[25:26], v[21:22], -v[17:18]
	s_delay_alu instid0(VALU_DEP_2) | instskip(NEXT) | instid1(VALU_DEP_2)
	v_add_f64_e32 v[31:32], v[19:20], v[31:32]
	v_add_f64_e32 v[29:30], v[29:30], v[17:18]
	ds_load_b128 v[17:20], v33 offset:1024
	s_wait_dscnt 0x0
	v_mul_f64_e32 v[21:22], v[50:51], v[19:20]
	v_mul_f64_e32 v[23:24], v[48:49], v[19:20]
	s_delay_alu instid0(VALU_DEP_2) | instskip(NEXT) | instid1(VALU_DEP_2)
	v_fma_f64 v[21:22], v[48:49], v[17:18], -v[21:22]
	v_fma_f64 v[23:24], v[50:51], v[17:18], v[23:24]
	s_delay_alu instid0(VALU_DEP_2) | instskip(NEXT) | instid1(VALU_DEP_2)
	v_add_f64_e32 v[2:3], v[2:3], v[21:22]
	v_add_f64_e32 v[40:41], v[23:24], v[40:41]
	ds_load_b128 v[21:24], v33 offset:1280
	s_wait_dscnt 0x0
	v_mul_f64_e32 v[25:26], v[50:51], v[23:24]
	v_mul_f64_e32 v[27:28], v[48:49], v[23:24]
	s_delay_alu instid0(VALU_DEP_2) | instskip(NEXT) | instid1(VALU_DEP_2)
	v_fma_f64 v[25:26], v[48:49], v[21:22], -v[25:26]
	v_fma_f64 v[27:28], v[50:51], v[21:22], v[27:28]
	s_delay_alu instid0(VALU_DEP_2) | instskip(NEXT) | instid1(VALU_DEP_2)
	v_add_f64_e32 v[44:45], v[44:45], v[25:26]
	v_add_f64_e32 v[42:43], v[27:28], v[42:43]
	ds_load_b128 v[25:28], v34 offset:2080
	s_wait_dscnt 0x0
	v_mul_f64_e32 v[48:49], v[27:28], v[19:20]
	v_mul_f64_e32 v[19:20], v[25:26], v[19:20]
	s_delay_alu instid0(VALU_DEP_2) | instskip(NEXT) | instid1(VALU_DEP_2)
	v_fma_f64 v[48:49], v[25:26], v[17:18], -v[48:49]
	v_fma_f64 v[17:18], v[27:28], v[17:18], v[19:20]
	v_mul_f64_e32 v[19:20], v[25:26], v[23:24]
	s_delay_alu instid0(VALU_DEP_3) | instskip(NEXT) | instid1(VALU_DEP_3)
	v_add_f64_e32 v[46:47], v[46:47], v[48:49]
	v_add_f64_e32 v[48:49], v[17:18], v[56:57]
	v_mul_f64_e32 v[17:18], v[27:28], v[23:24]
	s_delay_alu instid0(VALU_DEP_4) | instskip(NEXT) | instid1(VALU_DEP_2)
	v_fma_f64 v[19:20], v[27:28], v[21:22], v[19:20]
	v_fma_f64 v[17:18], v[25:26], v[21:22], -v[17:18]
	s_delay_alu instid0(VALU_DEP_2) | instskip(NEXT) | instid1(VALU_DEP_2)
	v_add_f64_e32 v[31:32], v[19:20], v[31:32]
	v_add_f64_e32 v[29:30], v[29:30], v[17:18]
	ds_load_b128 v[17:20], v33 offset:1536
	;; [unrolled: 38-line block ×3, first 2 shown]
	ds_load_b128 v[21:24], v33 offset:2048
	s_wait_dscnt 0x0
	v_mul_f64_e32 v[25:26], v[19:20], v[23:24]
	v_mul_f64_e32 v[27:28], v[17:18], v[23:24]
	s_delay_alu instid0(VALU_DEP_2) | instskip(NEXT) | instid1(VALU_DEP_2)
	v_fma_f64 v[25:26], v[17:18], v[21:22], -v[25:26]
	v_fma_f64 v[27:28], v[19:20], v[21:22], v[27:28]
	s_delay_alu instid0(VALU_DEP_2) | instskip(NEXT) | instid1(VALU_DEP_2)
	v_add_f64_e32 v[2:3], v[2:3], v[25:26]
	v_add_f64_e32 v[40:41], v[27:28], v[40:41]
	ds_load_b128 v[25:28], v33 offset:2304
	s_wait_dscnt 0x0
	v_mul_f64_e32 v[50:51], v[19:20], v[27:28]
	s_delay_alu instid0(VALU_DEP_1) | instskip(SKIP_1) | instid1(VALU_DEP_2)
	v_fma_f64 v[50:51], v[17:18], v[25:26], -v[50:51]
	v_mul_f64_e32 v[17:18], v[17:18], v[27:28]
	v_add_f64_e32 v[44:45], v[44:45], v[50:51]
	s_delay_alu instid0(VALU_DEP_2) | instskip(NEXT) | instid1(VALU_DEP_1)
	v_fma_f64 v[17:18], v[19:20], v[25:26], v[17:18]
	v_add_f64_e32 v[42:43], v[17:18], v[42:43]
	ds_load_b128 v[17:20], v34 offset:2112
	s_wait_dscnt 0x0
	v_mul_f64_e32 v[50:51], v[19:20], v[23:24]
	v_mul_f64_e32 v[23:24], v[17:18], v[23:24]
	s_delay_alu instid0(VALU_DEP_2) | instskip(NEXT) | instid1(VALU_DEP_2)
	v_fma_f64 v[50:51], v[17:18], v[21:22], -v[50:51]
	v_fma_f64 v[21:22], v[19:20], v[21:22], v[23:24]
	s_delay_alu instid0(VALU_DEP_2) | instskip(NEXT) | instid1(VALU_DEP_2)
	v_add_f64_e32 v[46:47], v[46:47], v[50:51]
	v_add_f64_e32 v[48:49], v[21:22], v[48:49]
	v_mul_f64_e32 v[21:22], v[19:20], v[27:28]
	s_delay_alu instid0(VALU_DEP_1) | instskip(SKIP_1) | instid1(VALU_DEP_2)
	v_fma_f64 v[21:22], v[17:18], v[25:26], -v[21:22]
	v_mul_f64_e32 v[17:18], v[17:18], v[27:28]
	v_add_f64_e32 v[29:30], v[29:30], v[21:22]
	s_delay_alu instid0(VALU_DEP_2) | instskip(NEXT) | instid1(VALU_DEP_1)
	v_fma_f64 v[17:18], v[19:20], v[25:26], v[17:18]
	v_add_f64_e32 v[31:32], v[17:18], v[31:32]
	ds_load_b128 v[17:20], v34 offset:80
	ds_load_b128 v[21:24], v33 offset:2560
	s_wait_dscnt 0x0
	v_mul_f64_e32 v[25:26], v[19:20], v[23:24]
	v_mul_f64_e32 v[27:28], v[17:18], v[23:24]
	s_delay_alu instid0(VALU_DEP_2) | instskip(NEXT) | instid1(VALU_DEP_2)
	v_fma_f64 v[25:26], v[17:18], v[21:22], -v[25:26]
	v_fma_f64 v[27:28], v[19:20], v[21:22], v[27:28]
	s_delay_alu instid0(VALU_DEP_2) | instskip(NEXT) | instid1(VALU_DEP_2)
	v_add_f64_e32 v[2:3], v[2:3], v[25:26]
	v_add_f64_e32 v[40:41], v[27:28], v[40:41]
	ds_load_b128 v[25:28], v33 offset:2816
	s_wait_dscnt 0x0
	v_mul_f64_e32 v[50:51], v[19:20], v[27:28]
	s_delay_alu instid0(VALU_DEP_1) | instskip(SKIP_1) | instid1(VALU_DEP_2)
	v_fma_f64 v[50:51], v[17:18], v[25:26], -v[50:51]
	v_mul_f64_e32 v[17:18], v[17:18], v[27:28]
	v_add_f64_e32 v[44:45], v[44:45], v[50:51]
	s_delay_alu instid0(VALU_DEP_2) | instskip(NEXT) | instid1(VALU_DEP_1)
	v_fma_f64 v[17:18], v[19:20], v[25:26], v[17:18]
	v_add_f64_e32 v[42:43], v[17:18], v[42:43]
	ds_load_b128 v[17:20], v34 offset:2128
	s_wait_dscnt 0x0
	v_mul_f64_e32 v[50:51], v[19:20], v[23:24]
	v_mul_f64_e32 v[23:24], v[17:18], v[23:24]
	s_delay_alu instid0(VALU_DEP_2) | instskip(NEXT) | instid1(VALU_DEP_2)
	v_fma_f64 v[50:51], v[17:18], v[21:22], -v[50:51]
	v_fma_f64 v[21:22], v[19:20], v[21:22], v[23:24]
	s_delay_alu instid0(VALU_DEP_2) | instskip(NEXT) | instid1(VALU_DEP_2)
	v_add_f64_e32 v[46:47], v[46:47], v[50:51]
	v_add_f64_e32 v[48:49], v[21:22], v[48:49]
	v_mul_f64_e32 v[21:22], v[19:20], v[27:28]
	s_delay_alu instid0(VALU_DEP_1) | instskip(SKIP_1) | instid1(VALU_DEP_2)
	v_fma_f64 v[21:22], v[17:18], v[25:26], -v[21:22]
	v_mul_f64_e32 v[17:18], v[17:18], v[27:28]
	v_add_f64_e32 v[29:30], v[29:30], v[21:22]
	s_delay_alu instid0(VALU_DEP_2) | instskip(NEXT) | instid1(VALU_DEP_1)
	v_fma_f64 v[17:18], v[19:20], v[25:26], v[17:18]
	v_add_f64_e32 v[31:32], v[17:18], v[31:32]
	ds_load_b128 v[17:20], v34 offset:96
	;; [unrolled: 39-line block ×3, first 2 shown]
	ds_load_b128 v[21:24], v33 offset:3584
	s_wait_dscnt 0x0
	v_mul_f64_e32 v[27:28], v[17:18], v[23:24]
	v_mul_f64_e32 v[25:26], v[19:20], v[23:24]
	s_delay_alu instid0(VALU_DEP_2) | instskip(NEXT) | instid1(VALU_DEP_2)
	v_fma_f64 v[27:28], v[19:20], v[21:22], v[27:28]
	v_fma_f64 v[25:26], v[17:18], v[21:22], -v[25:26]
	s_delay_alu instid0(VALU_DEP_2) | instskip(SKIP_4) | instid1(VALU_DEP_1)
	v_add_f64_e32 v[31:32], v[27:28], v[40:41]
	ds_load_b128 v[40:43], v33 offset:3840
	v_add_f64_e32 v[29:30], v[2:3], v[25:26]
	s_wait_dscnt 0x0
	v_mul_f64_e32 v[2:3], v[19:20], v[42:43]
	v_fma_f64 v[2:3], v[17:18], v[40:41], -v[2:3]
	v_mul_f64_e32 v[17:18], v[17:18], v[42:43]
	s_delay_alu instid0(VALU_DEP_1) | instskip(NEXT) | instid1(VALU_DEP_3)
	v_fma_f64 v[19:20], v[19:20], v[40:41], v[17:18]
	v_add_f64_e32 v[17:18], v[44:45], v[2:3]
	ds_load_b128 v[44:47], v34 offset:2160
	s_wait_loadcnt_dscnt 0x0
	s_barrier_signal -1
	s_barrier_wait -1
	global_inv scope:SCOPE_SE
	v_mul_f64_e32 v[2:3], v[46:47], v[23:24]
	v_add_f64_e32 v[25:26], v[19:20], v[50:51]
	v_mul_f64_e32 v[19:20], v[44:45], v[23:24]
	s_delay_alu instid0(VALU_DEP_3) | instskip(NEXT) | instid1(VALU_DEP_2)
	v_fma_f64 v[2:3], v[44:45], v[21:22], -v[2:3]
	v_fma_f64 v[19:20], v[46:47], v[21:22], v[19:20]
	s_delay_alu instid0(VALU_DEP_2) | instskip(SKIP_1) | instid1(VALU_DEP_3)
	v_add_f64_e32 v[21:22], v[52:53], v[2:3]
	v_mul_f64_e32 v[2:3], v[46:47], v[42:43]
	v_add_f64_e32 v[27:28], v[19:20], v[48:49]
	v_mul_f64_e32 v[19:20], v[44:45], v[42:43]
	s_delay_alu instid0(VALU_DEP_3) | instskip(NEXT) | instid1(VALU_DEP_2)
	v_fma_f64 v[2:3], v[44:45], v[40:41], -v[2:3]
	v_fma_f64 v[23:24], v[46:47], v[40:41], v[19:20]
	s_delay_alu instid0(VALU_DEP_2) | instskip(NEXT) | instid1(VALU_DEP_2)
	v_add_f64_e32 v[19:20], v[54:55], v[2:3]
	v_add_f64_e32 v[23:24], v[23:24], v[56:57]
	s_wait_alu 0xfffe
	s_cbranch_vccz .LBB136_16
.LBB136_7:                              ;   Parent Loop BB136_4 Depth=1
                                        ; =>  This Inner Loop Header: Depth=2
	s_wait_alu 0xfffe
	v_add_co_u32 v2, s31, v35, s20
	s_wait_alu 0xf1ff
	v_add_co_ci_u32_e64 v3, null, 0, s21, s31
	s_delay_alu instid0(VALU_DEP_1) | instskip(SKIP_3) | instid1(SALU_CYCLE_1)
	v_cmp_le_i64_e32 vcc_lo, s[40:41], v[2:3]
	s_or_b32 s31, s27, vcc_lo
	s_wait_alu 0xfffe
	s_and_saveexec_b32 s35, s31
	s_xor_b32 s31, exec_lo, s35
; %bb.8:                                ;   in Loop: Header=BB136_7 Depth=2
	v_dual_mov_b32 v2, v1 :: v_dual_mov_b32 v3, v1
	v_mov_b32_e32 v4, v1
	ds_store_b128 v36, v[1:4]
; %bb.9:                                ;   in Loop: Header=BB136_7 Depth=2
	s_wait_alu 0xfffe
	s_and_not1_saveexec_b32 s31, s31
	s_cbranch_execz .LBB136_11
; %bb.10:                               ;   in Loop: Header=BB136_7 Depth=2
	global_load_b128 v[40:43], v[15:16], off
	s_wait_loadcnt 0x0
	ds_store_2addr_b64 v36, v[40:41], v[42:43] offset1:1
.LBB136_11:                             ;   in Loop: Header=BB136_7 Depth=2
	s_wait_alu 0xfffe
	s_or_b32 exec_lo, exec_lo, s31
	v_add_co_u32 v2, s31, v0, s20
	s_wait_alu 0xf1ff
	v_add_co_ci_u32_e64 v3, null, 0, s21, s31
	s_delay_alu instid0(VALU_DEP_1) | instskip(SKIP_3) | instid1(SALU_CYCLE_1)
	v_cmp_le_i64_e32 vcc_lo, s[40:41], v[2:3]
	s_or_b32 s31, vcc_lo, s30
	s_wait_alu 0xfffe
	s_and_saveexec_b32 s35, s31
	s_xor_b32 s31, exec_lo, s35
; %bb.12:                               ;   in Loop: Header=BB136_7 Depth=2
	v_dual_mov_b32 v2, v1 :: v_dual_mov_b32 v3, v1
	v_mov_b32_e32 v4, v1
	ds_store_b128 v37, v[1:4]
; %bb.13:                               ;   in Loop: Header=BB136_7 Depth=2
	s_wait_alu 0xfffe
	s_and_not1_saveexec_b32 s31, s31
	s_cbranch_execz .LBB136_6
; %bb.14:                               ;   in Loop: Header=BB136_7 Depth=2
	global_load_b128 v[40:43], v[13:14], off
	s_wait_loadcnt 0x0
	ds_store_2addr_b64 v37, v[40:41], v[42:43] offset1:1
	s_branch .LBB136_6
.LBB136_15:                             ;   in Loop: Header=BB136_4 Depth=1
	v_mov_b32_e32 v29, 0
	v_mov_b32_e32 v17, 0
	;; [unrolled: 1-line block ×3, first 2 shown]
	v_dual_mov_b32 v19, 0 :: v_dual_mov_b32 v30, 0
	v_dual_mov_b32 v31, 0 :: v_dual_mov_b32 v18, 0
	;; [unrolled: 1-line block ×5, first 2 shown]
	v_mov_b32_e32 v26, 0
	v_mov_b32_e32 v28, 0
	;; [unrolled: 1-line block ×3, first 2 shown]
.LBB136_16:                             ;   in Loop: Header=BB136_4 Depth=1
	s_mul_u64 s[20:21], s[28:29], s[6:7]
	s_and_not1_b32 vcc_lo, exec_lo, s34
	s_wait_alu 0xfffe
	s_lshl_b64 s[20:21], s[20:21], 4
	s_mov_b32 s31, -1
	s_wait_alu 0xfffe
	s_add_nc_u64 s[20:21], s[24:25], s[20:21]
	s_cbranch_vccz .LBB136_18
; %bb.17:                               ;   in Loop: Header=BB136_4 Depth=1
	s_and_not1_b32 vcc_lo, exec_lo, s31
	s_wait_alu 0xfffe
	s_cbranch_vccnz .LBB136_3
	s_branch .LBB136_29
.LBB136_18:                             ;   in Loop: Header=BB136_4 Depth=1
	s_and_saveexec_b32 s31, s0
	s_cbranch_execz .LBB136_28
; %bb.19:                               ;   in Loop: Header=BB136_4 Depth=1
	v_lshlrev_b64_e32 v[2:3], 4, v[7:8]
	s_wait_alu 0xfffe
	s_delay_alu instid0(VALU_DEP_1) | instskip(SKIP_1) | instid1(VALU_DEP_2)
	v_add_co_u32 v2, vcc_lo, s20, v2
	s_wait_alu 0xfffd
	v_add_co_ci_u32_e64 v3, null, s21, v3, vcc_lo
	s_and_saveexec_b32 s35, s1
	s_cbranch_execnz .LBB136_22
; %bb.20:                               ;   in Loop: Header=BB136_4 Depth=1
	s_or_b32 exec_lo, exec_lo, s35
	s_and_saveexec_b32 s35, s2
	s_cbranch_execnz .LBB136_23
.LBB136_21:                             ;   in Loop: Header=BB136_4 Depth=1
	s_or_b32 exec_lo, exec_lo, s35
	s_delay_alu instid0(SALU_CYCLE_1)
	s_and_b32 exec_lo, exec_lo, s3
	s_cbranch_execnz .LBB136_24
	s_branch .LBB136_28
.LBB136_22:                             ;   in Loop: Header=BB136_4 Depth=1
	v_mul_f64_e32 v[13:14], s[44:45], v[31:32]
	v_mul_f64_e32 v[15:16], s[42:43], v[31:32]
	v_lshlrev_b64_e32 v[40:41], 4, v[5:6]
	s_delay_alu instid0(VALU_DEP_1) | instskip(SKIP_1) | instid1(VALU_DEP_2)
	v_add_co_u32 v40, vcc_lo, v2, v40
	s_wait_alu 0xfffd
	v_add_co_ci_u32_e64 v41, null, v3, v41, vcc_lo
	v_fma_f64 v[13:14], s[42:43], v[29:30], -v[13:14]
	v_fma_f64 v[15:16], s[44:45], v[29:30], v[15:16]
	global_store_b128 v[40:41], v[13:16], off
	s_or_b32 exec_lo, exec_lo, s35
	s_and_saveexec_b32 s35, s2
	s_cbranch_execz .LBB136_21
.LBB136_23:                             ;   in Loop: Header=BB136_4 Depth=1
	v_mul_f64_e32 v[13:14], s[44:45], v[25:26]
	v_mul_f64_e32 v[15:16], s[42:43], v[25:26]
	v_lshlrev_b64_e32 v[40:41], 4, v[5:6]
	s_delay_alu instid0(VALU_DEP_1) | instskip(SKIP_1) | instid1(VALU_DEP_2)
	v_add_co_u32 v40, vcc_lo, v2, v40
	s_wait_alu 0xfffd
	v_add_co_ci_u32_e64 v41, null, v3, v41, vcc_lo
	v_fma_f64 v[13:14], s[42:43], v[17:18], -v[13:14]
	v_fma_f64 v[15:16], s[44:45], v[17:18], v[15:16]
	global_store_b128 v[40:41], v[13:16], off offset:256
	s_or_b32 exec_lo, exec_lo, s35
	s_delay_alu instid0(SALU_CYCLE_1)
	s_and_b32 exec_lo, exec_lo, s3
	s_cbranch_execz .LBB136_28
.LBB136_24:                             ;   in Loop: Header=BB136_4 Depth=1
	s_lshl_b64 s[36:37], s[10:11], 4
	v_lshlrev_b64_e32 v[13:14], 4, v[5:6]
	s_wait_alu 0xfffe
	v_add_co_u32 v2, vcc_lo, v2, s36
	s_wait_alu 0xfffd
	v_add_co_ci_u32_e64 v3, null, s37, v3, vcc_lo
	s_delay_alu instid0(VALU_DEP_2) | instskip(SKIP_1) | instid1(VALU_DEP_2)
	v_add_co_u32 v2, vcc_lo, v2, v13
	s_wait_alu 0xfffd
	v_add_co_ci_u32_e64 v3, null, v3, v14, vcc_lo
	s_and_saveexec_b32 s35, s1
	s_cbranch_execz .LBB136_26
; %bb.25:                               ;   in Loop: Header=BB136_4 Depth=1
	v_mul_f64_e32 v[13:14], s[44:45], v[27:28]
	v_mul_f64_e32 v[15:16], s[42:43], v[27:28]
	s_delay_alu instid0(VALU_DEP_2) | instskip(NEXT) | instid1(VALU_DEP_2)
	v_fma_f64 v[13:14], s[42:43], v[21:22], -v[13:14]
	v_fma_f64 v[15:16], s[44:45], v[21:22], v[15:16]
	global_store_b128 v[2:3], v[13:16], off
.LBB136_26:                             ;   in Loop: Header=BB136_4 Depth=1
	s_or_b32 exec_lo, exec_lo, s35
	s_delay_alu instid0(SALU_CYCLE_1)
	s_and_b32 exec_lo, exec_lo, s2
	s_cbranch_execz .LBB136_28
; %bb.27:                               ;   in Loop: Header=BB136_4 Depth=1
	v_mul_f64_e32 v[13:14], s[44:45], v[23:24]
	v_mul_f64_e32 v[15:16], s[42:43], v[23:24]
	s_delay_alu instid0(VALU_DEP_2) | instskip(NEXT) | instid1(VALU_DEP_2)
	v_fma_f64 v[13:14], s[42:43], v[19:20], -v[13:14]
	v_fma_f64 v[15:16], s[44:45], v[19:20], v[15:16]
	global_store_b128 v[2:3], v[13:16], off offset:256
.LBB136_28:                             ;   in Loop: Header=BB136_4 Depth=1
	s_wait_alu 0xfffe
	s_or_b32 exec_lo, exec_lo, s31
	s_cbranch_execnz .LBB136_3
.LBB136_29:                             ;   in Loop: Header=BB136_4 Depth=1
	s_and_saveexec_b32 s31, s0
	s_cbranch_execz .LBB136_2
; %bb.30:                               ;   in Loop: Header=BB136_4 Depth=1
	s_mul_u64 s[36:37], s[22:23], s[6:7]
	v_lshlrev_b64_e32 v[14:15], 4, v[7:8]
	s_wait_alu 0xfffe
	s_lshl_b64 s[36:37], s[36:37], 4
	v_lshlrev_b64_e32 v[2:3], 4, v[5:6]
	s_wait_alu 0xfffe
	v_add_co_u32 v4, vcc_lo, v38, s36
	s_wait_alu 0xfffd
	v_add_co_ci_u32_e64 v13, null, s37, v39, vcc_lo
	v_add_co_u32 v14, vcc_lo, s20, v14
	s_wait_alu 0xfffd
	v_add_co_ci_u32_e64 v15, null, s21, v15, vcc_lo
	s_and_saveexec_b32 s20, s1
	s_cbranch_execnz .LBB136_33
; %bb.31:                               ;   in Loop: Header=BB136_4 Depth=1
	s_wait_alu 0xfffe
	s_or_b32 exec_lo, exec_lo, s20
	s_and_saveexec_b32 s20, s2
	s_cbranch_execnz .LBB136_34
.LBB136_32:                             ;   in Loop: Header=BB136_4 Depth=1
	s_wait_alu 0xfffe
	s_or_b32 exec_lo, exec_lo, s20
	s_delay_alu instid0(SALU_CYCLE_1)
	s_and_b32 exec_lo, exec_lo, s3
	s_cbranch_execz .LBB136_2
	s_branch .LBB136_35
.LBB136_33:                             ;   in Loop: Header=BB136_4 Depth=1
	v_add_co_u32 v40, vcc_lo, v4, v2
	s_wait_alu 0xfffd
	v_add_co_ci_u32_e64 v41, null, v13, v3, vcc_lo
	v_mul_f64_e32 v[44:45], s[44:45], v[31:32]
	v_mul_f64_e32 v[31:32], s[42:43], v[31:32]
	global_load_b128 v[40:43], v[40:41], off
	v_fma_f64 v[44:45], s[42:43], v[29:30], -v[44:45]
	v_fma_f64 v[31:32], s[44:45], v[29:30], v[31:32]
	s_wait_loadcnt 0x0
	v_mul_f64_e32 v[46:47], s[16:17], v[42:43]
	v_mul_f64_e32 v[42:43], s[14:15], v[42:43]
	s_delay_alu instid0(VALU_DEP_2) | instskip(NEXT) | instid1(VALU_DEP_2)
	v_fma_f64 v[29:30], s[14:15], v[40:41], -v[46:47]
	v_fma_f64 v[40:41], s[16:17], v[40:41], v[42:43]
	s_delay_alu instid0(VALU_DEP_2) | instskip(NEXT) | instid1(VALU_DEP_2)
	v_add_f64_e32 v[29:30], v[44:45], v[29:30]
	v_add_f64_e32 v[31:32], v[31:32], v[40:41]
	v_add_co_u32 v40, vcc_lo, v14, v2
	s_wait_alu 0xfffd
	v_add_co_ci_u32_e64 v41, null, v15, v3, vcc_lo
	global_store_b128 v[40:41], v[29:32], off
	s_wait_alu 0xfffe
	s_or_b32 exec_lo, exec_lo, s20
	s_and_saveexec_b32 s20, s2
	s_cbranch_execz .LBB136_32
.LBB136_34:                             ;   in Loop: Header=BB136_4 Depth=1
	v_add_co_u32 v29, vcc_lo, v4, v2
	s_wait_alu 0xfffd
	v_add_co_ci_u32_e64 v30, null, v13, v3, vcc_lo
	v_mul_f64_e32 v[40:41], s[44:45], v[25:26]
	v_mul_f64_e32 v[25:26], s[42:43], v[25:26]
	global_load_b128 v[29:32], v[29:30], off offset:256
	v_fma_f64 v[40:41], s[42:43], v[17:18], -v[40:41]
	v_fma_f64 v[16:17], s[44:45], v[17:18], v[25:26]
	s_wait_loadcnt 0x0
	v_mul_f64_e32 v[42:43], s[16:17], v[31:32]
	v_mul_f64_e32 v[31:32], s[14:15], v[31:32]
	s_delay_alu instid0(VALU_DEP_2) | instskip(NEXT) | instid1(VALU_DEP_2)
	v_fma_f64 v[25:26], s[14:15], v[29:30], -v[42:43]
	v_fma_f64 v[31:32], s[16:17], v[29:30], v[31:32]
	s_delay_alu instid0(VALU_DEP_2) | instskip(NEXT) | instid1(VALU_DEP_2)
	v_add_f64_e32 v[29:30], v[40:41], v[25:26]
	v_add_f64_e32 v[31:32], v[16:17], v[31:32]
	v_add_co_u32 v16, vcc_lo, v14, v2
	s_wait_alu 0xfffd
	v_add_co_ci_u32_e64 v17, null, v15, v3, vcc_lo
	global_store_b128 v[16:17], v[29:32], off offset:256
	s_wait_alu 0xfffe
	s_or_b32 exec_lo, exec_lo, s20
	s_delay_alu instid0(SALU_CYCLE_1)
	s_and_b32 exec_lo, exec_lo, s3
	s_cbranch_execz .LBB136_2
.LBB136_35:                             ;   in Loop: Header=BB136_4 Depth=1
	v_add_co_u32 v4, vcc_lo, v4, s4
	s_lshl_b64 s[20:21], s[10:11], 4
	s_wait_alu 0xfffd
	v_add_co_ci_u32_e64 v16, null, s5, v13, vcc_lo
	s_wait_alu 0xfffe
	v_add_co_u32 v17, vcc_lo, v14, s20
	s_wait_alu 0xfffd
	v_add_co_ci_u32_e64 v15, null, s21, v15, vcc_lo
	v_add_co_u32 v13, vcc_lo, v4, v2
	s_wait_alu 0xfffd
	v_add_co_ci_u32_e64 v14, null, v16, v3, vcc_lo
	;; [unrolled: 3-line block ×3, first 2 shown]
	s_and_saveexec_b32 s20, s1
	s_cbranch_execz .LBB136_37
; %bb.36:                               ;   in Loop: Header=BB136_4 Depth=1
	global_load_b128 v[15:18], v[13:14], off
	v_mul_f64_e32 v[25:26], s[44:45], v[27:28]
	v_mul_f64_e32 v[27:28], s[42:43], v[27:28]
	s_delay_alu instid0(VALU_DEP_2) | instskip(NEXT) | instid1(VALU_DEP_2)
	v_fma_f64 v[25:26], s[42:43], v[21:22], -v[25:26]
	v_fma_f64 v[21:22], s[44:45], v[21:22], v[27:28]
	s_wait_loadcnt 0x0
	v_mul_f64_e32 v[29:30], s[16:17], v[17:18]
	v_mul_f64_e32 v[17:18], s[14:15], v[17:18]
	s_delay_alu instid0(VALU_DEP_2) | instskip(NEXT) | instid1(VALU_DEP_2)
	v_fma_f64 v[27:28], s[14:15], v[15:16], -v[29:30]
	v_fma_f64 v[17:18], s[16:17], v[15:16], v[17:18]
	s_delay_alu instid0(VALU_DEP_2) | instskip(NEXT) | instid1(VALU_DEP_2)
	v_add_f64_e32 v[15:16], v[25:26], v[27:28]
	v_add_f64_e32 v[17:18], v[21:22], v[17:18]
	global_store_b128 v[2:3], v[15:18], off
.LBB136_37:                             ;   in Loop: Header=BB136_4 Depth=1
	s_wait_alu 0xfffe
	s_or_b32 exec_lo, exec_lo, s20
	s_delay_alu instid0(SALU_CYCLE_1)
	s_and_b32 exec_lo, exec_lo, s2
	s_cbranch_execz .LBB136_2
; %bb.38:                               ;   in Loop: Header=BB136_4 Depth=1
	global_load_b128 v[13:16], v[13:14], off offset:256
	v_mul_f64_e32 v[17:18], s[44:45], v[23:24]
	v_mul_f64_e32 v[21:22], s[42:43], v[23:24]
	s_delay_alu instid0(VALU_DEP_2) | instskip(NEXT) | instid1(VALU_DEP_2)
	v_fma_f64 v[17:18], s[42:43], v[19:20], -v[17:18]
	v_fma_f64 v[19:20], s[44:45], v[19:20], v[21:22]
	s_wait_loadcnt 0x0
	v_mul_f64_e32 v[23:24], s[16:17], v[15:16]
	v_mul_f64_e32 v[15:16], s[14:15], v[15:16]
	s_delay_alu instid0(VALU_DEP_2) | instskip(NEXT) | instid1(VALU_DEP_2)
	v_fma_f64 v[21:22], s[14:15], v[13:14], -v[23:24]
	v_fma_f64 v[15:16], s[16:17], v[13:14], v[15:16]
	s_delay_alu instid0(VALU_DEP_2) | instskip(NEXT) | instid1(VALU_DEP_2)
	v_add_f64_e32 v[13:14], v[17:18], v[21:22]
	v_add_f64_e32 v[15:16], v[19:20], v[15:16]
	global_store_b128 v[2:3], v[13:16], off offset:256
	s_branch .LBB136_2
.LBB136_39:
	s_endpgm
	.section	.rodata,"a",@progbits
	.p2align	6, 0x0
	.amdhsa_kernel _ZN12_GLOBAL__N_135rocblas_gemm_batched_general_kernelI19rocblas_complex_numIdELi16ELi16ELi32ELi32ELi8ELi32ELi8ELi8ELi32ELc78ELc78EKS2_S3_S2_EEvlllT_PT11_llS6_llS4_PT12_llPT13_lli
		.amdhsa_group_segment_fixed_size 8192
		.amdhsa_private_segment_fixed_size 0
		.amdhsa_kernarg_size 156
		.amdhsa_user_sgpr_count 2
		.amdhsa_user_sgpr_dispatch_ptr 0
		.amdhsa_user_sgpr_queue_ptr 0
		.amdhsa_user_sgpr_kernarg_segment_ptr 1
		.amdhsa_user_sgpr_dispatch_id 0
		.amdhsa_user_sgpr_private_segment_size 0
		.amdhsa_wavefront_size32 1
		.amdhsa_uses_dynamic_stack 0
		.amdhsa_enable_private_segment 0
		.amdhsa_system_sgpr_workgroup_id_x 1
		.amdhsa_system_sgpr_workgroup_id_y 1
		.amdhsa_system_sgpr_workgroup_id_z 1
		.amdhsa_system_sgpr_workgroup_info 0
		.amdhsa_system_vgpr_workitem_id 1
		.amdhsa_next_free_vgpr 64
		.amdhsa_next_free_sgpr 52
		.amdhsa_reserve_vcc 1
		.amdhsa_float_round_mode_32 0
		.amdhsa_float_round_mode_16_64 0
		.amdhsa_float_denorm_mode_32 3
		.amdhsa_float_denorm_mode_16_64 3
		.amdhsa_fp16_overflow 0
		.amdhsa_workgroup_processor_mode 1
		.amdhsa_memory_ordered 1
		.amdhsa_forward_progress 1
		.amdhsa_inst_pref_size 32
		.amdhsa_round_robin_scheduling 0
		.amdhsa_exception_fp_ieee_invalid_op 0
		.amdhsa_exception_fp_denorm_src 0
		.amdhsa_exception_fp_ieee_div_zero 0
		.amdhsa_exception_fp_ieee_overflow 0
		.amdhsa_exception_fp_ieee_underflow 0
		.amdhsa_exception_fp_ieee_inexact 0
		.amdhsa_exception_int_div_zero 0
	.end_amdhsa_kernel
	.section	.text._ZN12_GLOBAL__N_135rocblas_gemm_batched_general_kernelI19rocblas_complex_numIdELi16ELi16ELi32ELi32ELi8ELi32ELi8ELi8ELi32ELc78ELc78EKS2_S3_S2_EEvlllT_PT11_llS6_llS4_PT12_llPT13_lli,"axG",@progbits,_ZN12_GLOBAL__N_135rocblas_gemm_batched_general_kernelI19rocblas_complex_numIdELi16ELi16ELi32ELi32ELi8ELi32ELi8ELi8ELi32ELc78ELc78EKS2_S3_S2_EEvlllT_PT11_llS6_llS4_PT12_llPT13_lli,comdat
.Lfunc_end136:
	.size	_ZN12_GLOBAL__N_135rocblas_gemm_batched_general_kernelI19rocblas_complex_numIdELi16ELi16ELi32ELi32ELi8ELi32ELi8ELi8ELi32ELc78ELc78EKS2_S3_S2_EEvlllT_PT11_llS6_llS4_PT12_llPT13_lli, .Lfunc_end136-_ZN12_GLOBAL__N_135rocblas_gemm_batched_general_kernelI19rocblas_complex_numIdELi16ELi16ELi32ELi32ELi8ELi32ELi8ELi8ELi32ELc78ELc78EKS2_S3_S2_EEvlllT_PT11_llS6_llS4_PT12_llPT13_lli
                                        ; -- End function
	.set _ZN12_GLOBAL__N_135rocblas_gemm_batched_general_kernelI19rocblas_complex_numIdELi16ELi16ELi32ELi32ELi8ELi32ELi8ELi8ELi32ELc78ELc78EKS2_S3_S2_EEvlllT_PT11_llS6_llS4_PT12_llPT13_lli.num_vgpr, 64
	.set _ZN12_GLOBAL__N_135rocblas_gemm_batched_general_kernelI19rocblas_complex_numIdELi16ELi16ELi32ELi32ELi8ELi32ELi8ELi8ELi32ELc78ELc78EKS2_S3_S2_EEvlllT_PT11_llS6_llS4_PT12_llPT13_lli.num_agpr, 0
	.set _ZN12_GLOBAL__N_135rocblas_gemm_batched_general_kernelI19rocblas_complex_numIdELi16ELi16ELi32ELi32ELi8ELi32ELi8ELi8ELi32ELc78ELc78EKS2_S3_S2_EEvlllT_PT11_llS6_llS4_PT12_llPT13_lli.numbered_sgpr, 52
	.set _ZN12_GLOBAL__N_135rocblas_gemm_batched_general_kernelI19rocblas_complex_numIdELi16ELi16ELi32ELi32ELi8ELi32ELi8ELi8ELi32ELc78ELc78EKS2_S3_S2_EEvlllT_PT11_llS6_llS4_PT12_llPT13_lli.num_named_barrier, 0
	.set _ZN12_GLOBAL__N_135rocblas_gemm_batched_general_kernelI19rocblas_complex_numIdELi16ELi16ELi32ELi32ELi8ELi32ELi8ELi8ELi32ELc78ELc78EKS2_S3_S2_EEvlllT_PT11_llS6_llS4_PT12_llPT13_lli.private_seg_size, 0
	.set _ZN12_GLOBAL__N_135rocblas_gemm_batched_general_kernelI19rocblas_complex_numIdELi16ELi16ELi32ELi32ELi8ELi32ELi8ELi8ELi32ELc78ELc78EKS2_S3_S2_EEvlllT_PT11_llS6_llS4_PT12_llPT13_lli.uses_vcc, 1
	.set _ZN12_GLOBAL__N_135rocblas_gemm_batched_general_kernelI19rocblas_complex_numIdELi16ELi16ELi32ELi32ELi8ELi32ELi8ELi8ELi32ELc78ELc78EKS2_S3_S2_EEvlllT_PT11_llS6_llS4_PT12_llPT13_lli.uses_flat_scratch, 0
	.set _ZN12_GLOBAL__N_135rocblas_gemm_batched_general_kernelI19rocblas_complex_numIdELi16ELi16ELi32ELi32ELi8ELi32ELi8ELi8ELi32ELc78ELc78EKS2_S3_S2_EEvlllT_PT11_llS6_llS4_PT12_llPT13_lli.has_dyn_sized_stack, 0
	.set _ZN12_GLOBAL__N_135rocblas_gemm_batched_general_kernelI19rocblas_complex_numIdELi16ELi16ELi32ELi32ELi8ELi32ELi8ELi8ELi32ELc78ELc78EKS2_S3_S2_EEvlllT_PT11_llS6_llS4_PT12_llPT13_lli.has_recursion, 0
	.set _ZN12_GLOBAL__N_135rocblas_gemm_batched_general_kernelI19rocblas_complex_numIdELi16ELi16ELi32ELi32ELi8ELi32ELi8ELi8ELi32ELc78ELc78EKS2_S3_S2_EEvlllT_PT11_llS6_llS4_PT12_llPT13_lli.has_indirect_call, 0
	.section	.AMDGPU.csdata,"",@progbits
; Kernel info:
; codeLenInByte = 4020
; TotalNumSgprs: 54
; NumVgprs: 64
; ScratchSize: 0
; MemoryBound: 0
; FloatMode: 240
; IeeeMode: 1
; LDSByteSize: 8192 bytes/workgroup (compile time only)
; SGPRBlocks: 0
; VGPRBlocks: 7
; NumSGPRsForWavesPerEU: 54
; NumVGPRsForWavesPerEU: 64
; Occupancy: 16
; WaveLimiterHint : 0
; COMPUTE_PGM_RSRC2:SCRATCH_EN: 0
; COMPUTE_PGM_RSRC2:USER_SGPR: 2
; COMPUTE_PGM_RSRC2:TRAP_HANDLER: 0
; COMPUTE_PGM_RSRC2:TGID_X_EN: 1
; COMPUTE_PGM_RSRC2:TGID_Y_EN: 1
; COMPUTE_PGM_RSRC2:TGID_Z_EN: 1
; COMPUTE_PGM_RSRC2:TIDIG_COMP_CNT: 1
	.section	.text._ZN12_GLOBAL__N_135rocblas_gemm_batched_general_kernelI19rocblas_complex_numIdELi16ELi16ELi32ELi32ELi8ELi32ELi8ELi8ELi32ELc84ELc78EKS2_S3_S2_EEvlllT_PT11_llS6_llS4_PT12_llPT13_lli,"axG",@progbits,_ZN12_GLOBAL__N_135rocblas_gemm_batched_general_kernelI19rocblas_complex_numIdELi16ELi16ELi32ELi32ELi8ELi32ELi8ELi8ELi32ELc84ELc78EKS2_S3_S2_EEvlllT_PT11_llS6_llS4_PT12_llPT13_lli,comdat
	.globl	_ZN12_GLOBAL__N_135rocblas_gemm_batched_general_kernelI19rocblas_complex_numIdELi16ELi16ELi32ELi32ELi8ELi32ELi8ELi8ELi32ELc84ELc78EKS2_S3_S2_EEvlllT_PT11_llS6_llS4_PT12_llPT13_lli ; -- Begin function _ZN12_GLOBAL__N_135rocblas_gemm_batched_general_kernelI19rocblas_complex_numIdELi16ELi16ELi32ELi32ELi8ELi32ELi8ELi8ELi32ELc84ELc78EKS2_S3_S2_EEvlllT_PT11_llS6_llS4_PT12_llPT13_lli
	.p2align	8
	.type	_ZN12_GLOBAL__N_135rocblas_gemm_batched_general_kernelI19rocblas_complex_numIdELi16ELi16ELi32ELi32ELi8ELi32ELi8ELi8ELi32ELc84ELc78EKS2_S3_S2_EEvlllT_PT11_llS6_llS4_PT12_llPT13_lli,@function
_ZN12_GLOBAL__N_135rocblas_gemm_batched_general_kernelI19rocblas_complex_numIdELi16ELi16ELi32ELi32ELi8ELi32ELi8ELi8ELi32ELc84ELc78EKS2_S3_S2_EEvlllT_PT11_llS6_llS4_PT12_llPT13_lli: ; @_ZN12_GLOBAL__N_135rocblas_gemm_batched_general_kernelI19rocblas_complex_numIdELi16ELi16ELi32ELi32ELi8ELi32ELi8ELi8ELi32ELc84ELc78EKS2_S3_S2_EEvlllT_PT11_llS6_llS4_PT12_llPT13_lli
; %bb.0:
	s_load_b32 s30, s[0:1], 0x98
	s_lshr_b32 s6, ttmp7, 16
	s_wait_kmcnt 0x0
	s_cmp_ge_i32 s6, s30
	s_cbranch_scc1 .LBB137_39
; %bb.1:
	s_clause 0x3
	s_load_b512 s[8:23], s[0:1], 0x40
	s_load_b512 s[36:51], s[0:1], 0x0
	s_load_b64 s[28:29], s[0:1], 0x90
	s_load_b128 s[24:27], s[0:1], 0x80
	v_bfe_u32 v2, v0, 10, 10
	v_dual_mov_b32 v1, 0 :: v_dual_and_b32 v4, 0x3ff, v0
	s_mov_b32 s2, ttmp9
	s_ashr_i32 s3, ttmp9, 31
	s_and_b32 s0, ttmp7, 0xffff
	s_lshl_b64 s[4:5], s[2:3], 5
	v_lshl_add_u32 v7, v2, 4, v4
	s_lshl_b32 s0, s0, 5
	v_lshlrev_b32_e32 v33, 4, v4
	v_add_co_u32 v9, s3, s0, v2
	s_delay_alu instid0(VALU_DEP_1)
	v_add_co_ci_u32_e64 v10, null, 0, 0, s3
	v_add_co_u32 v5, s3, s4, v4
	s_wait_kmcnt 0x0
	v_cmp_eq_f64_e64 s1, s[14:15], 0
	v_cmp_eq_f64_e64 s2, s[16:17], 0
	v_and_b32_e32 v4, 31, v7
	v_dual_mov_b32 v3, s5 :: v_dual_and_b32 v0, 7, v0
	v_lshl_add_u32 v34, v2, 7, 0x1000
	s_wait_alu 0xf1ff
	v_add_co_ci_u32_e64 v6, null, s5, 0, s3
	v_or_b32_e32 v2, s4, v4
	v_lshrrev_b32_e32 v15, 3, v7
	v_lshlrev_b32_e32 v20, 4, v0
	v_add_co_u32 v11, vcc_lo, v5, 16
	v_lshrrev_b32_e32 v35, 5, v7
	v_mad_co_u64_u32 v[7:8], null, v9, s26, 0
	v_add_co_ci_u32_e64 v12, null, 0, v6, vcc_lo
	v_lshlrev_b32_e32 v16, 4, v4
	v_cmp_gt_i64_e32 vcc_lo, s[36:37], v[2:3]
	v_mad_co_u64_u32 v[3:4], null, v9, s20, 0
	v_add_co_u32 v13, s0, v15, s0
	s_wait_alu 0xf1ff
	v_add_co_ci_u32_e64 v14, null, 0, 0, s0
	v_lshl_or_b32 v15, v15, 7, v20
	v_lshl_or_b32 v36, v35, 9, v16
	v_mad_co_u64_u32 v[16:17], null, v9, s27, v[8:9]
	s_delay_alu instid0(VALU_DEP_4)
	v_cmp_gt_i64_e64 s4, s[38:39], v[13:14]
	v_mad_co_u64_u32 v[17:18], null, v9, s21, v[4:5]
	v_add_nc_u32_e32 v37, 0x1000, v15
	v_mad_co_u64_u32 v[14:15], null, s10, v13, 0
	v_cmp_gt_i64_e64 s0, s[38:39], v[9:10]
	s_lshl_b64 s[34:35], s[20:21], 4
	s_mul_i32 s20, s48, s5
	s_and_b32 s31, s1, s2
	v_add_co_u32 v9, s1, v9, 16
	v_mov_b32_e32 v4, v15
	s_wait_alu 0xf1ff
	v_add_co_ci_u32_e64 v10, null, 0, v10, s1
	v_cmp_gt_i64_e64 s2, s[36:37], v[11:12]
	v_cmp_gt_i64_e64 s1, s[36:37], v[5:6]
	v_mad_co_u64_u32 v[18:19], null, s11, v13, v[4:5]
	v_mov_b32_e32 v4, v17
	v_cmp_gt_i64_e64 s3, s[38:39], v[9:10]
	v_mul_lo_u32 v13, s49, v2
	v_mad_co_u64_u32 v[9:10], null, s48, v2, 0
	s_delay_alu instid0(VALU_DEP_4) | instskip(SKIP_4) | instid1(VALU_DEP_1)
	v_lshlrev_b64_e32 v[3:4], 4, v[3:4]
	v_dual_mov_b32 v15, v18 :: v_dual_mov_b32 v8, v16
	s_mov_b32 s7, 0
	s_lshl_b64 s[10:11], s[26:27], 4
	s_xor_b32 s21, vcc_lo, -1
	v_lshlrev_b64_e32 v[11:12], 4, v[14:15]
	s_wait_alu 0xfffe
	v_add3_u32 v10, v10, s20, v13
	v_add_co_u32 v38, s5, s18, v3
	s_wait_alu 0xf1ff
	v_add_co_ci_u32_e64 v39, null, s19, v4, s5
	v_add_co_u32 v4, s5, v11, v20
	v_lshlrev_b64_e32 v[2:3], 4, v[9:10]
	s_wait_alu 0xf1ff
	v_add_co_ci_u32_e64 v11, null, 0, v12, s5
	v_lshlrev_b32_e32 v12, 4, v35
	v_add_co_u32 v9, s5, s8, v4
	s_wait_alu 0xf1ff
	s_delay_alu instid0(VALU_DEP_3) | instskip(NEXT) | instid1(VALU_DEP_3)
	v_add_co_ci_u32_e64 v10, null, s9, v11, s5
	v_add_co_u32 v2, s5, v2, v12
	s_wait_alu 0xf1ff
	v_add_co_ci_u32_e64 v3, null, 0, v3, s5
	v_cmp_gt_i64_e64 s20, s[40:41], 0
	s_delay_alu instid0(VALU_DEP_3) | instskip(SKIP_1) | instid1(VALU_DEP_3)
	v_add_co_u32 v11, s5, s46, v2
	s_wait_alu 0xf1ff
	v_add_co_ci_u32_e64 v12, null, s47, v3, s5
	s_lshl_b64 s[8:9], s[12:13], 4
	s_lshl_b64 s[12:13], s[50:51], 4
	s_xor_b32 s26, s4, -1
	s_lshl_b64 s[4:5], s[34:35], 4
	s_branch .LBB137_4
.LBB137_2:                              ;   in Loop: Header=BB137_4 Depth=1
	s_wait_alu 0xfffe
	s_or_b32 exec_lo, exec_lo, s27
.LBB137_3:                              ;   in Loop: Header=BB137_4 Depth=1
	s_add_co_i32 s6, s6, 0x10000
	s_wait_alu 0xfffe
	s_cmp_lt_i32 s6, s30
	s_cbranch_scc0 .LBB137_39
.LBB137_4:                              ; =>This Loop Header: Depth=1
                                        ;     Child Loop BB137_7 Depth 2
	s_and_not1_b32 vcc_lo, exec_lo, s20
	s_wait_alu 0xfffe
	s_cbranch_vccnz .LBB137_15
; %bb.5:                                ;   in Loop: Header=BB137_4 Depth=1
	v_mad_co_u64_u32 v[13:14], null, s8, s6, v[9:10]
	v_mad_co_u64_u32 v[15:16], null, s12, s6, v[11:12]
	v_mov_b32_e32 v19, 0
	v_dual_mov_b32 v21, 0 :: v_dual_mov_b32 v20, 0
	s_delay_alu instid0(VALU_DEP_4)
	v_dual_mov_b32 v27, 0 :: v_dual_mov_b32 v2, v14
	v_mov_b32_e32 v23, 0
	v_dual_mov_b32 v24, 0 :: v_dual_mov_b32 v3, v16
	v_dual_mov_b32 v22, 0 :: v_dual_mov_b32 v25, 0
	v_mov_b32_e32 v28, 0
	v_mov_b32_e32 v26, 0
	s_delay_alu instid0(VALU_DEP_4) | instskip(SKIP_3) | instid1(VALU_DEP_4)
	v_mad_co_u64_u32 v[16:17], null, s9, s6, v[2:3]
	v_mad_co_u64_u32 v[2:3], null, s13, s6, v[3:4]
	v_mov_b32_e32 v17, 0
	v_dual_mov_b32 v18, 0 :: v_dual_mov_b32 v31, 0
	v_dual_mov_b32 v29, 0 :: v_dual_mov_b32 v14, v16
	v_mov_b32_e32 v32, 0
	v_mov_b32_e32 v30, 0
	;; [unrolled: 1-line block ×3, first 2 shown]
	s_mov_b64 s[18:19], 0
	s_branch .LBB137_7
.LBB137_6:                              ;   in Loop: Header=BB137_7 Depth=2
	s_wait_alu 0xfffe
	s_or_b32 exec_lo, exec_lo, s27
	s_wait_dscnt 0x0
	s_barrier_signal -1
	s_barrier_wait -1
	global_inv scope:SCOPE_SE
	ds_load_b128 v[40:43], v34
	ds_load_b128 v[44:47], v34 offset:16
	ds_load_b128 v[48:51], v34 offset:32
	;; [unrolled: 1-line block ×3, first 2 shown]
	ds_load_b128 v[56:59], v33
	s_add_nc_u64 s[18:19], s[18:19], 8
	v_add_co_u32 v13, vcc_lo, 0x80, v13
	s_wait_alu 0xfffe
	v_cmp_lt_i64_e64 s27, s[18:19], s[40:41]
	s_wait_alu 0xfffd
	v_add_co_ci_u32_e64 v14, null, 0, v14, vcc_lo
	v_add_co_u32 v15, vcc_lo, 0x80, v15
	s_wait_alu 0xfffd
	v_add_co_ci_u32_e64 v16, null, 0, v16, vcc_lo
	s_and_b32 vcc_lo, exec_lo, s27
	s_wait_dscnt 0x0
	v_mul_f64_e32 v[2:3], v[42:43], v[58:59]
	v_mul_f64_e32 v[60:61], v[40:41], v[58:59]
	s_delay_alu instid0(VALU_DEP_2) | instskip(NEXT) | instid1(VALU_DEP_2)
	v_fma_f64 v[2:3], v[40:41], v[56:57], -v[2:3]
	v_fma_f64 v[60:61], v[42:43], v[56:57], v[60:61]
	s_delay_alu instid0(VALU_DEP_2) | instskip(NEXT) | instid1(VALU_DEP_2)
	v_add_f64_e32 v[2:3], v[29:30], v[2:3]
	v_add_f64_e32 v[60:61], v[60:61], v[31:32]
	ds_load_b128 v[29:32], v33 offset:256
	s_wait_dscnt 0x0
	v_mul_f64_e32 v[62:63], v[42:43], v[31:32]
	s_delay_alu instid0(VALU_DEP_1) | instskip(SKIP_1) | instid1(VALU_DEP_2)
	v_fma_f64 v[62:63], v[40:41], v[29:30], -v[62:63]
	v_mul_f64_e32 v[40:41], v[40:41], v[31:32]
	v_add_f64_e32 v[62:63], v[17:18], v[62:63]
	s_delay_alu instid0(VALU_DEP_2) | instskip(NEXT) | instid1(VALU_DEP_1)
	v_fma_f64 v[40:41], v[42:43], v[29:30], v[40:41]
	v_add_f64_e32 v[25:26], v[40:41], v[25:26]
	ds_load_b128 v[40:43], v34 offset:2048
	s_wait_dscnt 0x0
	v_mul_f64_e32 v[17:18], v[42:43], v[58:59]
	v_mul_f64_e32 v[58:59], v[40:41], v[58:59]
	s_delay_alu instid0(VALU_DEP_2) | instskip(NEXT) | instid1(VALU_DEP_2)
	v_fma_f64 v[17:18], v[40:41], v[56:57], -v[17:18]
	v_fma_f64 v[56:57], v[42:43], v[56:57], v[58:59]
	s_delay_alu instid0(VALU_DEP_2) | instskip(SKIP_2) | instid1(VALU_DEP_4)
	v_add_f64_e32 v[58:59], v[21:22], v[17:18]
	v_mul_f64_e32 v[17:18], v[42:43], v[31:32]
	v_mul_f64_e32 v[21:22], v[40:41], v[31:32]
	v_add_f64_e32 v[56:57], v[56:57], v[27:28]
	s_delay_alu instid0(VALU_DEP_3) | instskip(NEXT) | instid1(VALU_DEP_3)
	v_fma_f64 v[17:18], v[40:41], v[29:30], -v[17:18]
	v_fma_f64 v[21:22], v[42:43], v[29:30], v[21:22]
	s_delay_alu instid0(VALU_DEP_2)
	v_add_f64_e32 v[29:30], v[19:20], v[17:18]
	ds_load_b128 v[17:20], v33 offset:512
	v_add_f64_e32 v[31:32], v[21:22], v[23:24]
	s_wait_dscnt 0x0
	v_mul_f64_e32 v[21:22], v[46:47], v[19:20]
	v_mul_f64_e32 v[23:24], v[44:45], v[19:20]
	s_delay_alu instid0(VALU_DEP_2) | instskip(NEXT) | instid1(VALU_DEP_2)
	v_fma_f64 v[21:22], v[44:45], v[17:18], -v[21:22]
	v_fma_f64 v[23:24], v[46:47], v[17:18], v[23:24]
	s_delay_alu instid0(VALU_DEP_2) | instskip(NEXT) | instid1(VALU_DEP_2)
	v_add_f64_e32 v[2:3], v[2:3], v[21:22]
	v_add_f64_e32 v[40:41], v[23:24], v[60:61]
	ds_load_b128 v[21:24], v33 offset:768
	s_wait_dscnt 0x0
	v_mul_f64_e32 v[27:28], v[46:47], v[23:24]
	v_mul_f64_e32 v[42:43], v[44:45], v[23:24]
	s_delay_alu instid0(VALU_DEP_2) | instskip(NEXT) | instid1(VALU_DEP_2)
	v_fma_f64 v[27:28], v[44:45], v[21:22], -v[27:28]
	v_fma_f64 v[42:43], v[46:47], v[21:22], v[42:43]
	s_delay_alu instid0(VALU_DEP_2) | instskip(NEXT) | instid1(VALU_DEP_2)
	v_add_f64_e32 v[44:45], v[62:63], v[27:28]
	v_add_f64_e32 v[42:43], v[42:43], v[25:26]
	ds_load_b128 v[25:28], v34 offset:2064
	s_wait_dscnt 0x0
	v_mul_f64_e32 v[46:47], v[27:28], v[19:20]
	v_mul_f64_e32 v[19:20], v[25:26], v[19:20]
	s_delay_alu instid0(VALU_DEP_2) | instskip(NEXT) | instid1(VALU_DEP_2)
	v_fma_f64 v[46:47], v[25:26], v[17:18], -v[46:47]
	v_fma_f64 v[17:18], v[27:28], v[17:18], v[19:20]
	v_mul_f64_e32 v[19:20], v[25:26], v[23:24]
	s_delay_alu instid0(VALU_DEP_3) | instskip(NEXT) | instid1(VALU_DEP_3)
	v_add_f64_e32 v[46:47], v[58:59], v[46:47]
	v_add_f64_e32 v[56:57], v[17:18], v[56:57]
	v_mul_f64_e32 v[17:18], v[27:28], v[23:24]
	s_delay_alu instid0(VALU_DEP_4) | instskip(NEXT) | instid1(VALU_DEP_2)
	v_fma_f64 v[19:20], v[27:28], v[21:22], v[19:20]
	v_fma_f64 v[17:18], v[25:26], v[21:22], -v[17:18]
	s_delay_alu instid0(VALU_DEP_2) | instskip(NEXT) | instid1(VALU_DEP_2)
	v_add_f64_e32 v[31:32], v[19:20], v[31:32]
	v_add_f64_e32 v[29:30], v[29:30], v[17:18]
	ds_load_b128 v[17:20], v33 offset:1024
	s_wait_dscnt 0x0
	v_mul_f64_e32 v[21:22], v[50:51], v[19:20]
	v_mul_f64_e32 v[23:24], v[48:49], v[19:20]
	s_delay_alu instid0(VALU_DEP_2) | instskip(NEXT) | instid1(VALU_DEP_2)
	v_fma_f64 v[21:22], v[48:49], v[17:18], -v[21:22]
	v_fma_f64 v[23:24], v[50:51], v[17:18], v[23:24]
	s_delay_alu instid0(VALU_DEP_2) | instskip(NEXT) | instid1(VALU_DEP_2)
	v_add_f64_e32 v[2:3], v[2:3], v[21:22]
	v_add_f64_e32 v[40:41], v[23:24], v[40:41]
	ds_load_b128 v[21:24], v33 offset:1280
	s_wait_dscnt 0x0
	v_mul_f64_e32 v[25:26], v[50:51], v[23:24]
	v_mul_f64_e32 v[27:28], v[48:49], v[23:24]
	s_delay_alu instid0(VALU_DEP_2) | instskip(NEXT) | instid1(VALU_DEP_2)
	v_fma_f64 v[25:26], v[48:49], v[21:22], -v[25:26]
	v_fma_f64 v[27:28], v[50:51], v[21:22], v[27:28]
	s_delay_alu instid0(VALU_DEP_2) | instskip(NEXT) | instid1(VALU_DEP_2)
	v_add_f64_e32 v[44:45], v[44:45], v[25:26]
	v_add_f64_e32 v[42:43], v[27:28], v[42:43]
	ds_load_b128 v[25:28], v34 offset:2080
	s_wait_dscnt 0x0
	v_mul_f64_e32 v[48:49], v[27:28], v[19:20]
	v_mul_f64_e32 v[19:20], v[25:26], v[19:20]
	s_delay_alu instid0(VALU_DEP_2) | instskip(NEXT) | instid1(VALU_DEP_2)
	v_fma_f64 v[48:49], v[25:26], v[17:18], -v[48:49]
	v_fma_f64 v[17:18], v[27:28], v[17:18], v[19:20]
	v_mul_f64_e32 v[19:20], v[25:26], v[23:24]
	s_delay_alu instid0(VALU_DEP_3) | instskip(NEXT) | instid1(VALU_DEP_3)
	v_add_f64_e32 v[46:47], v[46:47], v[48:49]
	v_add_f64_e32 v[48:49], v[17:18], v[56:57]
	v_mul_f64_e32 v[17:18], v[27:28], v[23:24]
	s_delay_alu instid0(VALU_DEP_4) | instskip(NEXT) | instid1(VALU_DEP_2)
	v_fma_f64 v[19:20], v[27:28], v[21:22], v[19:20]
	v_fma_f64 v[17:18], v[25:26], v[21:22], -v[17:18]
	s_delay_alu instid0(VALU_DEP_2) | instskip(NEXT) | instid1(VALU_DEP_2)
	v_add_f64_e32 v[31:32], v[19:20], v[31:32]
	v_add_f64_e32 v[29:30], v[29:30], v[17:18]
	ds_load_b128 v[17:20], v33 offset:1536
	;; [unrolled: 38-line block ×3, first 2 shown]
	ds_load_b128 v[21:24], v33 offset:2048
	s_wait_dscnt 0x0
	v_mul_f64_e32 v[25:26], v[19:20], v[23:24]
	v_mul_f64_e32 v[27:28], v[17:18], v[23:24]
	s_delay_alu instid0(VALU_DEP_2) | instskip(NEXT) | instid1(VALU_DEP_2)
	v_fma_f64 v[25:26], v[17:18], v[21:22], -v[25:26]
	v_fma_f64 v[27:28], v[19:20], v[21:22], v[27:28]
	s_delay_alu instid0(VALU_DEP_2) | instskip(NEXT) | instid1(VALU_DEP_2)
	v_add_f64_e32 v[2:3], v[2:3], v[25:26]
	v_add_f64_e32 v[40:41], v[27:28], v[40:41]
	ds_load_b128 v[25:28], v33 offset:2304
	s_wait_dscnt 0x0
	v_mul_f64_e32 v[50:51], v[19:20], v[27:28]
	s_delay_alu instid0(VALU_DEP_1) | instskip(SKIP_1) | instid1(VALU_DEP_2)
	v_fma_f64 v[50:51], v[17:18], v[25:26], -v[50:51]
	v_mul_f64_e32 v[17:18], v[17:18], v[27:28]
	v_add_f64_e32 v[44:45], v[44:45], v[50:51]
	s_delay_alu instid0(VALU_DEP_2) | instskip(NEXT) | instid1(VALU_DEP_1)
	v_fma_f64 v[17:18], v[19:20], v[25:26], v[17:18]
	v_add_f64_e32 v[42:43], v[17:18], v[42:43]
	ds_load_b128 v[17:20], v34 offset:2112
	s_wait_dscnt 0x0
	v_mul_f64_e32 v[50:51], v[19:20], v[23:24]
	v_mul_f64_e32 v[23:24], v[17:18], v[23:24]
	s_delay_alu instid0(VALU_DEP_2) | instskip(NEXT) | instid1(VALU_DEP_2)
	v_fma_f64 v[50:51], v[17:18], v[21:22], -v[50:51]
	v_fma_f64 v[21:22], v[19:20], v[21:22], v[23:24]
	s_delay_alu instid0(VALU_DEP_2) | instskip(NEXT) | instid1(VALU_DEP_2)
	v_add_f64_e32 v[46:47], v[46:47], v[50:51]
	v_add_f64_e32 v[48:49], v[21:22], v[48:49]
	v_mul_f64_e32 v[21:22], v[19:20], v[27:28]
	s_delay_alu instid0(VALU_DEP_1) | instskip(SKIP_1) | instid1(VALU_DEP_2)
	v_fma_f64 v[21:22], v[17:18], v[25:26], -v[21:22]
	v_mul_f64_e32 v[17:18], v[17:18], v[27:28]
	v_add_f64_e32 v[29:30], v[29:30], v[21:22]
	s_delay_alu instid0(VALU_DEP_2) | instskip(NEXT) | instid1(VALU_DEP_1)
	v_fma_f64 v[17:18], v[19:20], v[25:26], v[17:18]
	v_add_f64_e32 v[31:32], v[17:18], v[31:32]
	ds_load_b128 v[17:20], v34 offset:80
	ds_load_b128 v[21:24], v33 offset:2560
	s_wait_dscnt 0x0
	v_mul_f64_e32 v[25:26], v[19:20], v[23:24]
	v_mul_f64_e32 v[27:28], v[17:18], v[23:24]
	s_delay_alu instid0(VALU_DEP_2) | instskip(NEXT) | instid1(VALU_DEP_2)
	v_fma_f64 v[25:26], v[17:18], v[21:22], -v[25:26]
	v_fma_f64 v[27:28], v[19:20], v[21:22], v[27:28]
	s_delay_alu instid0(VALU_DEP_2) | instskip(NEXT) | instid1(VALU_DEP_2)
	v_add_f64_e32 v[2:3], v[2:3], v[25:26]
	v_add_f64_e32 v[40:41], v[27:28], v[40:41]
	ds_load_b128 v[25:28], v33 offset:2816
	s_wait_dscnt 0x0
	v_mul_f64_e32 v[50:51], v[19:20], v[27:28]
	s_delay_alu instid0(VALU_DEP_1) | instskip(SKIP_1) | instid1(VALU_DEP_2)
	v_fma_f64 v[50:51], v[17:18], v[25:26], -v[50:51]
	v_mul_f64_e32 v[17:18], v[17:18], v[27:28]
	v_add_f64_e32 v[44:45], v[44:45], v[50:51]
	s_delay_alu instid0(VALU_DEP_2) | instskip(NEXT) | instid1(VALU_DEP_1)
	v_fma_f64 v[17:18], v[19:20], v[25:26], v[17:18]
	v_add_f64_e32 v[42:43], v[17:18], v[42:43]
	ds_load_b128 v[17:20], v34 offset:2128
	s_wait_dscnt 0x0
	v_mul_f64_e32 v[50:51], v[19:20], v[23:24]
	v_mul_f64_e32 v[23:24], v[17:18], v[23:24]
	s_delay_alu instid0(VALU_DEP_2) | instskip(NEXT) | instid1(VALU_DEP_2)
	v_fma_f64 v[50:51], v[17:18], v[21:22], -v[50:51]
	v_fma_f64 v[21:22], v[19:20], v[21:22], v[23:24]
	s_delay_alu instid0(VALU_DEP_2) | instskip(NEXT) | instid1(VALU_DEP_2)
	v_add_f64_e32 v[46:47], v[46:47], v[50:51]
	v_add_f64_e32 v[48:49], v[21:22], v[48:49]
	v_mul_f64_e32 v[21:22], v[19:20], v[27:28]
	s_delay_alu instid0(VALU_DEP_1) | instskip(SKIP_1) | instid1(VALU_DEP_2)
	v_fma_f64 v[21:22], v[17:18], v[25:26], -v[21:22]
	v_mul_f64_e32 v[17:18], v[17:18], v[27:28]
	v_add_f64_e32 v[29:30], v[29:30], v[21:22]
	s_delay_alu instid0(VALU_DEP_2) | instskip(NEXT) | instid1(VALU_DEP_1)
	v_fma_f64 v[17:18], v[19:20], v[25:26], v[17:18]
	v_add_f64_e32 v[31:32], v[17:18], v[31:32]
	ds_load_b128 v[17:20], v34 offset:96
	;; [unrolled: 39-line block ×3, first 2 shown]
	ds_load_b128 v[21:24], v33 offset:3584
	s_wait_dscnt 0x0
	v_mul_f64_e32 v[27:28], v[17:18], v[23:24]
	v_mul_f64_e32 v[25:26], v[19:20], v[23:24]
	s_delay_alu instid0(VALU_DEP_2) | instskip(NEXT) | instid1(VALU_DEP_2)
	v_fma_f64 v[27:28], v[19:20], v[21:22], v[27:28]
	v_fma_f64 v[25:26], v[17:18], v[21:22], -v[25:26]
	s_delay_alu instid0(VALU_DEP_2) | instskip(SKIP_4) | instid1(VALU_DEP_1)
	v_add_f64_e32 v[31:32], v[27:28], v[40:41]
	ds_load_b128 v[40:43], v33 offset:3840
	v_add_f64_e32 v[29:30], v[2:3], v[25:26]
	s_wait_dscnt 0x0
	v_mul_f64_e32 v[2:3], v[19:20], v[42:43]
	v_fma_f64 v[2:3], v[17:18], v[40:41], -v[2:3]
	v_mul_f64_e32 v[17:18], v[17:18], v[42:43]
	s_delay_alu instid0(VALU_DEP_1) | instskip(NEXT) | instid1(VALU_DEP_3)
	v_fma_f64 v[19:20], v[19:20], v[40:41], v[17:18]
	v_add_f64_e32 v[17:18], v[44:45], v[2:3]
	ds_load_b128 v[44:47], v34 offset:2160
	s_wait_loadcnt_dscnt 0x0
	s_barrier_signal -1
	s_barrier_wait -1
	global_inv scope:SCOPE_SE
	v_mul_f64_e32 v[2:3], v[46:47], v[23:24]
	v_add_f64_e32 v[25:26], v[19:20], v[50:51]
	v_mul_f64_e32 v[19:20], v[44:45], v[23:24]
	s_delay_alu instid0(VALU_DEP_3) | instskip(NEXT) | instid1(VALU_DEP_2)
	v_fma_f64 v[2:3], v[44:45], v[21:22], -v[2:3]
	v_fma_f64 v[19:20], v[46:47], v[21:22], v[19:20]
	s_delay_alu instid0(VALU_DEP_2) | instskip(SKIP_1) | instid1(VALU_DEP_3)
	v_add_f64_e32 v[21:22], v[52:53], v[2:3]
	v_mul_f64_e32 v[2:3], v[46:47], v[42:43]
	v_add_f64_e32 v[27:28], v[19:20], v[48:49]
	v_mul_f64_e32 v[19:20], v[44:45], v[42:43]
	s_delay_alu instid0(VALU_DEP_3) | instskip(NEXT) | instid1(VALU_DEP_2)
	v_fma_f64 v[2:3], v[44:45], v[40:41], -v[2:3]
	v_fma_f64 v[23:24], v[46:47], v[40:41], v[19:20]
	s_delay_alu instid0(VALU_DEP_2) | instskip(NEXT) | instid1(VALU_DEP_2)
	v_add_f64_e32 v[19:20], v[54:55], v[2:3]
	v_add_f64_e32 v[23:24], v[23:24], v[56:57]
	s_wait_alu 0xfffe
	s_cbranch_vccz .LBB137_16
.LBB137_7:                              ;   Parent Loop BB137_4 Depth=1
                                        ; =>  This Inner Loop Header: Depth=2
	s_wait_alu 0xfffe
	v_add_co_u32 v2, s27, v35, s18
	s_wait_alu 0xf1ff
	v_add_co_ci_u32_e64 v3, null, 0, s19, s27
	s_delay_alu instid0(VALU_DEP_1) | instskip(SKIP_3) | instid1(SALU_CYCLE_1)
	v_cmp_le_i64_e32 vcc_lo, s[40:41], v[2:3]
	s_or_b32 s27, s21, vcc_lo
	s_wait_alu 0xfffe
	s_and_saveexec_b32 s33, s27
	s_xor_b32 s27, exec_lo, s33
; %bb.8:                                ;   in Loop: Header=BB137_7 Depth=2
	v_dual_mov_b32 v2, v1 :: v_dual_mov_b32 v3, v1
	v_mov_b32_e32 v4, v1
	ds_store_b128 v36, v[1:4]
; %bb.9:                                ;   in Loop: Header=BB137_7 Depth=2
	s_wait_alu 0xfffe
	s_and_not1_saveexec_b32 s27, s27
	s_cbranch_execz .LBB137_11
; %bb.10:                               ;   in Loop: Header=BB137_7 Depth=2
	global_load_b128 v[40:43], v[15:16], off
	s_wait_loadcnt 0x0
	ds_store_2addr_b64 v36, v[40:41], v[42:43] offset1:1
.LBB137_11:                             ;   in Loop: Header=BB137_7 Depth=2
	s_wait_alu 0xfffe
	s_or_b32 exec_lo, exec_lo, s27
	v_add_co_u32 v2, s27, v0, s18
	s_wait_alu 0xf1ff
	v_add_co_ci_u32_e64 v3, null, 0, s19, s27
	s_delay_alu instid0(VALU_DEP_1) | instskip(SKIP_3) | instid1(SALU_CYCLE_1)
	v_cmp_le_i64_e32 vcc_lo, s[40:41], v[2:3]
	s_or_b32 s27, vcc_lo, s26
	s_wait_alu 0xfffe
	s_and_saveexec_b32 s33, s27
	s_xor_b32 s27, exec_lo, s33
; %bb.12:                               ;   in Loop: Header=BB137_7 Depth=2
	v_dual_mov_b32 v2, v1 :: v_dual_mov_b32 v3, v1
	v_mov_b32_e32 v4, v1
	ds_store_b128 v37, v[1:4]
; %bb.13:                               ;   in Loop: Header=BB137_7 Depth=2
	s_wait_alu 0xfffe
	s_and_not1_saveexec_b32 s27, s27
	s_cbranch_execz .LBB137_6
; %bb.14:                               ;   in Loop: Header=BB137_7 Depth=2
	global_load_b128 v[40:43], v[13:14], off
	s_wait_loadcnt 0x0
	ds_store_2addr_b64 v37, v[40:41], v[42:43] offset1:1
	s_branch .LBB137_6
.LBB137_15:                             ;   in Loop: Header=BB137_4 Depth=1
	v_mov_b32_e32 v29, 0
	v_mov_b32_e32 v17, 0
	;; [unrolled: 1-line block ×3, first 2 shown]
	v_dual_mov_b32 v19, 0 :: v_dual_mov_b32 v30, 0
	v_dual_mov_b32 v31, 0 :: v_dual_mov_b32 v18, 0
	;; [unrolled: 1-line block ×5, first 2 shown]
	v_mov_b32_e32 v26, 0
	v_mov_b32_e32 v28, 0
	;; [unrolled: 1-line block ×3, first 2 shown]
.LBB137_16:                             ;   in Loop: Header=BB137_4 Depth=1
	s_mul_u64 s[18:19], s[28:29], s[6:7]
	s_and_not1_b32 vcc_lo, exec_lo, s31
	s_wait_alu 0xfffe
	s_lshl_b64 s[18:19], s[18:19], 4
	s_mov_b32 s27, -1
	s_wait_alu 0xfffe
	s_add_nc_u64 s[18:19], s[24:25], s[18:19]
	s_cbranch_vccz .LBB137_18
; %bb.17:                               ;   in Loop: Header=BB137_4 Depth=1
	s_and_not1_b32 vcc_lo, exec_lo, s27
	s_wait_alu 0xfffe
	s_cbranch_vccnz .LBB137_3
	s_branch .LBB137_29
.LBB137_18:                             ;   in Loop: Header=BB137_4 Depth=1
	s_and_saveexec_b32 s27, s0
	s_cbranch_execz .LBB137_28
; %bb.19:                               ;   in Loop: Header=BB137_4 Depth=1
	v_lshlrev_b64_e32 v[2:3], 4, v[7:8]
	s_wait_alu 0xfffe
	s_delay_alu instid0(VALU_DEP_1) | instskip(SKIP_1) | instid1(VALU_DEP_2)
	v_add_co_u32 v2, vcc_lo, s18, v2
	s_wait_alu 0xfffd
	v_add_co_ci_u32_e64 v3, null, s19, v3, vcc_lo
	s_and_saveexec_b32 s33, s1
	s_cbranch_execnz .LBB137_22
; %bb.20:                               ;   in Loop: Header=BB137_4 Depth=1
	s_or_b32 exec_lo, exec_lo, s33
	s_and_saveexec_b32 s33, s2
	s_cbranch_execnz .LBB137_23
.LBB137_21:                             ;   in Loop: Header=BB137_4 Depth=1
	s_or_b32 exec_lo, exec_lo, s33
	s_delay_alu instid0(SALU_CYCLE_1)
	s_and_b32 exec_lo, exec_lo, s3
	s_cbranch_execnz .LBB137_24
	s_branch .LBB137_28
.LBB137_22:                             ;   in Loop: Header=BB137_4 Depth=1
	v_mul_f64_e32 v[13:14], s[44:45], v[31:32]
	v_mul_f64_e32 v[15:16], s[42:43], v[31:32]
	v_lshlrev_b64_e32 v[40:41], 4, v[5:6]
	s_delay_alu instid0(VALU_DEP_1) | instskip(SKIP_1) | instid1(VALU_DEP_2)
	v_add_co_u32 v40, vcc_lo, v2, v40
	s_wait_alu 0xfffd
	v_add_co_ci_u32_e64 v41, null, v3, v41, vcc_lo
	v_fma_f64 v[13:14], s[42:43], v[29:30], -v[13:14]
	v_fma_f64 v[15:16], s[44:45], v[29:30], v[15:16]
	global_store_b128 v[40:41], v[13:16], off
	s_or_b32 exec_lo, exec_lo, s33
	s_and_saveexec_b32 s33, s2
	s_cbranch_execz .LBB137_21
.LBB137_23:                             ;   in Loop: Header=BB137_4 Depth=1
	v_mul_f64_e32 v[13:14], s[44:45], v[25:26]
	v_mul_f64_e32 v[15:16], s[42:43], v[25:26]
	v_lshlrev_b64_e32 v[40:41], 4, v[5:6]
	s_delay_alu instid0(VALU_DEP_1) | instskip(SKIP_1) | instid1(VALU_DEP_2)
	v_add_co_u32 v40, vcc_lo, v2, v40
	s_wait_alu 0xfffd
	v_add_co_ci_u32_e64 v41, null, v3, v41, vcc_lo
	v_fma_f64 v[13:14], s[42:43], v[17:18], -v[13:14]
	v_fma_f64 v[15:16], s[44:45], v[17:18], v[15:16]
	global_store_b128 v[40:41], v[13:16], off offset:256
	s_or_b32 exec_lo, exec_lo, s33
	s_delay_alu instid0(SALU_CYCLE_1)
	s_and_b32 exec_lo, exec_lo, s3
	s_cbranch_execz .LBB137_28
.LBB137_24:                             ;   in Loop: Header=BB137_4 Depth=1
	s_lshl_b64 s[34:35], s[10:11], 4
	v_lshlrev_b64_e32 v[13:14], 4, v[5:6]
	s_wait_alu 0xfffe
	v_add_co_u32 v2, vcc_lo, v2, s34
	s_wait_alu 0xfffd
	v_add_co_ci_u32_e64 v3, null, s35, v3, vcc_lo
	s_delay_alu instid0(VALU_DEP_2) | instskip(SKIP_1) | instid1(VALU_DEP_2)
	v_add_co_u32 v2, vcc_lo, v2, v13
	s_wait_alu 0xfffd
	v_add_co_ci_u32_e64 v3, null, v3, v14, vcc_lo
	s_and_saveexec_b32 s33, s1
	s_cbranch_execz .LBB137_26
; %bb.25:                               ;   in Loop: Header=BB137_4 Depth=1
	v_mul_f64_e32 v[13:14], s[44:45], v[27:28]
	v_mul_f64_e32 v[15:16], s[42:43], v[27:28]
	s_delay_alu instid0(VALU_DEP_2) | instskip(NEXT) | instid1(VALU_DEP_2)
	v_fma_f64 v[13:14], s[42:43], v[21:22], -v[13:14]
	v_fma_f64 v[15:16], s[44:45], v[21:22], v[15:16]
	global_store_b128 v[2:3], v[13:16], off
.LBB137_26:                             ;   in Loop: Header=BB137_4 Depth=1
	s_or_b32 exec_lo, exec_lo, s33
	s_delay_alu instid0(SALU_CYCLE_1)
	s_and_b32 exec_lo, exec_lo, s2
	s_cbranch_execz .LBB137_28
; %bb.27:                               ;   in Loop: Header=BB137_4 Depth=1
	v_mul_f64_e32 v[13:14], s[44:45], v[23:24]
	v_mul_f64_e32 v[15:16], s[42:43], v[23:24]
	s_delay_alu instid0(VALU_DEP_2) | instskip(NEXT) | instid1(VALU_DEP_2)
	v_fma_f64 v[13:14], s[42:43], v[19:20], -v[13:14]
	v_fma_f64 v[15:16], s[44:45], v[19:20], v[15:16]
	global_store_b128 v[2:3], v[13:16], off offset:256
.LBB137_28:                             ;   in Loop: Header=BB137_4 Depth=1
	s_wait_alu 0xfffe
	s_or_b32 exec_lo, exec_lo, s27
	s_cbranch_execnz .LBB137_3
.LBB137_29:                             ;   in Loop: Header=BB137_4 Depth=1
	s_and_saveexec_b32 s27, s0
	s_cbranch_execz .LBB137_2
; %bb.30:                               ;   in Loop: Header=BB137_4 Depth=1
	s_mul_u64 s[34:35], s[22:23], s[6:7]
	v_lshlrev_b64_e32 v[14:15], 4, v[7:8]
	s_wait_alu 0xfffe
	s_lshl_b64 s[34:35], s[34:35], 4
	v_lshlrev_b64_e32 v[2:3], 4, v[5:6]
	s_wait_alu 0xfffe
	v_add_co_u32 v4, vcc_lo, v38, s34
	s_wait_alu 0xfffd
	v_add_co_ci_u32_e64 v13, null, s35, v39, vcc_lo
	v_add_co_u32 v14, vcc_lo, s18, v14
	s_wait_alu 0xfffd
	v_add_co_ci_u32_e64 v15, null, s19, v15, vcc_lo
	s_and_saveexec_b32 s18, s1
	s_cbranch_execnz .LBB137_33
; %bb.31:                               ;   in Loop: Header=BB137_4 Depth=1
	s_wait_alu 0xfffe
	s_or_b32 exec_lo, exec_lo, s18
	s_and_saveexec_b32 s18, s2
	s_cbranch_execnz .LBB137_34
.LBB137_32:                             ;   in Loop: Header=BB137_4 Depth=1
	s_wait_alu 0xfffe
	s_or_b32 exec_lo, exec_lo, s18
	s_delay_alu instid0(SALU_CYCLE_1)
	s_and_b32 exec_lo, exec_lo, s3
	s_cbranch_execz .LBB137_2
	s_branch .LBB137_35
.LBB137_33:                             ;   in Loop: Header=BB137_4 Depth=1
	v_add_co_u32 v40, vcc_lo, v4, v2
	s_wait_alu 0xfffd
	v_add_co_ci_u32_e64 v41, null, v13, v3, vcc_lo
	v_mul_f64_e32 v[44:45], s[44:45], v[31:32]
	v_mul_f64_e32 v[31:32], s[42:43], v[31:32]
	global_load_b128 v[40:43], v[40:41], off
	v_fma_f64 v[44:45], s[42:43], v[29:30], -v[44:45]
	v_fma_f64 v[31:32], s[44:45], v[29:30], v[31:32]
	s_wait_loadcnt 0x0
	v_mul_f64_e32 v[46:47], s[16:17], v[42:43]
	v_mul_f64_e32 v[42:43], s[14:15], v[42:43]
	s_delay_alu instid0(VALU_DEP_2) | instskip(NEXT) | instid1(VALU_DEP_2)
	v_fma_f64 v[29:30], s[14:15], v[40:41], -v[46:47]
	v_fma_f64 v[40:41], s[16:17], v[40:41], v[42:43]
	s_delay_alu instid0(VALU_DEP_2) | instskip(NEXT) | instid1(VALU_DEP_2)
	v_add_f64_e32 v[29:30], v[44:45], v[29:30]
	v_add_f64_e32 v[31:32], v[31:32], v[40:41]
	v_add_co_u32 v40, vcc_lo, v14, v2
	s_wait_alu 0xfffd
	v_add_co_ci_u32_e64 v41, null, v15, v3, vcc_lo
	global_store_b128 v[40:41], v[29:32], off
	s_wait_alu 0xfffe
	s_or_b32 exec_lo, exec_lo, s18
	s_and_saveexec_b32 s18, s2
	s_cbranch_execz .LBB137_32
.LBB137_34:                             ;   in Loop: Header=BB137_4 Depth=1
	v_add_co_u32 v29, vcc_lo, v4, v2
	s_wait_alu 0xfffd
	v_add_co_ci_u32_e64 v30, null, v13, v3, vcc_lo
	v_mul_f64_e32 v[40:41], s[44:45], v[25:26]
	v_mul_f64_e32 v[25:26], s[42:43], v[25:26]
	global_load_b128 v[29:32], v[29:30], off offset:256
	v_fma_f64 v[40:41], s[42:43], v[17:18], -v[40:41]
	v_fma_f64 v[16:17], s[44:45], v[17:18], v[25:26]
	s_wait_loadcnt 0x0
	v_mul_f64_e32 v[42:43], s[16:17], v[31:32]
	v_mul_f64_e32 v[31:32], s[14:15], v[31:32]
	s_delay_alu instid0(VALU_DEP_2) | instskip(NEXT) | instid1(VALU_DEP_2)
	v_fma_f64 v[25:26], s[14:15], v[29:30], -v[42:43]
	v_fma_f64 v[31:32], s[16:17], v[29:30], v[31:32]
	s_delay_alu instid0(VALU_DEP_2) | instskip(NEXT) | instid1(VALU_DEP_2)
	v_add_f64_e32 v[29:30], v[40:41], v[25:26]
	v_add_f64_e32 v[31:32], v[16:17], v[31:32]
	v_add_co_u32 v16, vcc_lo, v14, v2
	s_wait_alu 0xfffd
	v_add_co_ci_u32_e64 v17, null, v15, v3, vcc_lo
	global_store_b128 v[16:17], v[29:32], off offset:256
	s_wait_alu 0xfffe
	s_or_b32 exec_lo, exec_lo, s18
	s_delay_alu instid0(SALU_CYCLE_1)
	s_and_b32 exec_lo, exec_lo, s3
	s_cbranch_execz .LBB137_2
.LBB137_35:                             ;   in Loop: Header=BB137_4 Depth=1
	v_add_co_u32 v4, vcc_lo, v4, s4
	s_lshl_b64 s[18:19], s[10:11], 4
	s_wait_alu 0xfffd
	v_add_co_ci_u32_e64 v16, null, s5, v13, vcc_lo
	s_wait_alu 0xfffe
	v_add_co_u32 v17, vcc_lo, v14, s18
	s_wait_alu 0xfffd
	v_add_co_ci_u32_e64 v15, null, s19, v15, vcc_lo
	v_add_co_u32 v13, vcc_lo, v4, v2
	s_wait_alu 0xfffd
	v_add_co_ci_u32_e64 v14, null, v16, v3, vcc_lo
	;; [unrolled: 3-line block ×3, first 2 shown]
	s_and_saveexec_b32 s18, s1
	s_cbranch_execz .LBB137_37
; %bb.36:                               ;   in Loop: Header=BB137_4 Depth=1
	global_load_b128 v[15:18], v[13:14], off
	v_mul_f64_e32 v[25:26], s[44:45], v[27:28]
	v_mul_f64_e32 v[27:28], s[42:43], v[27:28]
	s_delay_alu instid0(VALU_DEP_2) | instskip(NEXT) | instid1(VALU_DEP_2)
	v_fma_f64 v[25:26], s[42:43], v[21:22], -v[25:26]
	v_fma_f64 v[21:22], s[44:45], v[21:22], v[27:28]
	s_wait_loadcnt 0x0
	v_mul_f64_e32 v[29:30], s[16:17], v[17:18]
	v_mul_f64_e32 v[17:18], s[14:15], v[17:18]
	s_delay_alu instid0(VALU_DEP_2) | instskip(NEXT) | instid1(VALU_DEP_2)
	v_fma_f64 v[27:28], s[14:15], v[15:16], -v[29:30]
	v_fma_f64 v[17:18], s[16:17], v[15:16], v[17:18]
	s_delay_alu instid0(VALU_DEP_2) | instskip(NEXT) | instid1(VALU_DEP_2)
	v_add_f64_e32 v[15:16], v[25:26], v[27:28]
	v_add_f64_e32 v[17:18], v[21:22], v[17:18]
	global_store_b128 v[2:3], v[15:18], off
.LBB137_37:                             ;   in Loop: Header=BB137_4 Depth=1
	s_wait_alu 0xfffe
	s_or_b32 exec_lo, exec_lo, s18
	s_delay_alu instid0(SALU_CYCLE_1)
	s_and_b32 exec_lo, exec_lo, s2
	s_cbranch_execz .LBB137_2
; %bb.38:                               ;   in Loop: Header=BB137_4 Depth=1
	global_load_b128 v[13:16], v[13:14], off offset:256
	v_mul_f64_e32 v[17:18], s[44:45], v[23:24]
	v_mul_f64_e32 v[21:22], s[42:43], v[23:24]
	s_delay_alu instid0(VALU_DEP_2) | instskip(NEXT) | instid1(VALU_DEP_2)
	v_fma_f64 v[17:18], s[42:43], v[19:20], -v[17:18]
	v_fma_f64 v[19:20], s[44:45], v[19:20], v[21:22]
	s_wait_loadcnt 0x0
	v_mul_f64_e32 v[23:24], s[16:17], v[15:16]
	v_mul_f64_e32 v[15:16], s[14:15], v[15:16]
	s_delay_alu instid0(VALU_DEP_2) | instskip(NEXT) | instid1(VALU_DEP_2)
	v_fma_f64 v[21:22], s[14:15], v[13:14], -v[23:24]
	v_fma_f64 v[15:16], s[16:17], v[13:14], v[15:16]
	s_delay_alu instid0(VALU_DEP_2) | instskip(NEXT) | instid1(VALU_DEP_2)
	v_add_f64_e32 v[13:14], v[17:18], v[21:22]
	v_add_f64_e32 v[15:16], v[19:20], v[15:16]
	global_store_b128 v[2:3], v[13:16], off offset:256
	s_branch .LBB137_2
.LBB137_39:
	s_endpgm
	.section	.rodata,"a",@progbits
	.p2align	6, 0x0
	.amdhsa_kernel _ZN12_GLOBAL__N_135rocblas_gemm_batched_general_kernelI19rocblas_complex_numIdELi16ELi16ELi32ELi32ELi8ELi32ELi8ELi8ELi32ELc84ELc78EKS2_S3_S2_EEvlllT_PT11_llS6_llS4_PT12_llPT13_lli
		.amdhsa_group_segment_fixed_size 8192
		.amdhsa_private_segment_fixed_size 0
		.amdhsa_kernarg_size 156
		.amdhsa_user_sgpr_count 2
		.amdhsa_user_sgpr_dispatch_ptr 0
		.amdhsa_user_sgpr_queue_ptr 0
		.amdhsa_user_sgpr_kernarg_segment_ptr 1
		.amdhsa_user_sgpr_dispatch_id 0
		.amdhsa_user_sgpr_private_segment_size 0
		.amdhsa_wavefront_size32 1
		.amdhsa_uses_dynamic_stack 0
		.amdhsa_enable_private_segment 0
		.amdhsa_system_sgpr_workgroup_id_x 1
		.amdhsa_system_sgpr_workgroup_id_y 1
		.amdhsa_system_sgpr_workgroup_id_z 1
		.amdhsa_system_sgpr_workgroup_info 0
		.amdhsa_system_vgpr_workitem_id 1
		.amdhsa_next_free_vgpr 64
		.amdhsa_next_free_sgpr 52
		.amdhsa_reserve_vcc 1
		.amdhsa_float_round_mode_32 0
		.amdhsa_float_round_mode_16_64 0
		.amdhsa_float_denorm_mode_32 3
		.amdhsa_float_denorm_mode_16_64 3
		.amdhsa_fp16_overflow 0
		.amdhsa_workgroup_processor_mode 1
		.amdhsa_memory_ordered 1
		.amdhsa_forward_progress 1
		.amdhsa_inst_pref_size 32
		.amdhsa_round_robin_scheduling 0
		.amdhsa_exception_fp_ieee_invalid_op 0
		.amdhsa_exception_fp_denorm_src 0
		.amdhsa_exception_fp_ieee_div_zero 0
		.amdhsa_exception_fp_ieee_overflow 0
		.amdhsa_exception_fp_ieee_underflow 0
		.amdhsa_exception_fp_ieee_inexact 0
		.amdhsa_exception_int_div_zero 0
	.end_amdhsa_kernel
	.section	.text._ZN12_GLOBAL__N_135rocblas_gemm_batched_general_kernelI19rocblas_complex_numIdELi16ELi16ELi32ELi32ELi8ELi32ELi8ELi8ELi32ELc84ELc78EKS2_S3_S2_EEvlllT_PT11_llS6_llS4_PT12_llPT13_lli,"axG",@progbits,_ZN12_GLOBAL__N_135rocblas_gemm_batched_general_kernelI19rocblas_complex_numIdELi16ELi16ELi32ELi32ELi8ELi32ELi8ELi8ELi32ELc84ELc78EKS2_S3_S2_EEvlllT_PT11_llS6_llS4_PT12_llPT13_lli,comdat
.Lfunc_end137:
	.size	_ZN12_GLOBAL__N_135rocblas_gemm_batched_general_kernelI19rocblas_complex_numIdELi16ELi16ELi32ELi32ELi8ELi32ELi8ELi8ELi32ELc84ELc78EKS2_S3_S2_EEvlllT_PT11_llS6_llS4_PT12_llPT13_lli, .Lfunc_end137-_ZN12_GLOBAL__N_135rocblas_gemm_batched_general_kernelI19rocblas_complex_numIdELi16ELi16ELi32ELi32ELi8ELi32ELi8ELi8ELi32ELc84ELc78EKS2_S3_S2_EEvlllT_PT11_llS6_llS4_PT12_llPT13_lli
                                        ; -- End function
	.set _ZN12_GLOBAL__N_135rocblas_gemm_batched_general_kernelI19rocblas_complex_numIdELi16ELi16ELi32ELi32ELi8ELi32ELi8ELi8ELi32ELc84ELc78EKS2_S3_S2_EEvlllT_PT11_llS6_llS4_PT12_llPT13_lli.num_vgpr, 64
	.set _ZN12_GLOBAL__N_135rocblas_gemm_batched_general_kernelI19rocblas_complex_numIdELi16ELi16ELi32ELi32ELi8ELi32ELi8ELi8ELi32ELc84ELc78EKS2_S3_S2_EEvlllT_PT11_llS6_llS4_PT12_llPT13_lli.num_agpr, 0
	.set _ZN12_GLOBAL__N_135rocblas_gemm_batched_general_kernelI19rocblas_complex_numIdELi16ELi16ELi32ELi32ELi8ELi32ELi8ELi8ELi32ELc84ELc78EKS2_S3_S2_EEvlllT_PT11_llS6_llS4_PT12_llPT13_lli.numbered_sgpr, 52
	.set _ZN12_GLOBAL__N_135rocblas_gemm_batched_general_kernelI19rocblas_complex_numIdELi16ELi16ELi32ELi32ELi8ELi32ELi8ELi8ELi32ELc84ELc78EKS2_S3_S2_EEvlllT_PT11_llS6_llS4_PT12_llPT13_lli.num_named_barrier, 0
	.set _ZN12_GLOBAL__N_135rocblas_gemm_batched_general_kernelI19rocblas_complex_numIdELi16ELi16ELi32ELi32ELi8ELi32ELi8ELi8ELi32ELc84ELc78EKS2_S3_S2_EEvlllT_PT11_llS6_llS4_PT12_llPT13_lli.private_seg_size, 0
	.set _ZN12_GLOBAL__N_135rocblas_gemm_batched_general_kernelI19rocblas_complex_numIdELi16ELi16ELi32ELi32ELi8ELi32ELi8ELi8ELi32ELc84ELc78EKS2_S3_S2_EEvlllT_PT11_llS6_llS4_PT12_llPT13_lli.uses_vcc, 1
	.set _ZN12_GLOBAL__N_135rocblas_gemm_batched_general_kernelI19rocblas_complex_numIdELi16ELi16ELi32ELi32ELi8ELi32ELi8ELi8ELi32ELc84ELc78EKS2_S3_S2_EEvlllT_PT11_llS6_llS4_PT12_llPT13_lli.uses_flat_scratch, 0
	.set _ZN12_GLOBAL__N_135rocblas_gemm_batched_general_kernelI19rocblas_complex_numIdELi16ELi16ELi32ELi32ELi8ELi32ELi8ELi8ELi32ELc84ELc78EKS2_S3_S2_EEvlllT_PT11_llS6_llS4_PT12_llPT13_lli.has_dyn_sized_stack, 0
	.set _ZN12_GLOBAL__N_135rocblas_gemm_batched_general_kernelI19rocblas_complex_numIdELi16ELi16ELi32ELi32ELi8ELi32ELi8ELi8ELi32ELc84ELc78EKS2_S3_S2_EEvlllT_PT11_llS6_llS4_PT12_llPT13_lli.has_recursion, 0
	.set _ZN12_GLOBAL__N_135rocblas_gemm_batched_general_kernelI19rocblas_complex_numIdELi16ELi16ELi32ELi32ELi8ELi32ELi8ELi8ELi32ELc84ELc78EKS2_S3_S2_EEvlllT_PT11_llS6_llS4_PT12_llPT13_lli.has_indirect_call, 0
	.section	.AMDGPU.csdata,"",@progbits
; Kernel info:
; codeLenInByte = 4016
; TotalNumSgprs: 54
; NumVgprs: 64
; ScratchSize: 0
; MemoryBound: 0
; FloatMode: 240
; IeeeMode: 1
; LDSByteSize: 8192 bytes/workgroup (compile time only)
; SGPRBlocks: 0
; VGPRBlocks: 7
; NumSGPRsForWavesPerEU: 54
; NumVGPRsForWavesPerEU: 64
; Occupancy: 16
; WaveLimiterHint : 0
; COMPUTE_PGM_RSRC2:SCRATCH_EN: 0
; COMPUTE_PGM_RSRC2:USER_SGPR: 2
; COMPUTE_PGM_RSRC2:TRAP_HANDLER: 0
; COMPUTE_PGM_RSRC2:TGID_X_EN: 1
; COMPUTE_PGM_RSRC2:TGID_Y_EN: 1
; COMPUTE_PGM_RSRC2:TGID_Z_EN: 1
; COMPUTE_PGM_RSRC2:TIDIG_COMP_CNT: 1
	.section	.text._ZN12_GLOBAL__N_135rocblas_gemm_batched_general_kernelI19rocblas_complex_numIdELi16ELi16ELi32ELi32ELi8ELi32ELi8ELi8ELi32ELc78ELc84EKS2_S3_S2_EEvlllT_PT11_llS6_llS4_PT12_llPT13_lli,"axG",@progbits,_ZN12_GLOBAL__N_135rocblas_gemm_batched_general_kernelI19rocblas_complex_numIdELi16ELi16ELi32ELi32ELi8ELi32ELi8ELi8ELi32ELc78ELc84EKS2_S3_S2_EEvlllT_PT11_llS6_llS4_PT12_llPT13_lli,comdat
	.globl	_ZN12_GLOBAL__N_135rocblas_gemm_batched_general_kernelI19rocblas_complex_numIdELi16ELi16ELi32ELi32ELi8ELi32ELi8ELi8ELi32ELc78ELc84EKS2_S3_S2_EEvlllT_PT11_llS6_llS4_PT12_llPT13_lli ; -- Begin function _ZN12_GLOBAL__N_135rocblas_gemm_batched_general_kernelI19rocblas_complex_numIdELi16ELi16ELi32ELi32ELi8ELi32ELi8ELi8ELi32ELc78ELc84EKS2_S3_S2_EEvlllT_PT11_llS6_llS4_PT12_llPT13_lli
	.p2align	8
	.type	_ZN12_GLOBAL__N_135rocblas_gemm_batched_general_kernelI19rocblas_complex_numIdELi16ELi16ELi32ELi32ELi8ELi32ELi8ELi8ELi32ELc78ELc84EKS2_S3_S2_EEvlllT_PT11_llS6_llS4_PT12_llPT13_lli,@function
_ZN12_GLOBAL__N_135rocblas_gemm_batched_general_kernelI19rocblas_complex_numIdELi16ELi16ELi32ELi32ELi8ELi32ELi8ELi8ELi32ELc78ELc84EKS2_S3_S2_EEvlllT_PT11_llS6_llS4_PT12_llPT13_lli: ; @_ZN12_GLOBAL__N_135rocblas_gemm_batched_general_kernelI19rocblas_complex_numIdELi16ELi16ELi32ELi32ELi8ELi32ELi8ELi8ELi32ELc78ELc84EKS2_S3_S2_EEvlllT_PT11_llS6_llS4_PT12_llPT13_lli
; %bb.0:
	s_load_b32 s33, s[0:1], 0x98
	s_lshr_b32 s6, ttmp7, 16
	s_wait_kmcnt 0x0
	s_cmp_ge_i32 s6, s33
	s_cbranch_scc1 .LBB138_39
; %bb.1:
	s_clause 0x3
	s_load_b512 s[8:23], s[0:1], 0x40
	s_load_b512 s[36:51], s[0:1], 0x0
	s_load_b64 s[28:29], s[0:1], 0x90
	s_load_b128 s[24:27], s[0:1], 0x80
	v_bfe_u32 v2, v0, 10, 10
	v_dual_mov_b32 v1, 0 :: v_dual_and_b32 v4, 0x3ff, v0
	s_and_b32 s35, ttmp7, 0xffff
	s_mov_b32 s30, ttmp9
	s_ashr_i32 s31, ttmp9, 31
	s_lshl_b32 s2, s35, 5
	v_lshl_add_u32 v7, v2, 4, v4
	s_lshl_b64 s[0:1], s[30:31], 5
	s_delay_alu instid0(SALU_CYCLE_1)
	v_dual_mov_b32 v3, s1 :: v_dual_and_b32 v0, 7, v0
	v_add_co_u32 v9, s4, s2, v2
	v_lshlrev_b32_e32 v33, 4, v4
	v_add_co_ci_u32_e64 v10, null, 0, 0, s4
	v_add_co_u32 v5, s4, s0, v4
	v_and_b32_e32 v4, 31, v7
	v_lshrrev_b32_e32 v21, 3, v7
	v_lshlrev_b32_e32 v8, 4, v0
	v_lshl_add_u32 v34, v2, 7, 0x1000
	s_wait_kmcnt 0x0
	v_cmp_eq_f64_e64 s3, s[14:15], 0
	v_or_b32_e32 v2, s0, v4
	v_add_co_u32 v13, s0, v21, s2
	v_cmp_eq_f64_e64 s5, s[16:17], 0
	v_lshrrev_b32_e32 v35, 5, v7
	s_wait_alu 0xf1ff
	v_add_co_ci_u32_e64 v14, null, 0, 0, s0
	v_lshl_or_b32 v15, v21, 7, v8
	v_mad_co_u64_u32 v[7:8], null, v9, s26, 0
	v_add_co_ci_u32_e64 v6, null, s1, 0, s4
	s_delay_alu instid0(VALU_DEP_4)
	v_cmp_gt_i64_e64 s4, s[38:39], v[13:14]
	v_mad_co_u64_u32 v[13:14], null, s10, v0, 0
	v_add_co_u32 v11, vcc_lo, v5, 16
	v_lshlrev_b32_e32 v22, 4, v4
	v_mov_b32_e32 v4, v8
	v_add_co_ci_u32_e64 v12, null, 0, v6, vcc_lo
	v_cmp_gt_i64_e32 vcc_lo, s[36:37], v[2:3]
	v_mad_co_u64_u32 v[2:3], null, v9, s20, 0
	v_add_nc_u32_e32 v37, 0x1000, v15
	v_mad_co_u64_u32 v[15:16], null, v9, s27, v[4:5]
	v_mov_b32_e32 v4, v14
	v_add_co_u32 v16, s1, v9, 16
	v_cmp_gt_i64_e64 s0, s[38:39], v[9:10]
	s_wait_alu 0xf1ff
	v_add_co_ci_u32_e64 v17, null, 0, v10, s1
	v_mad_co_u64_u32 v[9:10], null, v9, s21, v[3:4]
	v_mad_co_u64_u32 v[18:19], null, s11, v0, v[4:5]
	;; [unrolled: 1-line block ×3, first 2 shown]
	v_cmp_gt_i64_e64 s2, s[36:37], v[11:12]
	v_cmp_gt_i64_e64 s1, s[36:37], v[5:6]
	v_mov_b32_e32 v3, v9
	s_and_b32 s34, s3, s5
	v_mov_b32_e32 v14, v18
	v_cmp_gt_i64_e64 s3, s[38:39], v[16:17]
	v_mov_b32_e32 v4, v20
	v_lshlrev_b64_e32 v[2:3], 4, v[2:3]
	v_lshl_or_b32 v36, v35, 9, v22
	v_lshlrev_b64_e32 v[9:10], 4, v[13:14]
	v_mov_b32_e32 v8, v15
	v_mad_co_u64_u32 v[11:12], null, s49, v35, v[4:5]
	v_add_co_u32 v38, s5, s18, v2
	s_wait_alu 0xf1ff
	v_add_co_ci_u32_e64 v39, null, s19, v3, s5
	s_lshl_b32 s5, s35, 9
	v_lshlrev_b32_e32 v2, 4, v21
	s_wait_alu 0xfffe
	v_add_co_u32 v3, s5, v9, s5
	s_wait_alu 0xf1ff
	v_add_co_ci_u32_e64 v4, null, 0, v10, s5
	v_mov_b32_e32 v20, v11
	s_delay_alu instid0(VALU_DEP_3) | instskip(SKIP_1) | instid1(VALU_DEP_3)
	v_add_co_u32 v9, s5, v3, v2
	s_wait_alu 0xf1ff
	v_add_co_ci_u32_e64 v4, null, 0, v4, s5
	s_delay_alu instid0(VALU_DEP_3) | instskip(NEXT) | instid1(VALU_DEP_3)
	v_lshlrev_b64_e32 v[2:3], 4, v[19:20]
	v_add_co_u32 v9, s5, s8, v9
	s_wait_alu 0xf1ff
	s_delay_alu instid0(VALU_DEP_3)
	v_add_co_ci_u32_e64 v10, null, s9, v4, s5
	s_lshl_b64 s[8:9], s[30:31], 9
	v_cmp_gt_i64_e64 s30, s[40:41], 0
	s_wait_alu 0xfffe
	v_add_co_u32 v2, s5, v2, s8
	s_wait_alu 0xf1ff
	v_add_co_ci_u32_e64 v3, null, s9, v3, s5
	s_lshl_b64 s[20:21], s[20:21], 4
	v_add_co_u32 v2, s5, v2, v22
	s_wait_alu 0xf1ff
	v_add_co_ci_u32_e64 v3, null, 0, v3, s5
	s_mov_b32 s7, 0
	v_add_co_u32 v11, s5, s46, v2
	s_wait_alu 0xf1ff
	v_add_co_ci_u32_e64 v12, null, s47, v3, s5
	s_lshl_b64 s[26:27], s[26:27], 4
	s_lshl_b64 s[8:9], s[12:13], 4
	s_lshl_b64 s[10:11], s[10:11], 7
	s_lshl_b64 s[12:13], s[50:51], 4
	s_lshl_b64 s[18:19], s[48:49], 7
	s_xor_b32 s31, vcc_lo, -1
	s_xor_b32 s35, s4, -1
	s_wait_alu 0xfffe
	s_lshl_b64 s[4:5], s[20:21], 4
	s_branch .LBB138_4
.LBB138_2:                              ;   in Loop: Header=BB138_4 Depth=1
	s_wait_alu 0xfffe
	s_or_b32 exec_lo, exec_lo, s36
.LBB138_3:                              ;   in Loop: Header=BB138_4 Depth=1
	s_add_co_i32 s6, s6, 0x10000
	s_wait_alu 0xfffe
	s_cmp_lt_i32 s6, s33
	s_cbranch_scc0 .LBB138_39
.LBB138_4:                              ; =>This Loop Header: Depth=1
                                        ;     Child Loop BB138_7 Depth 2
	s_and_not1_b32 vcc_lo, exec_lo, s30
	s_wait_alu 0xfffe
	s_cbranch_vccnz .LBB138_15
; %bb.5:                                ;   in Loop: Header=BB138_4 Depth=1
	v_mad_co_u64_u32 v[13:14], null, s8, s6, v[9:10]
	v_mad_co_u64_u32 v[15:16], null, s12, s6, v[11:12]
	v_mov_b32_e32 v19, 0
	v_dual_mov_b32 v21, 0 :: v_dual_mov_b32 v20, 0
	s_delay_alu instid0(VALU_DEP_4)
	v_dual_mov_b32 v27, 0 :: v_dual_mov_b32 v2, v14
	v_mov_b32_e32 v23, 0
	v_dual_mov_b32 v24, 0 :: v_dual_mov_b32 v3, v16
	v_dual_mov_b32 v22, 0 :: v_dual_mov_b32 v25, 0
	v_mov_b32_e32 v28, 0
	v_mov_b32_e32 v26, 0
	s_delay_alu instid0(VALU_DEP_4) | instskip(SKIP_3) | instid1(VALU_DEP_4)
	v_mad_co_u64_u32 v[16:17], null, s9, s6, v[2:3]
	v_mad_co_u64_u32 v[2:3], null, s13, s6, v[3:4]
	v_mov_b32_e32 v17, 0
	v_dual_mov_b32 v18, 0 :: v_dual_mov_b32 v31, 0
	v_dual_mov_b32 v29, 0 :: v_dual_mov_b32 v14, v16
	v_mov_b32_e32 v32, 0
	v_mov_b32_e32 v30, 0
	;; [unrolled: 1-line block ×3, first 2 shown]
	s_mov_b64 s[20:21], 0
	s_branch .LBB138_7
.LBB138_6:                              ;   in Loop: Header=BB138_7 Depth=2
	s_wait_alu 0xfffe
	s_or_b32 exec_lo, exec_lo, s36
	s_wait_dscnt 0x0
	s_barrier_signal -1
	s_barrier_wait -1
	global_inv scope:SCOPE_SE
	ds_load_b128 v[40:43], v34
	ds_load_b128 v[44:47], v34 offset:16
	ds_load_b128 v[48:51], v34 offset:32
	;; [unrolled: 1-line block ×3, first 2 shown]
	ds_load_b128 v[56:59], v33
	s_add_nc_u64 s[20:21], s[20:21], 8
	v_add_co_u32 v13, vcc_lo, v13, s10
	s_wait_alu 0xfffe
	v_cmp_lt_i64_e64 s36, s[20:21], s[40:41]
	s_wait_alu 0xfffd
	v_add_co_ci_u32_e64 v14, null, s11, v14, vcc_lo
	v_add_co_u32 v15, vcc_lo, v15, s18
	s_wait_alu 0xfffd
	v_add_co_ci_u32_e64 v16, null, s19, v16, vcc_lo
	s_and_b32 vcc_lo, exec_lo, s36
	s_wait_dscnt 0x0
	v_mul_f64_e32 v[2:3], v[42:43], v[58:59]
	v_mul_f64_e32 v[60:61], v[40:41], v[58:59]
	s_delay_alu instid0(VALU_DEP_2) | instskip(NEXT) | instid1(VALU_DEP_2)
	v_fma_f64 v[2:3], v[40:41], v[56:57], -v[2:3]
	v_fma_f64 v[60:61], v[42:43], v[56:57], v[60:61]
	s_delay_alu instid0(VALU_DEP_2) | instskip(NEXT) | instid1(VALU_DEP_2)
	v_add_f64_e32 v[2:3], v[29:30], v[2:3]
	v_add_f64_e32 v[60:61], v[60:61], v[31:32]
	ds_load_b128 v[29:32], v33 offset:256
	s_wait_dscnt 0x0
	v_mul_f64_e32 v[62:63], v[42:43], v[31:32]
	s_delay_alu instid0(VALU_DEP_1) | instskip(SKIP_1) | instid1(VALU_DEP_2)
	v_fma_f64 v[62:63], v[40:41], v[29:30], -v[62:63]
	v_mul_f64_e32 v[40:41], v[40:41], v[31:32]
	v_add_f64_e32 v[62:63], v[17:18], v[62:63]
	s_delay_alu instid0(VALU_DEP_2) | instskip(NEXT) | instid1(VALU_DEP_1)
	v_fma_f64 v[40:41], v[42:43], v[29:30], v[40:41]
	v_add_f64_e32 v[25:26], v[40:41], v[25:26]
	ds_load_b128 v[40:43], v34 offset:2048
	s_wait_dscnt 0x0
	v_mul_f64_e32 v[17:18], v[42:43], v[58:59]
	v_mul_f64_e32 v[58:59], v[40:41], v[58:59]
	s_delay_alu instid0(VALU_DEP_2) | instskip(NEXT) | instid1(VALU_DEP_2)
	v_fma_f64 v[17:18], v[40:41], v[56:57], -v[17:18]
	v_fma_f64 v[56:57], v[42:43], v[56:57], v[58:59]
	s_delay_alu instid0(VALU_DEP_2) | instskip(SKIP_2) | instid1(VALU_DEP_4)
	v_add_f64_e32 v[58:59], v[21:22], v[17:18]
	v_mul_f64_e32 v[17:18], v[42:43], v[31:32]
	v_mul_f64_e32 v[21:22], v[40:41], v[31:32]
	v_add_f64_e32 v[56:57], v[56:57], v[27:28]
	s_delay_alu instid0(VALU_DEP_3) | instskip(NEXT) | instid1(VALU_DEP_3)
	v_fma_f64 v[17:18], v[40:41], v[29:30], -v[17:18]
	v_fma_f64 v[21:22], v[42:43], v[29:30], v[21:22]
	s_delay_alu instid0(VALU_DEP_2)
	v_add_f64_e32 v[29:30], v[19:20], v[17:18]
	ds_load_b128 v[17:20], v33 offset:512
	v_add_f64_e32 v[31:32], v[21:22], v[23:24]
	s_wait_dscnt 0x0
	v_mul_f64_e32 v[21:22], v[46:47], v[19:20]
	v_mul_f64_e32 v[23:24], v[44:45], v[19:20]
	s_delay_alu instid0(VALU_DEP_2) | instskip(NEXT) | instid1(VALU_DEP_2)
	v_fma_f64 v[21:22], v[44:45], v[17:18], -v[21:22]
	v_fma_f64 v[23:24], v[46:47], v[17:18], v[23:24]
	s_delay_alu instid0(VALU_DEP_2) | instskip(NEXT) | instid1(VALU_DEP_2)
	v_add_f64_e32 v[2:3], v[2:3], v[21:22]
	v_add_f64_e32 v[40:41], v[23:24], v[60:61]
	ds_load_b128 v[21:24], v33 offset:768
	s_wait_dscnt 0x0
	v_mul_f64_e32 v[27:28], v[46:47], v[23:24]
	v_mul_f64_e32 v[42:43], v[44:45], v[23:24]
	s_delay_alu instid0(VALU_DEP_2) | instskip(NEXT) | instid1(VALU_DEP_2)
	v_fma_f64 v[27:28], v[44:45], v[21:22], -v[27:28]
	v_fma_f64 v[42:43], v[46:47], v[21:22], v[42:43]
	s_delay_alu instid0(VALU_DEP_2) | instskip(NEXT) | instid1(VALU_DEP_2)
	v_add_f64_e32 v[44:45], v[62:63], v[27:28]
	v_add_f64_e32 v[42:43], v[42:43], v[25:26]
	ds_load_b128 v[25:28], v34 offset:2064
	s_wait_dscnt 0x0
	v_mul_f64_e32 v[46:47], v[27:28], v[19:20]
	v_mul_f64_e32 v[19:20], v[25:26], v[19:20]
	s_delay_alu instid0(VALU_DEP_2) | instskip(NEXT) | instid1(VALU_DEP_2)
	v_fma_f64 v[46:47], v[25:26], v[17:18], -v[46:47]
	v_fma_f64 v[17:18], v[27:28], v[17:18], v[19:20]
	v_mul_f64_e32 v[19:20], v[25:26], v[23:24]
	s_delay_alu instid0(VALU_DEP_3) | instskip(NEXT) | instid1(VALU_DEP_3)
	v_add_f64_e32 v[46:47], v[58:59], v[46:47]
	v_add_f64_e32 v[56:57], v[17:18], v[56:57]
	v_mul_f64_e32 v[17:18], v[27:28], v[23:24]
	s_delay_alu instid0(VALU_DEP_4) | instskip(NEXT) | instid1(VALU_DEP_2)
	v_fma_f64 v[19:20], v[27:28], v[21:22], v[19:20]
	v_fma_f64 v[17:18], v[25:26], v[21:22], -v[17:18]
	s_delay_alu instid0(VALU_DEP_2) | instskip(NEXT) | instid1(VALU_DEP_2)
	v_add_f64_e32 v[31:32], v[19:20], v[31:32]
	v_add_f64_e32 v[29:30], v[29:30], v[17:18]
	ds_load_b128 v[17:20], v33 offset:1024
	s_wait_dscnt 0x0
	v_mul_f64_e32 v[21:22], v[50:51], v[19:20]
	v_mul_f64_e32 v[23:24], v[48:49], v[19:20]
	s_delay_alu instid0(VALU_DEP_2) | instskip(NEXT) | instid1(VALU_DEP_2)
	v_fma_f64 v[21:22], v[48:49], v[17:18], -v[21:22]
	v_fma_f64 v[23:24], v[50:51], v[17:18], v[23:24]
	s_delay_alu instid0(VALU_DEP_2) | instskip(NEXT) | instid1(VALU_DEP_2)
	v_add_f64_e32 v[2:3], v[2:3], v[21:22]
	v_add_f64_e32 v[40:41], v[23:24], v[40:41]
	ds_load_b128 v[21:24], v33 offset:1280
	s_wait_dscnt 0x0
	v_mul_f64_e32 v[25:26], v[50:51], v[23:24]
	v_mul_f64_e32 v[27:28], v[48:49], v[23:24]
	s_delay_alu instid0(VALU_DEP_2) | instskip(NEXT) | instid1(VALU_DEP_2)
	v_fma_f64 v[25:26], v[48:49], v[21:22], -v[25:26]
	v_fma_f64 v[27:28], v[50:51], v[21:22], v[27:28]
	s_delay_alu instid0(VALU_DEP_2) | instskip(NEXT) | instid1(VALU_DEP_2)
	v_add_f64_e32 v[44:45], v[44:45], v[25:26]
	v_add_f64_e32 v[42:43], v[27:28], v[42:43]
	ds_load_b128 v[25:28], v34 offset:2080
	s_wait_dscnt 0x0
	v_mul_f64_e32 v[48:49], v[27:28], v[19:20]
	v_mul_f64_e32 v[19:20], v[25:26], v[19:20]
	s_delay_alu instid0(VALU_DEP_2) | instskip(NEXT) | instid1(VALU_DEP_2)
	v_fma_f64 v[48:49], v[25:26], v[17:18], -v[48:49]
	v_fma_f64 v[17:18], v[27:28], v[17:18], v[19:20]
	v_mul_f64_e32 v[19:20], v[25:26], v[23:24]
	s_delay_alu instid0(VALU_DEP_3) | instskip(NEXT) | instid1(VALU_DEP_3)
	v_add_f64_e32 v[46:47], v[46:47], v[48:49]
	v_add_f64_e32 v[48:49], v[17:18], v[56:57]
	v_mul_f64_e32 v[17:18], v[27:28], v[23:24]
	s_delay_alu instid0(VALU_DEP_4) | instskip(NEXT) | instid1(VALU_DEP_2)
	v_fma_f64 v[19:20], v[27:28], v[21:22], v[19:20]
	v_fma_f64 v[17:18], v[25:26], v[21:22], -v[17:18]
	s_delay_alu instid0(VALU_DEP_2) | instskip(NEXT) | instid1(VALU_DEP_2)
	v_add_f64_e32 v[31:32], v[19:20], v[31:32]
	v_add_f64_e32 v[29:30], v[29:30], v[17:18]
	ds_load_b128 v[17:20], v33 offset:1536
	s_wait_dscnt 0x0
	v_mul_f64_e32 v[21:22], v[54:55], v[19:20]
	v_mul_f64_e32 v[23:24], v[52:53], v[19:20]
	s_delay_alu instid0(VALU_DEP_2) | instskip(NEXT) | instid1(VALU_DEP_2)
	v_fma_f64 v[21:22], v[52:53], v[17:18], -v[21:22]
	v_fma_f64 v[23:24], v[54:55], v[17:18], v[23:24]
	s_delay_alu instid0(VALU_DEP_2) | instskip(NEXT) | instid1(VALU_DEP_2)
	v_add_f64_e32 v[2:3], v[2:3], v[21:22]
	v_add_f64_e32 v[40:41], v[23:24], v[40:41]
	ds_load_b128 v[21:24], v33 offset:1792
	s_wait_dscnt 0x0
	v_mul_f64_e32 v[25:26], v[54:55], v[23:24]
	v_mul_f64_e32 v[27:28], v[52:53], v[23:24]
	s_delay_alu instid0(VALU_DEP_2) | instskip(NEXT) | instid1(VALU_DEP_2)
	v_fma_f64 v[25:26], v[52:53], v[21:22], -v[25:26]
	v_fma_f64 v[27:28], v[54:55], v[21:22], v[27:28]
	s_delay_alu instid0(VALU_DEP_2) | instskip(NEXT) | instid1(VALU_DEP_2)
	v_add_f64_e32 v[44:45], v[44:45], v[25:26]
	v_add_f64_e32 v[42:43], v[27:28], v[42:43]
	ds_load_b128 v[25:28], v34 offset:2096
	s_wait_dscnt 0x0
	v_mul_f64_e32 v[50:51], v[27:28], v[19:20]
	v_mul_f64_e32 v[19:20], v[25:26], v[19:20]
	s_delay_alu instid0(VALU_DEP_2) | instskip(NEXT) | instid1(VALU_DEP_2)
	v_fma_f64 v[50:51], v[25:26], v[17:18], -v[50:51]
	v_fma_f64 v[17:18], v[27:28], v[17:18], v[19:20]
	v_mul_f64_e32 v[19:20], v[25:26], v[23:24]
	s_delay_alu instid0(VALU_DEP_3) | instskip(NEXT) | instid1(VALU_DEP_3)
	v_add_f64_e32 v[46:47], v[46:47], v[50:51]
	v_add_f64_e32 v[48:49], v[17:18], v[48:49]
	v_mul_f64_e32 v[17:18], v[27:28], v[23:24]
	s_delay_alu instid0(VALU_DEP_4) | instskip(NEXT) | instid1(VALU_DEP_2)
	v_fma_f64 v[19:20], v[27:28], v[21:22], v[19:20]
	v_fma_f64 v[17:18], v[25:26], v[21:22], -v[17:18]
	s_delay_alu instid0(VALU_DEP_2) | instskip(NEXT) | instid1(VALU_DEP_2)
	v_add_f64_e32 v[31:32], v[19:20], v[31:32]
	v_add_f64_e32 v[29:30], v[29:30], v[17:18]
	ds_load_b128 v[17:20], v34 offset:64
	ds_load_b128 v[21:24], v33 offset:2048
	s_wait_dscnt 0x0
	v_mul_f64_e32 v[25:26], v[19:20], v[23:24]
	v_mul_f64_e32 v[27:28], v[17:18], v[23:24]
	s_delay_alu instid0(VALU_DEP_2) | instskip(NEXT) | instid1(VALU_DEP_2)
	v_fma_f64 v[25:26], v[17:18], v[21:22], -v[25:26]
	v_fma_f64 v[27:28], v[19:20], v[21:22], v[27:28]
	s_delay_alu instid0(VALU_DEP_2) | instskip(NEXT) | instid1(VALU_DEP_2)
	v_add_f64_e32 v[2:3], v[2:3], v[25:26]
	v_add_f64_e32 v[40:41], v[27:28], v[40:41]
	ds_load_b128 v[25:28], v33 offset:2304
	s_wait_dscnt 0x0
	v_mul_f64_e32 v[50:51], v[19:20], v[27:28]
	s_delay_alu instid0(VALU_DEP_1) | instskip(SKIP_1) | instid1(VALU_DEP_2)
	v_fma_f64 v[50:51], v[17:18], v[25:26], -v[50:51]
	v_mul_f64_e32 v[17:18], v[17:18], v[27:28]
	v_add_f64_e32 v[44:45], v[44:45], v[50:51]
	s_delay_alu instid0(VALU_DEP_2) | instskip(NEXT) | instid1(VALU_DEP_1)
	v_fma_f64 v[17:18], v[19:20], v[25:26], v[17:18]
	v_add_f64_e32 v[42:43], v[17:18], v[42:43]
	ds_load_b128 v[17:20], v34 offset:2112
	s_wait_dscnt 0x0
	v_mul_f64_e32 v[50:51], v[19:20], v[23:24]
	v_mul_f64_e32 v[23:24], v[17:18], v[23:24]
	s_delay_alu instid0(VALU_DEP_2) | instskip(NEXT) | instid1(VALU_DEP_2)
	v_fma_f64 v[50:51], v[17:18], v[21:22], -v[50:51]
	v_fma_f64 v[21:22], v[19:20], v[21:22], v[23:24]
	s_delay_alu instid0(VALU_DEP_2) | instskip(NEXT) | instid1(VALU_DEP_2)
	v_add_f64_e32 v[46:47], v[46:47], v[50:51]
	v_add_f64_e32 v[48:49], v[21:22], v[48:49]
	v_mul_f64_e32 v[21:22], v[19:20], v[27:28]
	s_delay_alu instid0(VALU_DEP_1) | instskip(SKIP_1) | instid1(VALU_DEP_2)
	v_fma_f64 v[21:22], v[17:18], v[25:26], -v[21:22]
	v_mul_f64_e32 v[17:18], v[17:18], v[27:28]
	v_add_f64_e32 v[29:30], v[29:30], v[21:22]
	s_delay_alu instid0(VALU_DEP_2) | instskip(NEXT) | instid1(VALU_DEP_1)
	v_fma_f64 v[17:18], v[19:20], v[25:26], v[17:18]
	v_add_f64_e32 v[31:32], v[17:18], v[31:32]
	ds_load_b128 v[17:20], v34 offset:80
	ds_load_b128 v[21:24], v33 offset:2560
	s_wait_dscnt 0x0
	v_mul_f64_e32 v[25:26], v[19:20], v[23:24]
	v_mul_f64_e32 v[27:28], v[17:18], v[23:24]
	s_delay_alu instid0(VALU_DEP_2) | instskip(NEXT) | instid1(VALU_DEP_2)
	v_fma_f64 v[25:26], v[17:18], v[21:22], -v[25:26]
	v_fma_f64 v[27:28], v[19:20], v[21:22], v[27:28]
	s_delay_alu instid0(VALU_DEP_2) | instskip(NEXT) | instid1(VALU_DEP_2)
	v_add_f64_e32 v[2:3], v[2:3], v[25:26]
	v_add_f64_e32 v[40:41], v[27:28], v[40:41]
	ds_load_b128 v[25:28], v33 offset:2816
	s_wait_dscnt 0x0
	v_mul_f64_e32 v[50:51], v[19:20], v[27:28]
	s_delay_alu instid0(VALU_DEP_1) | instskip(SKIP_1) | instid1(VALU_DEP_2)
	v_fma_f64 v[50:51], v[17:18], v[25:26], -v[50:51]
	v_mul_f64_e32 v[17:18], v[17:18], v[27:28]
	v_add_f64_e32 v[44:45], v[44:45], v[50:51]
	s_delay_alu instid0(VALU_DEP_2) | instskip(NEXT) | instid1(VALU_DEP_1)
	v_fma_f64 v[17:18], v[19:20], v[25:26], v[17:18]
	v_add_f64_e32 v[42:43], v[17:18], v[42:43]
	ds_load_b128 v[17:20], v34 offset:2128
	s_wait_dscnt 0x0
	v_mul_f64_e32 v[50:51], v[19:20], v[23:24]
	v_mul_f64_e32 v[23:24], v[17:18], v[23:24]
	s_delay_alu instid0(VALU_DEP_2) | instskip(NEXT) | instid1(VALU_DEP_2)
	v_fma_f64 v[50:51], v[17:18], v[21:22], -v[50:51]
	v_fma_f64 v[21:22], v[19:20], v[21:22], v[23:24]
	s_delay_alu instid0(VALU_DEP_2) | instskip(NEXT) | instid1(VALU_DEP_2)
	v_add_f64_e32 v[46:47], v[46:47], v[50:51]
	v_add_f64_e32 v[48:49], v[21:22], v[48:49]
	v_mul_f64_e32 v[21:22], v[19:20], v[27:28]
	s_delay_alu instid0(VALU_DEP_1) | instskip(SKIP_1) | instid1(VALU_DEP_2)
	v_fma_f64 v[21:22], v[17:18], v[25:26], -v[21:22]
	v_mul_f64_e32 v[17:18], v[17:18], v[27:28]
	v_add_f64_e32 v[29:30], v[29:30], v[21:22]
	s_delay_alu instid0(VALU_DEP_2) | instskip(NEXT) | instid1(VALU_DEP_1)
	v_fma_f64 v[17:18], v[19:20], v[25:26], v[17:18]
	v_add_f64_e32 v[31:32], v[17:18], v[31:32]
	ds_load_b128 v[17:20], v34 offset:96
	;; [unrolled: 39-line block ×3, first 2 shown]
	ds_load_b128 v[21:24], v33 offset:3584
	s_wait_dscnt 0x0
	v_mul_f64_e32 v[27:28], v[17:18], v[23:24]
	v_mul_f64_e32 v[25:26], v[19:20], v[23:24]
	s_delay_alu instid0(VALU_DEP_2) | instskip(NEXT) | instid1(VALU_DEP_2)
	v_fma_f64 v[27:28], v[19:20], v[21:22], v[27:28]
	v_fma_f64 v[25:26], v[17:18], v[21:22], -v[25:26]
	s_delay_alu instid0(VALU_DEP_2) | instskip(SKIP_4) | instid1(VALU_DEP_1)
	v_add_f64_e32 v[31:32], v[27:28], v[40:41]
	ds_load_b128 v[40:43], v33 offset:3840
	v_add_f64_e32 v[29:30], v[2:3], v[25:26]
	s_wait_dscnt 0x0
	v_mul_f64_e32 v[2:3], v[19:20], v[42:43]
	v_fma_f64 v[2:3], v[17:18], v[40:41], -v[2:3]
	v_mul_f64_e32 v[17:18], v[17:18], v[42:43]
	s_delay_alu instid0(VALU_DEP_1) | instskip(NEXT) | instid1(VALU_DEP_3)
	v_fma_f64 v[19:20], v[19:20], v[40:41], v[17:18]
	v_add_f64_e32 v[17:18], v[44:45], v[2:3]
	ds_load_b128 v[44:47], v34 offset:2160
	s_wait_loadcnt_dscnt 0x0
	s_barrier_signal -1
	s_barrier_wait -1
	global_inv scope:SCOPE_SE
	v_mul_f64_e32 v[2:3], v[46:47], v[23:24]
	v_add_f64_e32 v[25:26], v[19:20], v[50:51]
	v_mul_f64_e32 v[19:20], v[44:45], v[23:24]
	s_delay_alu instid0(VALU_DEP_3) | instskip(NEXT) | instid1(VALU_DEP_2)
	v_fma_f64 v[2:3], v[44:45], v[21:22], -v[2:3]
	v_fma_f64 v[19:20], v[46:47], v[21:22], v[19:20]
	s_delay_alu instid0(VALU_DEP_2) | instskip(SKIP_1) | instid1(VALU_DEP_3)
	v_add_f64_e32 v[21:22], v[52:53], v[2:3]
	v_mul_f64_e32 v[2:3], v[46:47], v[42:43]
	v_add_f64_e32 v[27:28], v[19:20], v[48:49]
	v_mul_f64_e32 v[19:20], v[44:45], v[42:43]
	s_delay_alu instid0(VALU_DEP_3) | instskip(NEXT) | instid1(VALU_DEP_2)
	v_fma_f64 v[2:3], v[44:45], v[40:41], -v[2:3]
	v_fma_f64 v[23:24], v[46:47], v[40:41], v[19:20]
	s_delay_alu instid0(VALU_DEP_2) | instskip(NEXT) | instid1(VALU_DEP_2)
	v_add_f64_e32 v[19:20], v[54:55], v[2:3]
	v_add_f64_e32 v[23:24], v[23:24], v[56:57]
	s_wait_alu 0xfffe
	s_cbranch_vccz .LBB138_16
.LBB138_7:                              ;   Parent Loop BB138_4 Depth=1
                                        ; =>  This Inner Loop Header: Depth=2
	s_wait_alu 0xfffe
	v_add_co_u32 v2, s36, v35, s20
	s_wait_alu 0xf1ff
	v_add_co_ci_u32_e64 v3, null, 0, s21, s36
	s_delay_alu instid0(VALU_DEP_1)
	v_cmp_le_i64_e32 vcc_lo, s[40:41], v[2:3]
	s_or_b32 s36, s31, vcc_lo
	s_wait_alu 0xfffe
	s_and_saveexec_b32 s37, s36
	s_wait_alu 0xfffe
	s_xor_b32 s36, exec_lo, s37
; %bb.8:                                ;   in Loop: Header=BB138_7 Depth=2
	v_dual_mov_b32 v2, v1 :: v_dual_mov_b32 v3, v1
	v_mov_b32_e32 v4, v1
	ds_store_b128 v36, v[1:4]
; %bb.9:                                ;   in Loop: Header=BB138_7 Depth=2
	s_wait_alu 0xfffe
	s_and_not1_saveexec_b32 s36, s36
	s_cbranch_execz .LBB138_11
; %bb.10:                               ;   in Loop: Header=BB138_7 Depth=2
	global_load_b128 v[40:43], v[15:16], off
	s_wait_loadcnt 0x0
	ds_store_2addr_b64 v36, v[40:41], v[42:43] offset1:1
.LBB138_11:                             ;   in Loop: Header=BB138_7 Depth=2
	s_wait_alu 0xfffe
	s_or_b32 exec_lo, exec_lo, s36
	v_add_co_u32 v2, s36, v0, s20
	s_wait_alu 0xf1ff
	v_add_co_ci_u32_e64 v3, null, 0, s21, s36
	s_delay_alu instid0(VALU_DEP_1)
	v_cmp_le_i64_e32 vcc_lo, s[40:41], v[2:3]
	s_or_b32 s36, vcc_lo, s35
	s_wait_alu 0xfffe
	s_and_saveexec_b32 s37, s36
	s_wait_alu 0xfffe
	s_xor_b32 s36, exec_lo, s37
; %bb.12:                               ;   in Loop: Header=BB138_7 Depth=2
	v_dual_mov_b32 v2, v1 :: v_dual_mov_b32 v3, v1
	v_mov_b32_e32 v4, v1
	ds_store_b128 v37, v[1:4]
; %bb.13:                               ;   in Loop: Header=BB138_7 Depth=2
	s_wait_alu 0xfffe
	s_and_not1_saveexec_b32 s36, s36
	s_cbranch_execz .LBB138_6
; %bb.14:                               ;   in Loop: Header=BB138_7 Depth=2
	global_load_b128 v[40:43], v[13:14], off
	s_wait_loadcnt 0x0
	ds_store_2addr_b64 v37, v[40:41], v[42:43] offset1:1
	s_branch .LBB138_6
.LBB138_15:                             ;   in Loop: Header=BB138_4 Depth=1
	v_mov_b32_e32 v29, 0
	v_mov_b32_e32 v17, 0
	;; [unrolled: 1-line block ×3, first 2 shown]
	v_dual_mov_b32 v19, 0 :: v_dual_mov_b32 v30, 0
	v_dual_mov_b32 v31, 0 :: v_dual_mov_b32 v18, 0
	;; [unrolled: 1-line block ×5, first 2 shown]
	v_mov_b32_e32 v26, 0
	v_mov_b32_e32 v28, 0
	;; [unrolled: 1-line block ×3, first 2 shown]
.LBB138_16:                             ;   in Loop: Header=BB138_4 Depth=1
	s_mul_u64 s[20:21], s[28:29], s[6:7]
	s_and_not1_b32 vcc_lo, exec_lo, s34
	s_wait_alu 0xfffe
	s_lshl_b64 s[20:21], s[20:21], 4
	s_mov_b32 s36, -1
	s_wait_alu 0xfffe
	s_add_nc_u64 s[20:21], s[24:25], s[20:21]
	s_cbranch_vccz .LBB138_18
; %bb.17:                               ;   in Loop: Header=BB138_4 Depth=1
	s_and_not1_b32 vcc_lo, exec_lo, s36
	s_wait_alu 0xfffe
	s_cbranch_vccnz .LBB138_3
	s_branch .LBB138_29
.LBB138_18:                             ;   in Loop: Header=BB138_4 Depth=1
	s_and_saveexec_b32 s36, s0
	s_cbranch_execz .LBB138_28
; %bb.19:                               ;   in Loop: Header=BB138_4 Depth=1
	v_lshlrev_b64_e32 v[2:3], 4, v[7:8]
	s_wait_alu 0xfffe
	s_delay_alu instid0(VALU_DEP_1) | instskip(SKIP_1) | instid1(VALU_DEP_2)
	v_add_co_u32 v2, vcc_lo, s20, v2
	s_wait_alu 0xfffd
	v_add_co_ci_u32_e64 v3, null, s21, v3, vcc_lo
	s_and_saveexec_b32 s37, s1
	s_cbranch_execnz .LBB138_22
; %bb.20:                               ;   in Loop: Header=BB138_4 Depth=1
	s_wait_alu 0xfffe
	s_or_b32 exec_lo, exec_lo, s37
	s_and_saveexec_b32 s37, s2
	s_cbranch_execnz .LBB138_23
.LBB138_21:                             ;   in Loop: Header=BB138_4 Depth=1
	s_wait_alu 0xfffe
	s_or_b32 exec_lo, exec_lo, s37
	s_delay_alu instid0(SALU_CYCLE_1)
	s_and_b32 exec_lo, exec_lo, s3
	s_cbranch_execnz .LBB138_24
	s_branch .LBB138_28
.LBB138_22:                             ;   in Loop: Header=BB138_4 Depth=1
	v_mul_f64_e32 v[13:14], s[44:45], v[31:32]
	v_mul_f64_e32 v[15:16], s[42:43], v[31:32]
	v_lshlrev_b64_e32 v[40:41], 4, v[5:6]
	s_delay_alu instid0(VALU_DEP_1) | instskip(SKIP_1) | instid1(VALU_DEP_2)
	v_add_co_u32 v40, vcc_lo, v2, v40
	s_wait_alu 0xfffd
	v_add_co_ci_u32_e64 v41, null, v3, v41, vcc_lo
	v_fma_f64 v[13:14], s[42:43], v[29:30], -v[13:14]
	v_fma_f64 v[15:16], s[44:45], v[29:30], v[15:16]
	global_store_b128 v[40:41], v[13:16], off
	s_wait_alu 0xfffe
	s_or_b32 exec_lo, exec_lo, s37
	s_and_saveexec_b32 s37, s2
	s_cbranch_execz .LBB138_21
.LBB138_23:                             ;   in Loop: Header=BB138_4 Depth=1
	v_mul_f64_e32 v[13:14], s[44:45], v[25:26]
	v_mul_f64_e32 v[15:16], s[42:43], v[25:26]
	v_lshlrev_b64_e32 v[40:41], 4, v[5:6]
	s_delay_alu instid0(VALU_DEP_1) | instskip(SKIP_1) | instid1(VALU_DEP_2)
	v_add_co_u32 v40, vcc_lo, v2, v40
	s_wait_alu 0xfffd
	v_add_co_ci_u32_e64 v41, null, v3, v41, vcc_lo
	v_fma_f64 v[13:14], s[42:43], v[17:18], -v[13:14]
	v_fma_f64 v[15:16], s[44:45], v[17:18], v[15:16]
	global_store_b128 v[40:41], v[13:16], off offset:256
	s_wait_alu 0xfffe
	s_or_b32 exec_lo, exec_lo, s37
	s_delay_alu instid0(SALU_CYCLE_1)
	s_and_b32 exec_lo, exec_lo, s3
	s_cbranch_execz .LBB138_28
.LBB138_24:                             ;   in Loop: Header=BB138_4 Depth=1
	s_lshl_b64 s[38:39], s[26:27], 4
	v_lshlrev_b64_e32 v[13:14], 4, v[5:6]
	s_wait_alu 0xfffe
	v_add_co_u32 v2, vcc_lo, v2, s38
	s_wait_alu 0xfffd
	v_add_co_ci_u32_e64 v3, null, s39, v3, vcc_lo
	s_delay_alu instid0(VALU_DEP_2) | instskip(SKIP_1) | instid1(VALU_DEP_2)
	v_add_co_u32 v2, vcc_lo, v2, v13
	s_wait_alu 0xfffd
	v_add_co_ci_u32_e64 v3, null, v3, v14, vcc_lo
	s_and_saveexec_b32 s37, s1
	s_cbranch_execz .LBB138_26
; %bb.25:                               ;   in Loop: Header=BB138_4 Depth=1
	v_mul_f64_e32 v[13:14], s[44:45], v[27:28]
	v_mul_f64_e32 v[15:16], s[42:43], v[27:28]
	s_delay_alu instid0(VALU_DEP_2) | instskip(NEXT) | instid1(VALU_DEP_2)
	v_fma_f64 v[13:14], s[42:43], v[21:22], -v[13:14]
	v_fma_f64 v[15:16], s[44:45], v[21:22], v[15:16]
	global_store_b128 v[2:3], v[13:16], off
.LBB138_26:                             ;   in Loop: Header=BB138_4 Depth=1
	s_wait_alu 0xfffe
	s_or_b32 exec_lo, exec_lo, s37
	s_delay_alu instid0(SALU_CYCLE_1)
	s_and_b32 exec_lo, exec_lo, s2
	s_cbranch_execz .LBB138_28
; %bb.27:                               ;   in Loop: Header=BB138_4 Depth=1
	v_mul_f64_e32 v[13:14], s[44:45], v[23:24]
	v_mul_f64_e32 v[15:16], s[42:43], v[23:24]
	s_delay_alu instid0(VALU_DEP_2) | instskip(NEXT) | instid1(VALU_DEP_2)
	v_fma_f64 v[13:14], s[42:43], v[19:20], -v[13:14]
	v_fma_f64 v[15:16], s[44:45], v[19:20], v[15:16]
	global_store_b128 v[2:3], v[13:16], off offset:256
.LBB138_28:                             ;   in Loop: Header=BB138_4 Depth=1
	s_wait_alu 0xfffe
	s_or_b32 exec_lo, exec_lo, s36
	s_cbranch_execnz .LBB138_3
.LBB138_29:                             ;   in Loop: Header=BB138_4 Depth=1
	s_and_saveexec_b32 s36, s0
	s_cbranch_execz .LBB138_2
; %bb.30:                               ;   in Loop: Header=BB138_4 Depth=1
	s_mul_u64 s[38:39], s[22:23], s[6:7]
	v_lshlrev_b64_e32 v[14:15], 4, v[7:8]
	s_wait_alu 0xfffe
	s_lshl_b64 s[38:39], s[38:39], 4
	v_lshlrev_b64_e32 v[2:3], 4, v[5:6]
	s_wait_alu 0xfffe
	v_add_co_u32 v4, vcc_lo, v38, s38
	s_wait_alu 0xfffd
	v_add_co_ci_u32_e64 v13, null, s39, v39, vcc_lo
	v_add_co_u32 v14, vcc_lo, s20, v14
	s_wait_alu 0xfffd
	v_add_co_ci_u32_e64 v15, null, s21, v15, vcc_lo
	s_and_saveexec_b32 s20, s1
	s_cbranch_execnz .LBB138_33
; %bb.31:                               ;   in Loop: Header=BB138_4 Depth=1
	s_wait_alu 0xfffe
	s_or_b32 exec_lo, exec_lo, s20
	s_and_saveexec_b32 s20, s2
	s_cbranch_execnz .LBB138_34
.LBB138_32:                             ;   in Loop: Header=BB138_4 Depth=1
	s_wait_alu 0xfffe
	s_or_b32 exec_lo, exec_lo, s20
	s_delay_alu instid0(SALU_CYCLE_1)
	s_and_b32 exec_lo, exec_lo, s3
	s_cbranch_execz .LBB138_2
	s_branch .LBB138_35
.LBB138_33:                             ;   in Loop: Header=BB138_4 Depth=1
	v_add_co_u32 v40, vcc_lo, v4, v2
	s_wait_alu 0xfffd
	v_add_co_ci_u32_e64 v41, null, v13, v3, vcc_lo
	v_mul_f64_e32 v[44:45], s[44:45], v[31:32]
	v_mul_f64_e32 v[31:32], s[42:43], v[31:32]
	global_load_b128 v[40:43], v[40:41], off
	v_fma_f64 v[44:45], s[42:43], v[29:30], -v[44:45]
	v_fma_f64 v[31:32], s[44:45], v[29:30], v[31:32]
	s_wait_loadcnt 0x0
	v_mul_f64_e32 v[46:47], s[16:17], v[42:43]
	v_mul_f64_e32 v[42:43], s[14:15], v[42:43]
	s_delay_alu instid0(VALU_DEP_2) | instskip(NEXT) | instid1(VALU_DEP_2)
	v_fma_f64 v[29:30], s[14:15], v[40:41], -v[46:47]
	v_fma_f64 v[40:41], s[16:17], v[40:41], v[42:43]
	s_delay_alu instid0(VALU_DEP_2) | instskip(NEXT) | instid1(VALU_DEP_2)
	v_add_f64_e32 v[29:30], v[44:45], v[29:30]
	v_add_f64_e32 v[31:32], v[31:32], v[40:41]
	v_add_co_u32 v40, vcc_lo, v14, v2
	s_wait_alu 0xfffd
	v_add_co_ci_u32_e64 v41, null, v15, v3, vcc_lo
	global_store_b128 v[40:41], v[29:32], off
	s_wait_alu 0xfffe
	s_or_b32 exec_lo, exec_lo, s20
	s_and_saveexec_b32 s20, s2
	s_cbranch_execz .LBB138_32
.LBB138_34:                             ;   in Loop: Header=BB138_4 Depth=1
	v_add_co_u32 v29, vcc_lo, v4, v2
	s_wait_alu 0xfffd
	v_add_co_ci_u32_e64 v30, null, v13, v3, vcc_lo
	v_mul_f64_e32 v[40:41], s[44:45], v[25:26]
	v_mul_f64_e32 v[25:26], s[42:43], v[25:26]
	global_load_b128 v[29:32], v[29:30], off offset:256
	v_fma_f64 v[40:41], s[42:43], v[17:18], -v[40:41]
	v_fma_f64 v[16:17], s[44:45], v[17:18], v[25:26]
	s_wait_loadcnt 0x0
	v_mul_f64_e32 v[42:43], s[16:17], v[31:32]
	v_mul_f64_e32 v[31:32], s[14:15], v[31:32]
	s_delay_alu instid0(VALU_DEP_2) | instskip(NEXT) | instid1(VALU_DEP_2)
	v_fma_f64 v[25:26], s[14:15], v[29:30], -v[42:43]
	v_fma_f64 v[31:32], s[16:17], v[29:30], v[31:32]
	s_delay_alu instid0(VALU_DEP_2) | instskip(NEXT) | instid1(VALU_DEP_2)
	v_add_f64_e32 v[29:30], v[40:41], v[25:26]
	v_add_f64_e32 v[31:32], v[16:17], v[31:32]
	v_add_co_u32 v16, vcc_lo, v14, v2
	s_wait_alu 0xfffd
	v_add_co_ci_u32_e64 v17, null, v15, v3, vcc_lo
	global_store_b128 v[16:17], v[29:32], off offset:256
	s_wait_alu 0xfffe
	s_or_b32 exec_lo, exec_lo, s20
	s_delay_alu instid0(SALU_CYCLE_1)
	s_and_b32 exec_lo, exec_lo, s3
	s_cbranch_execz .LBB138_2
.LBB138_35:                             ;   in Loop: Header=BB138_4 Depth=1
	v_add_co_u32 v4, vcc_lo, v4, s4
	s_lshl_b64 s[20:21], s[26:27], 4
	s_wait_alu 0xfffd
	v_add_co_ci_u32_e64 v16, null, s5, v13, vcc_lo
	s_wait_alu 0xfffe
	v_add_co_u32 v17, vcc_lo, v14, s20
	s_wait_alu 0xfffd
	v_add_co_ci_u32_e64 v15, null, s21, v15, vcc_lo
	v_add_co_u32 v13, vcc_lo, v4, v2
	s_wait_alu 0xfffd
	v_add_co_ci_u32_e64 v14, null, v16, v3, vcc_lo
	v_add_co_u32 v2, vcc_lo, v17, v2
	s_wait_alu 0xfffd
	v_add_co_ci_u32_e64 v3, null, v15, v3, vcc_lo
	s_and_saveexec_b32 s20, s1
	s_cbranch_execz .LBB138_37
; %bb.36:                               ;   in Loop: Header=BB138_4 Depth=1
	global_load_b128 v[15:18], v[13:14], off
	v_mul_f64_e32 v[25:26], s[44:45], v[27:28]
	v_mul_f64_e32 v[27:28], s[42:43], v[27:28]
	s_delay_alu instid0(VALU_DEP_2) | instskip(NEXT) | instid1(VALU_DEP_2)
	v_fma_f64 v[25:26], s[42:43], v[21:22], -v[25:26]
	v_fma_f64 v[21:22], s[44:45], v[21:22], v[27:28]
	s_wait_loadcnt 0x0
	v_mul_f64_e32 v[29:30], s[16:17], v[17:18]
	v_mul_f64_e32 v[17:18], s[14:15], v[17:18]
	s_delay_alu instid0(VALU_DEP_2) | instskip(NEXT) | instid1(VALU_DEP_2)
	v_fma_f64 v[27:28], s[14:15], v[15:16], -v[29:30]
	v_fma_f64 v[17:18], s[16:17], v[15:16], v[17:18]
	s_delay_alu instid0(VALU_DEP_2) | instskip(NEXT) | instid1(VALU_DEP_2)
	v_add_f64_e32 v[15:16], v[25:26], v[27:28]
	v_add_f64_e32 v[17:18], v[21:22], v[17:18]
	global_store_b128 v[2:3], v[15:18], off
.LBB138_37:                             ;   in Loop: Header=BB138_4 Depth=1
	s_wait_alu 0xfffe
	s_or_b32 exec_lo, exec_lo, s20
	s_delay_alu instid0(SALU_CYCLE_1)
	s_and_b32 exec_lo, exec_lo, s2
	s_cbranch_execz .LBB138_2
; %bb.38:                               ;   in Loop: Header=BB138_4 Depth=1
	global_load_b128 v[13:16], v[13:14], off offset:256
	v_mul_f64_e32 v[17:18], s[44:45], v[23:24]
	v_mul_f64_e32 v[21:22], s[42:43], v[23:24]
	s_delay_alu instid0(VALU_DEP_2) | instskip(NEXT) | instid1(VALU_DEP_2)
	v_fma_f64 v[17:18], s[42:43], v[19:20], -v[17:18]
	v_fma_f64 v[19:20], s[44:45], v[19:20], v[21:22]
	s_wait_loadcnt 0x0
	v_mul_f64_e32 v[23:24], s[16:17], v[15:16]
	v_mul_f64_e32 v[15:16], s[14:15], v[15:16]
	s_delay_alu instid0(VALU_DEP_2) | instskip(NEXT) | instid1(VALU_DEP_2)
	v_fma_f64 v[21:22], s[14:15], v[13:14], -v[23:24]
	v_fma_f64 v[15:16], s[16:17], v[13:14], v[15:16]
	s_delay_alu instid0(VALU_DEP_2) | instskip(NEXT) | instid1(VALU_DEP_2)
	v_add_f64_e32 v[13:14], v[17:18], v[21:22]
	v_add_f64_e32 v[15:16], v[19:20], v[15:16]
	global_store_b128 v[2:3], v[13:16], off offset:256
	s_branch .LBB138_2
.LBB138_39:
	s_endpgm
	.section	.rodata,"a",@progbits
	.p2align	6, 0x0
	.amdhsa_kernel _ZN12_GLOBAL__N_135rocblas_gemm_batched_general_kernelI19rocblas_complex_numIdELi16ELi16ELi32ELi32ELi8ELi32ELi8ELi8ELi32ELc78ELc84EKS2_S3_S2_EEvlllT_PT11_llS6_llS4_PT12_llPT13_lli
		.amdhsa_group_segment_fixed_size 8192
		.amdhsa_private_segment_fixed_size 0
		.amdhsa_kernarg_size 156
		.amdhsa_user_sgpr_count 2
		.amdhsa_user_sgpr_dispatch_ptr 0
		.amdhsa_user_sgpr_queue_ptr 0
		.amdhsa_user_sgpr_kernarg_segment_ptr 1
		.amdhsa_user_sgpr_dispatch_id 0
		.amdhsa_user_sgpr_private_segment_size 0
		.amdhsa_wavefront_size32 1
		.amdhsa_uses_dynamic_stack 0
		.amdhsa_enable_private_segment 0
		.amdhsa_system_sgpr_workgroup_id_x 1
		.amdhsa_system_sgpr_workgroup_id_y 1
		.amdhsa_system_sgpr_workgroup_id_z 1
		.amdhsa_system_sgpr_workgroup_info 0
		.amdhsa_system_vgpr_workitem_id 1
		.amdhsa_next_free_vgpr 64
		.amdhsa_next_free_sgpr 52
		.amdhsa_reserve_vcc 1
		.amdhsa_float_round_mode_32 0
		.amdhsa_float_round_mode_16_64 0
		.amdhsa_float_denorm_mode_32 3
		.amdhsa_float_denorm_mode_16_64 3
		.amdhsa_fp16_overflow 0
		.amdhsa_workgroup_processor_mode 1
		.amdhsa_memory_ordered 1
		.amdhsa_forward_progress 1
		.amdhsa_inst_pref_size 32
		.amdhsa_round_robin_scheduling 0
		.amdhsa_exception_fp_ieee_invalid_op 0
		.amdhsa_exception_fp_denorm_src 0
		.amdhsa_exception_fp_ieee_div_zero 0
		.amdhsa_exception_fp_ieee_overflow 0
		.amdhsa_exception_fp_ieee_underflow 0
		.amdhsa_exception_fp_ieee_inexact 0
		.amdhsa_exception_int_div_zero 0
	.end_amdhsa_kernel
	.section	.text._ZN12_GLOBAL__N_135rocblas_gemm_batched_general_kernelI19rocblas_complex_numIdELi16ELi16ELi32ELi32ELi8ELi32ELi8ELi8ELi32ELc78ELc84EKS2_S3_S2_EEvlllT_PT11_llS6_llS4_PT12_llPT13_lli,"axG",@progbits,_ZN12_GLOBAL__N_135rocblas_gemm_batched_general_kernelI19rocblas_complex_numIdELi16ELi16ELi32ELi32ELi8ELi32ELi8ELi8ELi32ELc78ELc84EKS2_S3_S2_EEvlllT_PT11_llS6_llS4_PT12_llPT13_lli,comdat
.Lfunc_end138:
	.size	_ZN12_GLOBAL__N_135rocblas_gemm_batched_general_kernelI19rocblas_complex_numIdELi16ELi16ELi32ELi32ELi8ELi32ELi8ELi8ELi32ELc78ELc84EKS2_S3_S2_EEvlllT_PT11_llS6_llS4_PT12_llPT13_lli, .Lfunc_end138-_ZN12_GLOBAL__N_135rocblas_gemm_batched_general_kernelI19rocblas_complex_numIdELi16ELi16ELi32ELi32ELi8ELi32ELi8ELi8ELi32ELc78ELc84EKS2_S3_S2_EEvlllT_PT11_llS6_llS4_PT12_llPT13_lli
                                        ; -- End function
	.set _ZN12_GLOBAL__N_135rocblas_gemm_batched_general_kernelI19rocblas_complex_numIdELi16ELi16ELi32ELi32ELi8ELi32ELi8ELi8ELi32ELc78ELc84EKS2_S3_S2_EEvlllT_PT11_llS6_llS4_PT12_llPT13_lli.num_vgpr, 64
	.set _ZN12_GLOBAL__N_135rocblas_gemm_batched_general_kernelI19rocblas_complex_numIdELi16ELi16ELi32ELi32ELi8ELi32ELi8ELi8ELi32ELc78ELc84EKS2_S3_S2_EEvlllT_PT11_llS6_llS4_PT12_llPT13_lli.num_agpr, 0
	.set _ZN12_GLOBAL__N_135rocblas_gemm_batched_general_kernelI19rocblas_complex_numIdELi16ELi16ELi32ELi32ELi8ELi32ELi8ELi8ELi32ELc78ELc84EKS2_S3_S2_EEvlllT_PT11_llS6_llS4_PT12_llPT13_lli.numbered_sgpr, 52
	.set _ZN12_GLOBAL__N_135rocblas_gemm_batched_general_kernelI19rocblas_complex_numIdELi16ELi16ELi32ELi32ELi8ELi32ELi8ELi8ELi32ELc78ELc84EKS2_S3_S2_EEvlllT_PT11_llS6_llS4_PT12_llPT13_lli.num_named_barrier, 0
	.set _ZN12_GLOBAL__N_135rocblas_gemm_batched_general_kernelI19rocblas_complex_numIdELi16ELi16ELi32ELi32ELi8ELi32ELi8ELi8ELi32ELc78ELc84EKS2_S3_S2_EEvlllT_PT11_llS6_llS4_PT12_llPT13_lli.private_seg_size, 0
	.set _ZN12_GLOBAL__N_135rocblas_gemm_batched_general_kernelI19rocblas_complex_numIdELi16ELi16ELi32ELi32ELi8ELi32ELi8ELi8ELi32ELc78ELc84EKS2_S3_S2_EEvlllT_PT11_llS6_llS4_PT12_llPT13_lli.uses_vcc, 1
	.set _ZN12_GLOBAL__N_135rocblas_gemm_batched_general_kernelI19rocblas_complex_numIdELi16ELi16ELi32ELi32ELi8ELi32ELi8ELi8ELi32ELc78ELc84EKS2_S3_S2_EEvlllT_PT11_llS6_llS4_PT12_llPT13_lli.uses_flat_scratch, 0
	.set _ZN12_GLOBAL__N_135rocblas_gemm_batched_general_kernelI19rocblas_complex_numIdELi16ELi16ELi32ELi32ELi8ELi32ELi8ELi8ELi32ELc78ELc84EKS2_S3_S2_EEvlllT_PT11_llS6_llS4_PT12_llPT13_lli.has_dyn_sized_stack, 0
	.set _ZN12_GLOBAL__N_135rocblas_gemm_batched_general_kernelI19rocblas_complex_numIdELi16ELi16ELi32ELi32ELi8ELi32ELi8ELi8ELi32ELc78ELc84EKS2_S3_S2_EEvlllT_PT11_llS6_llS4_PT12_llPT13_lli.has_recursion, 0
	.set _ZN12_GLOBAL__N_135rocblas_gemm_batched_general_kernelI19rocblas_complex_numIdELi16ELi16ELi32ELi32ELi8ELi32ELi8ELi8ELi32ELc78ELc84EKS2_S3_S2_EEvlllT_PT11_llS6_llS4_PT12_llPT13_lli.has_indirect_call, 0
	.section	.AMDGPU.csdata,"",@progbits
; Kernel info:
; codeLenInByte = 4096
; TotalNumSgprs: 54
; NumVgprs: 64
; ScratchSize: 0
; MemoryBound: 0
; FloatMode: 240
; IeeeMode: 1
; LDSByteSize: 8192 bytes/workgroup (compile time only)
; SGPRBlocks: 0
; VGPRBlocks: 7
; NumSGPRsForWavesPerEU: 54
; NumVGPRsForWavesPerEU: 64
; Occupancy: 16
; WaveLimiterHint : 0
; COMPUTE_PGM_RSRC2:SCRATCH_EN: 0
; COMPUTE_PGM_RSRC2:USER_SGPR: 2
; COMPUTE_PGM_RSRC2:TRAP_HANDLER: 0
; COMPUTE_PGM_RSRC2:TGID_X_EN: 1
; COMPUTE_PGM_RSRC2:TGID_Y_EN: 1
; COMPUTE_PGM_RSRC2:TGID_Z_EN: 1
; COMPUTE_PGM_RSRC2:TIDIG_COMP_CNT: 1
	.section	.text._ZN12_GLOBAL__N_135rocblas_gemm_batched_general_kernelI19rocblas_complex_numIdELi16ELi16ELi32ELi32ELi8ELi32ELi8ELi8ELi32ELc84ELc84EKS2_S3_S2_EEvlllT_PT11_llS6_llS4_PT12_llPT13_lli,"axG",@progbits,_ZN12_GLOBAL__N_135rocblas_gemm_batched_general_kernelI19rocblas_complex_numIdELi16ELi16ELi32ELi32ELi8ELi32ELi8ELi8ELi32ELc84ELc84EKS2_S3_S2_EEvlllT_PT11_llS6_llS4_PT12_llPT13_lli,comdat
	.globl	_ZN12_GLOBAL__N_135rocblas_gemm_batched_general_kernelI19rocblas_complex_numIdELi16ELi16ELi32ELi32ELi8ELi32ELi8ELi8ELi32ELc84ELc84EKS2_S3_S2_EEvlllT_PT11_llS6_llS4_PT12_llPT13_lli ; -- Begin function _ZN12_GLOBAL__N_135rocblas_gemm_batched_general_kernelI19rocblas_complex_numIdELi16ELi16ELi32ELi32ELi8ELi32ELi8ELi8ELi32ELc84ELc84EKS2_S3_S2_EEvlllT_PT11_llS6_llS4_PT12_llPT13_lli
	.p2align	8
	.type	_ZN12_GLOBAL__N_135rocblas_gemm_batched_general_kernelI19rocblas_complex_numIdELi16ELi16ELi32ELi32ELi8ELi32ELi8ELi8ELi32ELc84ELc84EKS2_S3_S2_EEvlllT_PT11_llS6_llS4_PT12_llPT13_lli,@function
_ZN12_GLOBAL__N_135rocblas_gemm_batched_general_kernelI19rocblas_complex_numIdELi16ELi16ELi32ELi32ELi8ELi32ELi8ELi8ELi32ELc84ELc84EKS2_S3_S2_EEvlllT_PT11_llS6_llS4_PT12_llPT13_lli: ; @_ZN12_GLOBAL__N_135rocblas_gemm_batched_general_kernelI19rocblas_complex_numIdELi16ELi16ELi32ELi32ELi8ELi32ELi8ELi8ELi32ELc84ELc84EKS2_S3_S2_EEvlllT_PT11_llS6_llS4_PT12_llPT13_lli
; %bb.0:
	s_load_b32 s33, s[0:1], 0x98
	s_lshr_b32 s6, ttmp7, 16
	s_wait_kmcnt 0x0
	s_cmp_ge_i32 s6, s33
	s_cbranch_scc1 .LBB139_39
; %bb.1:
	s_clause 0x3
	s_load_b512 s[8:23], s[0:1], 0x40
	s_load_b512 s[36:51], s[0:1], 0x0
	s_load_b64 s[28:29], s[0:1], 0x90
	s_load_b128 s[24:27], s[0:1], 0x80
	v_bfe_u32 v2, v0, 10, 10
	v_dual_mov_b32 v1, 0 :: v_dual_and_b32 v4, 0x3ff, v0
	s_and_b32 s52, ttmp7, 0xffff
	s_mov_b32 s2, ttmp9
	s_ashr_i32 s3, ttmp9, 31
	s_lshl_b32 s0, s52, 5
	v_lshl_add_u32 v7, v2, 4, v4
	s_lshl_b64 s[30:31], s[2:3], 5
	v_add_co_u32 v9, s3, s0, v2
	v_dual_mov_b32 v3, s31 :: v_dual_and_b32 v0, 7, v0
	v_lshlrev_b32_e32 v33, 4, v4
	v_add_co_ci_u32_e64 v10, null, 0, 0, s3
	s_wait_kmcnt 0x0
	v_cmp_eq_f64_e64 s1, s[14:15], 0
	v_cmp_eq_f64_e64 s2, s[16:17], 0
	v_add_co_u32 v5, s3, s30, v4
	v_and_b32_e32 v4, 31, v7
	v_mad_co_u64_u32 v[15:16], null, v9, s20, 0
	v_lshrrev_b32_e32 v19, 3, v7
	v_lshlrev_b32_e32 v8, 4, v0
	v_lshl_add_u32 v34, v2, 7, 0x1000
	s_wait_alu 0xf1ff
	v_add_co_ci_u32_e64 v6, null, s31, 0, s3
	v_or_b32_e32 v2, s30, v4
	v_add_co_u32 v11, vcc_lo, v5, 16
	v_add_co_u32 v13, s0, v19, s0
	v_lshrrev_b32_e32 v35, 5, v7
	v_add_co_ci_u32_e64 v12, null, 0, v6, vcc_lo
	v_cmp_gt_i64_e32 vcc_lo, s[36:37], v[2:3]
	v_mov_b32_e32 v3, v16
	v_lshl_or_b32 v17, v19, 7, v8
	v_mad_co_u64_u32 v[7:8], null, v9, s26, 0
	s_wait_alu 0xf1ff
	v_add_co_ci_u32_e64 v14, null, 0, 0, s0
	v_lshlrev_b32_e32 v4, 4, v4
	v_cmp_gt_i64_e64 s0, s[38:39], v[9:10]
	s_lshl_b64 s[34:35], s[20:21], 4
	v_cmp_gt_i64_e64 s4, s[38:39], v[13:14]
	v_mad_co_u64_u32 v[13:14], null, s10, v0, 0
	v_lshl_or_b32 v36, v35, 9, v4
	v_dual_mov_b32 v4, v8 :: v_dual_add_nc_u32 v37, 0x1000, v17
	v_cmp_gt_i64_e64 s20, s[40:41], 0
	s_mov_b32 s7, 0
	v_mad_co_u64_u32 v[16:17], null, v9, s21, v[3:4]
	v_mad_co_u64_u32 v[3:4], null, v9, s27, v[4:5]
	v_mov_b32_e32 v4, v14
	s_and_b32 s30, s1, s2
	v_add_co_u32 v9, s1, v9, 16
	s_wait_alu 0xf1ff
	v_add_co_ci_u32_e64 v10, null, 0, v10, s1
	v_mad_co_u64_u32 v[17:18], null, s11, v0, v[4:5]
	v_mov_b32_e32 v8, v3
	v_lshlrev_b64_e32 v[3:4], 4, v[15:16]
	v_cmp_gt_i64_e64 s2, s[36:37], v[11:12]
	v_cmp_gt_i64_e64 s3, s[38:39], v[9:10]
	v_mul_lo_u32 v11, s49, v2
	v_mad_co_u64_u32 v[9:10], null, s48, v2, 0
	v_mov_b32_e32 v14, v17
	v_add_co_u32 v38, s5, s18, v3
	s_delay_alu instid0(VALU_DEP_1) | instskip(NEXT) | instid1(VALU_DEP_3)
	v_add_co_ci_u32_e64 v39, null, s19, v4, s5
	v_lshlrev_b64_e32 v[3:4], 4, v[13:14]
	s_lshl_b32 s5, s52, 9
	s_mul_i32 s18, s48, s31
	v_lshlrev_b32_e32 v2, 4, v19
	s_wait_alu 0xfffe
	v_add3_u32 v10, v10, s18, v11
	v_lshlrev_b32_e32 v12, 4, v35
	v_add_co_u32 v3, s5, v3, s5
	s_wait_alu 0xf1ff
	v_add_co_ci_u32_e64 v4, null, 0, v4, s5
	v_cmp_gt_i64_e64 s1, s[36:37], v[5:6]
	s_delay_alu instid0(VALU_DEP_3) | instskip(SKIP_3) | instid1(VALU_DEP_3)
	v_add_co_u32 v11, s5, v3, v2
	v_lshlrev_b64_e32 v[2:3], 4, v[9:10]
	s_wait_alu 0xf1ff
	v_add_co_ci_u32_e64 v4, null, 0, v4, s5
	v_add_co_u32 v9, s5, s8, v11
	s_lshl_b64 s[26:27], s[26:27], 4
	v_add_co_ci_u32_e64 v10, null, s9, v4, s5
	v_add_co_u32 v2, s5, v2, v12
	s_wait_alu 0xf1ff
	v_add_co_ci_u32_e64 v3, null, 0, v3, s5
	s_lshl_b64 s[8:9], s[12:13], 4
	v_add_co_u32 v11, s5, s46, v2
	s_wait_alu 0xf1ff
	v_add_co_ci_u32_e64 v12, null, s47, v3, s5
	s_lshl_b64 s[10:11], s[10:11], 7
	s_lshl_b64 s[12:13], s[50:51], 4
	s_xor_b32 s21, vcc_lo, -1
	s_xor_b32 s31, s4, -1
	s_lshl_b64 s[4:5], s[34:35], 4
	s_branch .LBB139_4
.LBB139_2:                              ;   in Loop: Header=BB139_4 Depth=1
	s_wait_alu 0xfffe
	s_or_b32 exec_lo, exec_lo, s34
.LBB139_3:                              ;   in Loop: Header=BB139_4 Depth=1
	s_add_co_i32 s6, s6, 0x10000
	s_wait_alu 0xfffe
	s_cmp_lt_i32 s6, s33
	s_cbranch_scc0 .LBB139_39
.LBB139_4:                              ; =>This Loop Header: Depth=1
                                        ;     Child Loop BB139_7 Depth 2
	s_and_not1_b32 vcc_lo, exec_lo, s20
	s_wait_alu 0xfffe
	s_cbranch_vccnz .LBB139_15
; %bb.5:                                ;   in Loop: Header=BB139_4 Depth=1
	v_mad_co_u64_u32 v[13:14], null, s8, s6, v[9:10]
	v_mad_co_u64_u32 v[15:16], null, s12, s6, v[11:12]
	v_mov_b32_e32 v19, 0
	v_dual_mov_b32 v21, 0 :: v_dual_mov_b32 v20, 0
	s_delay_alu instid0(VALU_DEP_4)
	v_dual_mov_b32 v27, 0 :: v_dual_mov_b32 v2, v14
	v_mov_b32_e32 v23, 0
	v_dual_mov_b32 v24, 0 :: v_dual_mov_b32 v3, v16
	v_dual_mov_b32 v22, 0 :: v_dual_mov_b32 v25, 0
	v_mov_b32_e32 v28, 0
	v_mov_b32_e32 v26, 0
	s_delay_alu instid0(VALU_DEP_4) | instskip(SKIP_3) | instid1(VALU_DEP_4)
	v_mad_co_u64_u32 v[16:17], null, s9, s6, v[2:3]
	v_mad_co_u64_u32 v[2:3], null, s13, s6, v[3:4]
	v_mov_b32_e32 v17, 0
	v_dual_mov_b32 v18, 0 :: v_dual_mov_b32 v31, 0
	v_dual_mov_b32 v29, 0 :: v_dual_mov_b32 v14, v16
	v_mov_b32_e32 v32, 0
	v_mov_b32_e32 v30, 0
	;; [unrolled: 1-line block ×3, first 2 shown]
	s_mov_b64 s[18:19], 0
	s_branch .LBB139_7
.LBB139_6:                              ;   in Loop: Header=BB139_7 Depth=2
	s_wait_alu 0xfffe
	s_or_b32 exec_lo, exec_lo, s34
	s_wait_dscnt 0x0
	s_barrier_signal -1
	s_barrier_wait -1
	global_inv scope:SCOPE_SE
	ds_load_b128 v[40:43], v34
	ds_load_b128 v[44:47], v34 offset:16
	ds_load_b128 v[48:51], v34 offset:32
	;; [unrolled: 1-line block ×3, first 2 shown]
	ds_load_b128 v[56:59], v33
	s_add_nc_u64 s[18:19], s[18:19], 8
	v_add_co_u32 v13, vcc_lo, v13, s10
	s_wait_alu 0xfffe
	v_cmp_lt_i64_e64 s34, s[18:19], s[40:41]
	s_wait_alu 0xfffd
	v_add_co_ci_u32_e64 v14, null, s11, v14, vcc_lo
	v_add_co_u32 v15, vcc_lo, 0x80, v15
	s_wait_alu 0xfffd
	v_add_co_ci_u32_e64 v16, null, 0, v16, vcc_lo
	s_and_b32 vcc_lo, exec_lo, s34
	s_wait_dscnt 0x0
	v_mul_f64_e32 v[2:3], v[42:43], v[58:59]
	v_mul_f64_e32 v[60:61], v[40:41], v[58:59]
	s_delay_alu instid0(VALU_DEP_2) | instskip(NEXT) | instid1(VALU_DEP_2)
	v_fma_f64 v[2:3], v[40:41], v[56:57], -v[2:3]
	v_fma_f64 v[60:61], v[42:43], v[56:57], v[60:61]
	s_delay_alu instid0(VALU_DEP_2) | instskip(NEXT) | instid1(VALU_DEP_2)
	v_add_f64_e32 v[2:3], v[29:30], v[2:3]
	v_add_f64_e32 v[60:61], v[60:61], v[31:32]
	ds_load_b128 v[29:32], v33 offset:256
	s_wait_dscnt 0x0
	v_mul_f64_e32 v[62:63], v[42:43], v[31:32]
	s_delay_alu instid0(VALU_DEP_1) | instskip(SKIP_1) | instid1(VALU_DEP_2)
	v_fma_f64 v[62:63], v[40:41], v[29:30], -v[62:63]
	v_mul_f64_e32 v[40:41], v[40:41], v[31:32]
	v_add_f64_e32 v[62:63], v[17:18], v[62:63]
	s_delay_alu instid0(VALU_DEP_2) | instskip(NEXT) | instid1(VALU_DEP_1)
	v_fma_f64 v[40:41], v[42:43], v[29:30], v[40:41]
	v_add_f64_e32 v[25:26], v[40:41], v[25:26]
	ds_load_b128 v[40:43], v34 offset:2048
	s_wait_dscnt 0x0
	v_mul_f64_e32 v[17:18], v[42:43], v[58:59]
	v_mul_f64_e32 v[58:59], v[40:41], v[58:59]
	s_delay_alu instid0(VALU_DEP_2) | instskip(NEXT) | instid1(VALU_DEP_2)
	v_fma_f64 v[17:18], v[40:41], v[56:57], -v[17:18]
	v_fma_f64 v[56:57], v[42:43], v[56:57], v[58:59]
	s_delay_alu instid0(VALU_DEP_2) | instskip(SKIP_2) | instid1(VALU_DEP_4)
	v_add_f64_e32 v[58:59], v[21:22], v[17:18]
	v_mul_f64_e32 v[17:18], v[42:43], v[31:32]
	v_mul_f64_e32 v[21:22], v[40:41], v[31:32]
	v_add_f64_e32 v[56:57], v[56:57], v[27:28]
	s_delay_alu instid0(VALU_DEP_3) | instskip(NEXT) | instid1(VALU_DEP_3)
	v_fma_f64 v[17:18], v[40:41], v[29:30], -v[17:18]
	v_fma_f64 v[21:22], v[42:43], v[29:30], v[21:22]
	s_delay_alu instid0(VALU_DEP_2)
	v_add_f64_e32 v[29:30], v[19:20], v[17:18]
	ds_load_b128 v[17:20], v33 offset:512
	v_add_f64_e32 v[31:32], v[21:22], v[23:24]
	s_wait_dscnt 0x0
	v_mul_f64_e32 v[21:22], v[46:47], v[19:20]
	v_mul_f64_e32 v[23:24], v[44:45], v[19:20]
	s_delay_alu instid0(VALU_DEP_2) | instskip(NEXT) | instid1(VALU_DEP_2)
	v_fma_f64 v[21:22], v[44:45], v[17:18], -v[21:22]
	v_fma_f64 v[23:24], v[46:47], v[17:18], v[23:24]
	s_delay_alu instid0(VALU_DEP_2) | instskip(NEXT) | instid1(VALU_DEP_2)
	v_add_f64_e32 v[2:3], v[2:3], v[21:22]
	v_add_f64_e32 v[40:41], v[23:24], v[60:61]
	ds_load_b128 v[21:24], v33 offset:768
	s_wait_dscnt 0x0
	v_mul_f64_e32 v[27:28], v[46:47], v[23:24]
	v_mul_f64_e32 v[42:43], v[44:45], v[23:24]
	s_delay_alu instid0(VALU_DEP_2) | instskip(NEXT) | instid1(VALU_DEP_2)
	v_fma_f64 v[27:28], v[44:45], v[21:22], -v[27:28]
	v_fma_f64 v[42:43], v[46:47], v[21:22], v[42:43]
	s_delay_alu instid0(VALU_DEP_2) | instskip(NEXT) | instid1(VALU_DEP_2)
	v_add_f64_e32 v[44:45], v[62:63], v[27:28]
	v_add_f64_e32 v[42:43], v[42:43], v[25:26]
	ds_load_b128 v[25:28], v34 offset:2064
	s_wait_dscnt 0x0
	v_mul_f64_e32 v[46:47], v[27:28], v[19:20]
	v_mul_f64_e32 v[19:20], v[25:26], v[19:20]
	s_delay_alu instid0(VALU_DEP_2) | instskip(NEXT) | instid1(VALU_DEP_2)
	v_fma_f64 v[46:47], v[25:26], v[17:18], -v[46:47]
	v_fma_f64 v[17:18], v[27:28], v[17:18], v[19:20]
	v_mul_f64_e32 v[19:20], v[25:26], v[23:24]
	s_delay_alu instid0(VALU_DEP_3) | instskip(NEXT) | instid1(VALU_DEP_3)
	v_add_f64_e32 v[46:47], v[58:59], v[46:47]
	v_add_f64_e32 v[56:57], v[17:18], v[56:57]
	v_mul_f64_e32 v[17:18], v[27:28], v[23:24]
	s_delay_alu instid0(VALU_DEP_4) | instskip(NEXT) | instid1(VALU_DEP_2)
	v_fma_f64 v[19:20], v[27:28], v[21:22], v[19:20]
	v_fma_f64 v[17:18], v[25:26], v[21:22], -v[17:18]
	s_delay_alu instid0(VALU_DEP_2) | instskip(NEXT) | instid1(VALU_DEP_2)
	v_add_f64_e32 v[31:32], v[19:20], v[31:32]
	v_add_f64_e32 v[29:30], v[29:30], v[17:18]
	ds_load_b128 v[17:20], v33 offset:1024
	s_wait_dscnt 0x0
	v_mul_f64_e32 v[21:22], v[50:51], v[19:20]
	v_mul_f64_e32 v[23:24], v[48:49], v[19:20]
	s_delay_alu instid0(VALU_DEP_2) | instskip(NEXT) | instid1(VALU_DEP_2)
	v_fma_f64 v[21:22], v[48:49], v[17:18], -v[21:22]
	v_fma_f64 v[23:24], v[50:51], v[17:18], v[23:24]
	s_delay_alu instid0(VALU_DEP_2) | instskip(NEXT) | instid1(VALU_DEP_2)
	v_add_f64_e32 v[2:3], v[2:3], v[21:22]
	v_add_f64_e32 v[40:41], v[23:24], v[40:41]
	ds_load_b128 v[21:24], v33 offset:1280
	s_wait_dscnt 0x0
	v_mul_f64_e32 v[25:26], v[50:51], v[23:24]
	v_mul_f64_e32 v[27:28], v[48:49], v[23:24]
	s_delay_alu instid0(VALU_DEP_2) | instskip(NEXT) | instid1(VALU_DEP_2)
	v_fma_f64 v[25:26], v[48:49], v[21:22], -v[25:26]
	v_fma_f64 v[27:28], v[50:51], v[21:22], v[27:28]
	s_delay_alu instid0(VALU_DEP_2) | instskip(NEXT) | instid1(VALU_DEP_2)
	v_add_f64_e32 v[44:45], v[44:45], v[25:26]
	v_add_f64_e32 v[42:43], v[27:28], v[42:43]
	ds_load_b128 v[25:28], v34 offset:2080
	s_wait_dscnt 0x0
	v_mul_f64_e32 v[48:49], v[27:28], v[19:20]
	v_mul_f64_e32 v[19:20], v[25:26], v[19:20]
	s_delay_alu instid0(VALU_DEP_2) | instskip(NEXT) | instid1(VALU_DEP_2)
	v_fma_f64 v[48:49], v[25:26], v[17:18], -v[48:49]
	v_fma_f64 v[17:18], v[27:28], v[17:18], v[19:20]
	v_mul_f64_e32 v[19:20], v[25:26], v[23:24]
	s_delay_alu instid0(VALU_DEP_3) | instskip(NEXT) | instid1(VALU_DEP_3)
	v_add_f64_e32 v[46:47], v[46:47], v[48:49]
	v_add_f64_e32 v[48:49], v[17:18], v[56:57]
	v_mul_f64_e32 v[17:18], v[27:28], v[23:24]
	s_delay_alu instid0(VALU_DEP_4) | instskip(NEXT) | instid1(VALU_DEP_2)
	v_fma_f64 v[19:20], v[27:28], v[21:22], v[19:20]
	v_fma_f64 v[17:18], v[25:26], v[21:22], -v[17:18]
	s_delay_alu instid0(VALU_DEP_2) | instskip(NEXT) | instid1(VALU_DEP_2)
	v_add_f64_e32 v[31:32], v[19:20], v[31:32]
	v_add_f64_e32 v[29:30], v[29:30], v[17:18]
	ds_load_b128 v[17:20], v33 offset:1536
	;; [unrolled: 38-line block ×3, first 2 shown]
	ds_load_b128 v[21:24], v33 offset:2048
	s_wait_dscnt 0x0
	v_mul_f64_e32 v[25:26], v[19:20], v[23:24]
	v_mul_f64_e32 v[27:28], v[17:18], v[23:24]
	s_delay_alu instid0(VALU_DEP_2) | instskip(NEXT) | instid1(VALU_DEP_2)
	v_fma_f64 v[25:26], v[17:18], v[21:22], -v[25:26]
	v_fma_f64 v[27:28], v[19:20], v[21:22], v[27:28]
	s_delay_alu instid0(VALU_DEP_2) | instskip(NEXT) | instid1(VALU_DEP_2)
	v_add_f64_e32 v[2:3], v[2:3], v[25:26]
	v_add_f64_e32 v[40:41], v[27:28], v[40:41]
	ds_load_b128 v[25:28], v33 offset:2304
	s_wait_dscnt 0x0
	v_mul_f64_e32 v[50:51], v[19:20], v[27:28]
	s_delay_alu instid0(VALU_DEP_1) | instskip(SKIP_1) | instid1(VALU_DEP_2)
	v_fma_f64 v[50:51], v[17:18], v[25:26], -v[50:51]
	v_mul_f64_e32 v[17:18], v[17:18], v[27:28]
	v_add_f64_e32 v[44:45], v[44:45], v[50:51]
	s_delay_alu instid0(VALU_DEP_2) | instskip(NEXT) | instid1(VALU_DEP_1)
	v_fma_f64 v[17:18], v[19:20], v[25:26], v[17:18]
	v_add_f64_e32 v[42:43], v[17:18], v[42:43]
	ds_load_b128 v[17:20], v34 offset:2112
	s_wait_dscnt 0x0
	v_mul_f64_e32 v[50:51], v[19:20], v[23:24]
	v_mul_f64_e32 v[23:24], v[17:18], v[23:24]
	s_delay_alu instid0(VALU_DEP_2) | instskip(NEXT) | instid1(VALU_DEP_2)
	v_fma_f64 v[50:51], v[17:18], v[21:22], -v[50:51]
	v_fma_f64 v[21:22], v[19:20], v[21:22], v[23:24]
	s_delay_alu instid0(VALU_DEP_2) | instskip(NEXT) | instid1(VALU_DEP_2)
	v_add_f64_e32 v[46:47], v[46:47], v[50:51]
	v_add_f64_e32 v[48:49], v[21:22], v[48:49]
	v_mul_f64_e32 v[21:22], v[19:20], v[27:28]
	s_delay_alu instid0(VALU_DEP_1) | instskip(SKIP_1) | instid1(VALU_DEP_2)
	v_fma_f64 v[21:22], v[17:18], v[25:26], -v[21:22]
	v_mul_f64_e32 v[17:18], v[17:18], v[27:28]
	v_add_f64_e32 v[29:30], v[29:30], v[21:22]
	s_delay_alu instid0(VALU_DEP_2) | instskip(NEXT) | instid1(VALU_DEP_1)
	v_fma_f64 v[17:18], v[19:20], v[25:26], v[17:18]
	v_add_f64_e32 v[31:32], v[17:18], v[31:32]
	ds_load_b128 v[17:20], v34 offset:80
	ds_load_b128 v[21:24], v33 offset:2560
	s_wait_dscnt 0x0
	v_mul_f64_e32 v[25:26], v[19:20], v[23:24]
	v_mul_f64_e32 v[27:28], v[17:18], v[23:24]
	s_delay_alu instid0(VALU_DEP_2) | instskip(NEXT) | instid1(VALU_DEP_2)
	v_fma_f64 v[25:26], v[17:18], v[21:22], -v[25:26]
	v_fma_f64 v[27:28], v[19:20], v[21:22], v[27:28]
	s_delay_alu instid0(VALU_DEP_2) | instskip(NEXT) | instid1(VALU_DEP_2)
	v_add_f64_e32 v[2:3], v[2:3], v[25:26]
	v_add_f64_e32 v[40:41], v[27:28], v[40:41]
	ds_load_b128 v[25:28], v33 offset:2816
	s_wait_dscnt 0x0
	v_mul_f64_e32 v[50:51], v[19:20], v[27:28]
	s_delay_alu instid0(VALU_DEP_1) | instskip(SKIP_1) | instid1(VALU_DEP_2)
	v_fma_f64 v[50:51], v[17:18], v[25:26], -v[50:51]
	v_mul_f64_e32 v[17:18], v[17:18], v[27:28]
	v_add_f64_e32 v[44:45], v[44:45], v[50:51]
	s_delay_alu instid0(VALU_DEP_2) | instskip(NEXT) | instid1(VALU_DEP_1)
	v_fma_f64 v[17:18], v[19:20], v[25:26], v[17:18]
	v_add_f64_e32 v[42:43], v[17:18], v[42:43]
	ds_load_b128 v[17:20], v34 offset:2128
	s_wait_dscnt 0x0
	v_mul_f64_e32 v[50:51], v[19:20], v[23:24]
	v_mul_f64_e32 v[23:24], v[17:18], v[23:24]
	s_delay_alu instid0(VALU_DEP_2) | instskip(NEXT) | instid1(VALU_DEP_2)
	v_fma_f64 v[50:51], v[17:18], v[21:22], -v[50:51]
	v_fma_f64 v[21:22], v[19:20], v[21:22], v[23:24]
	s_delay_alu instid0(VALU_DEP_2) | instskip(NEXT) | instid1(VALU_DEP_2)
	v_add_f64_e32 v[46:47], v[46:47], v[50:51]
	v_add_f64_e32 v[48:49], v[21:22], v[48:49]
	v_mul_f64_e32 v[21:22], v[19:20], v[27:28]
	s_delay_alu instid0(VALU_DEP_1) | instskip(SKIP_1) | instid1(VALU_DEP_2)
	v_fma_f64 v[21:22], v[17:18], v[25:26], -v[21:22]
	v_mul_f64_e32 v[17:18], v[17:18], v[27:28]
	v_add_f64_e32 v[29:30], v[29:30], v[21:22]
	s_delay_alu instid0(VALU_DEP_2) | instskip(NEXT) | instid1(VALU_DEP_1)
	v_fma_f64 v[17:18], v[19:20], v[25:26], v[17:18]
	v_add_f64_e32 v[31:32], v[17:18], v[31:32]
	ds_load_b128 v[17:20], v34 offset:96
	;; [unrolled: 39-line block ×3, first 2 shown]
	ds_load_b128 v[21:24], v33 offset:3584
	s_wait_dscnt 0x0
	v_mul_f64_e32 v[27:28], v[17:18], v[23:24]
	v_mul_f64_e32 v[25:26], v[19:20], v[23:24]
	s_delay_alu instid0(VALU_DEP_2) | instskip(NEXT) | instid1(VALU_DEP_2)
	v_fma_f64 v[27:28], v[19:20], v[21:22], v[27:28]
	v_fma_f64 v[25:26], v[17:18], v[21:22], -v[25:26]
	s_delay_alu instid0(VALU_DEP_2) | instskip(SKIP_4) | instid1(VALU_DEP_1)
	v_add_f64_e32 v[31:32], v[27:28], v[40:41]
	ds_load_b128 v[40:43], v33 offset:3840
	v_add_f64_e32 v[29:30], v[2:3], v[25:26]
	s_wait_dscnt 0x0
	v_mul_f64_e32 v[2:3], v[19:20], v[42:43]
	v_fma_f64 v[2:3], v[17:18], v[40:41], -v[2:3]
	v_mul_f64_e32 v[17:18], v[17:18], v[42:43]
	s_delay_alu instid0(VALU_DEP_1) | instskip(NEXT) | instid1(VALU_DEP_3)
	v_fma_f64 v[19:20], v[19:20], v[40:41], v[17:18]
	v_add_f64_e32 v[17:18], v[44:45], v[2:3]
	ds_load_b128 v[44:47], v34 offset:2160
	s_wait_loadcnt_dscnt 0x0
	s_barrier_signal -1
	s_barrier_wait -1
	global_inv scope:SCOPE_SE
	v_mul_f64_e32 v[2:3], v[46:47], v[23:24]
	v_add_f64_e32 v[25:26], v[19:20], v[50:51]
	v_mul_f64_e32 v[19:20], v[44:45], v[23:24]
	s_delay_alu instid0(VALU_DEP_3) | instskip(NEXT) | instid1(VALU_DEP_2)
	v_fma_f64 v[2:3], v[44:45], v[21:22], -v[2:3]
	v_fma_f64 v[19:20], v[46:47], v[21:22], v[19:20]
	s_delay_alu instid0(VALU_DEP_2) | instskip(SKIP_1) | instid1(VALU_DEP_3)
	v_add_f64_e32 v[21:22], v[52:53], v[2:3]
	v_mul_f64_e32 v[2:3], v[46:47], v[42:43]
	v_add_f64_e32 v[27:28], v[19:20], v[48:49]
	v_mul_f64_e32 v[19:20], v[44:45], v[42:43]
	s_delay_alu instid0(VALU_DEP_3) | instskip(NEXT) | instid1(VALU_DEP_2)
	v_fma_f64 v[2:3], v[44:45], v[40:41], -v[2:3]
	v_fma_f64 v[23:24], v[46:47], v[40:41], v[19:20]
	s_delay_alu instid0(VALU_DEP_2) | instskip(NEXT) | instid1(VALU_DEP_2)
	v_add_f64_e32 v[19:20], v[54:55], v[2:3]
	v_add_f64_e32 v[23:24], v[23:24], v[56:57]
	s_wait_alu 0xfffe
	s_cbranch_vccz .LBB139_16
.LBB139_7:                              ;   Parent Loop BB139_4 Depth=1
                                        ; =>  This Inner Loop Header: Depth=2
	s_wait_alu 0xfffe
	v_add_co_u32 v2, s34, v35, s18
	s_wait_alu 0xf1ff
	v_add_co_ci_u32_e64 v3, null, 0, s19, s34
	s_delay_alu instid0(VALU_DEP_1)
	v_cmp_le_i64_e32 vcc_lo, s[40:41], v[2:3]
	s_or_b32 s34, s21, vcc_lo
	s_wait_alu 0xfffe
	s_and_saveexec_b32 s35, s34
	s_wait_alu 0xfffe
	s_xor_b32 s34, exec_lo, s35
; %bb.8:                                ;   in Loop: Header=BB139_7 Depth=2
	v_dual_mov_b32 v2, v1 :: v_dual_mov_b32 v3, v1
	v_mov_b32_e32 v4, v1
	ds_store_b128 v36, v[1:4]
; %bb.9:                                ;   in Loop: Header=BB139_7 Depth=2
	s_wait_alu 0xfffe
	s_and_not1_saveexec_b32 s34, s34
	s_cbranch_execz .LBB139_11
; %bb.10:                               ;   in Loop: Header=BB139_7 Depth=2
	global_load_b128 v[40:43], v[15:16], off
	s_wait_loadcnt 0x0
	ds_store_2addr_b64 v36, v[40:41], v[42:43] offset1:1
.LBB139_11:                             ;   in Loop: Header=BB139_7 Depth=2
	s_wait_alu 0xfffe
	s_or_b32 exec_lo, exec_lo, s34
	v_add_co_u32 v2, s34, v0, s18
	s_wait_alu 0xf1ff
	v_add_co_ci_u32_e64 v3, null, 0, s19, s34
	s_delay_alu instid0(VALU_DEP_1)
	v_cmp_le_i64_e32 vcc_lo, s[40:41], v[2:3]
	s_or_b32 s34, vcc_lo, s31
	s_wait_alu 0xfffe
	s_and_saveexec_b32 s35, s34
	s_wait_alu 0xfffe
	s_xor_b32 s34, exec_lo, s35
; %bb.12:                               ;   in Loop: Header=BB139_7 Depth=2
	v_dual_mov_b32 v2, v1 :: v_dual_mov_b32 v3, v1
	v_mov_b32_e32 v4, v1
	ds_store_b128 v37, v[1:4]
; %bb.13:                               ;   in Loop: Header=BB139_7 Depth=2
	s_wait_alu 0xfffe
	s_and_not1_saveexec_b32 s34, s34
	s_cbranch_execz .LBB139_6
; %bb.14:                               ;   in Loop: Header=BB139_7 Depth=2
	global_load_b128 v[40:43], v[13:14], off
	s_wait_loadcnt 0x0
	ds_store_2addr_b64 v37, v[40:41], v[42:43] offset1:1
	s_branch .LBB139_6
.LBB139_15:                             ;   in Loop: Header=BB139_4 Depth=1
	v_mov_b32_e32 v29, 0
	v_mov_b32_e32 v17, 0
	;; [unrolled: 1-line block ×3, first 2 shown]
	v_dual_mov_b32 v19, 0 :: v_dual_mov_b32 v30, 0
	v_dual_mov_b32 v31, 0 :: v_dual_mov_b32 v18, 0
	;; [unrolled: 1-line block ×5, first 2 shown]
	v_mov_b32_e32 v26, 0
	v_mov_b32_e32 v28, 0
	;; [unrolled: 1-line block ×3, first 2 shown]
.LBB139_16:                             ;   in Loop: Header=BB139_4 Depth=1
	s_mul_u64 s[18:19], s[28:29], s[6:7]
	s_and_not1_b32 vcc_lo, exec_lo, s30
	s_wait_alu 0xfffe
	s_lshl_b64 s[18:19], s[18:19], 4
	s_mov_b32 s34, -1
	s_wait_alu 0xfffe
	s_add_nc_u64 s[18:19], s[24:25], s[18:19]
	s_cbranch_vccz .LBB139_18
; %bb.17:                               ;   in Loop: Header=BB139_4 Depth=1
	s_and_not1_b32 vcc_lo, exec_lo, s34
	s_wait_alu 0xfffe
	s_cbranch_vccnz .LBB139_3
	s_branch .LBB139_29
.LBB139_18:                             ;   in Loop: Header=BB139_4 Depth=1
	s_and_saveexec_b32 s34, s0
	s_cbranch_execz .LBB139_28
; %bb.19:                               ;   in Loop: Header=BB139_4 Depth=1
	v_lshlrev_b64_e32 v[2:3], 4, v[7:8]
	s_wait_alu 0xfffe
	s_delay_alu instid0(VALU_DEP_1) | instskip(SKIP_1) | instid1(VALU_DEP_2)
	v_add_co_u32 v2, vcc_lo, s18, v2
	s_wait_alu 0xfffd
	v_add_co_ci_u32_e64 v3, null, s19, v3, vcc_lo
	s_and_saveexec_b32 s35, s1
	s_cbranch_execnz .LBB139_22
; %bb.20:                               ;   in Loop: Header=BB139_4 Depth=1
	s_wait_alu 0xfffe
	s_or_b32 exec_lo, exec_lo, s35
	s_and_saveexec_b32 s35, s2
	s_cbranch_execnz .LBB139_23
.LBB139_21:                             ;   in Loop: Header=BB139_4 Depth=1
	s_wait_alu 0xfffe
	s_or_b32 exec_lo, exec_lo, s35
	s_delay_alu instid0(SALU_CYCLE_1)
	s_and_b32 exec_lo, exec_lo, s3
	s_cbranch_execnz .LBB139_24
	s_branch .LBB139_28
.LBB139_22:                             ;   in Loop: Header=BB139_4 Depth=1
	v_mul_f64_e32 v[13:14], s[44:45], v[31:32]
	v_mul_f64_e32 v[15:16], s[42:43], v[31:32]
	v_lshlrev_b64_e32 v[40:41], 4, v[5:6]
	s_delay_alu instid0(VALU_DEP_1) | instskip(SKIP_1) | instid1(VALU_DEP_2)
	v_add_co_u32 v40, vcc_lo, v2, v40
	s_wait_alu 0xfffd
	v_add_co_ci_u32_e64 v41, null, v3, v41, vcc_lo
	v_fma_f64 v[13:14], s[42:43], v[29:30], -v[13:14]
	v_fma_f64 v[15:16], s[44:45], v[29:30], v[15:16]
	global_store_b128 v[40:41], v[13:16], off
	s_wait_alu 0xfffe
	s_or_b32 exec_lo, exec_lo, s35
	s_and_saveexec_b32 s35, s2
	s_cbranch_execz .LBB139_21
.LBB139_23:                             ;   in Loop: Header=BB139_4 Depth=1
	v_mul_f64_e32 v[13:14], s[44:45], v[25:26]
	v_mul_f64_e32 v[15:16], s[42:43], v[25:26]
	v_lshlrev_b64_e32 v[40:41], 4, v[5:6]
	s_delay_alu instid0(VALU_DEP_1) | instskip(SKIP_1) | instid1(VALU_DEP_2)
	v_add_co_u32 v40, vcc_lo, v2, v40
	s_wait_alu 0xfffd
	v_add_co_ci_u32_e64 v41, null, v3, v41, vcc_lo
	v_fma_f64 v[13:14], s[42:43], v[17:18], -v[13:14]
	v_fma_f64 v[15:16], s[44:45], v[17:18], v[15:16]
	global_store_b128 v[40:41], v[13:16], off offset:256
	s_wait_alu 0xfffe
	s_or_b32 exec_lo, exec_lo, s35
	s_delay_alu instid0(SALU_CYCLE_1)
	s_and_b32 exec_lo, exec_lo, s3
	s_cbranch_execz .LBB139_28
.LBB139_24:                             ;   in Loop: Header=BB139_4 Depth=1
	s_lshl_b64 s[36:37], s[26:27], 4
	v_lshlrev_b64_e32 v[13:14], 4, v[5:6]
	s_wait_alu 0xfffe
	v_add_co_u32 v2, vcc_lo, v2, s36
	s_wait_alu 0xfffd
	v_add_co_ci_u32_e64 v3, null, s37, v3, vcc_lo
	s_delay_alu instid0(VALU_DEP_2) | instskip(SKIP_1) | instid1(VALU_DEP_2)
	v_add_co_u32 v2, vcc_lo, v2, v13
	s_wait_alu 0xfffd
	v_add_co_ci_u32_e64 v3, null, v3, v14, vcc_lo
	s_and_saveexec_b32 s35, s1
	s_cbranch_execz .LBB139_26
; %bb.25:                               ;   in Loop: Header=BB139_4 Depth=1
	v_mul_f64_e32 v[13:14], s[44:45], v[27:28]
	v_mul_f64_e32 v[15:16], s[42:43], v[27:28]
	s_delay_alu instid0(VALU_DEP_2) | instskip(NEXT) | instid1(VALU_DEP_2)
	v_fma_f64 v[13:14], s[42:43], v[21:22], -v[13:14]
	v_fma_f64 v[15:16], s[44:45], v[21:22], v[15:16]
	global_store_b128 v[2:3], v[13:16], off
.LBB139_26:                             ;   in Loop: Header=BB139_4 Depth=1
	s_wait_alu 0xfffe
	s_or_b32 exec_lo, exec_lo, s35
	s_delay_alu instid0(SALU_CYCLE_1)
	s_and_b32 exec_lo, exec_lo, s2
	s_cbranch_execz .LBB139_28
; %bb.27:                               ;   in Loop: Header=BB139_4 Depth=1
	v_mul_f64_e32 v[13:14], s[44:45], v[23:24]
	v_mul_f64_e32 v[15:16], s[42:43], v[23:24]
	s_delay_alu instid0(VALU_DEP_2) | instskip(NEXT) | instid1(VALU_DEP_2)
	v_fma_f64 v[13:14], s[42:43], v[19:20], -v[13:14]
	v_fma_f64 v[15:16], s[44:45], v[19:20], v[15:16]
	global_store_b128 v[2:3], v[13:16], off offset:256
.LBB139_28:                             ;   in Loop: Header=BB139_4 Depth=1
	s_wait_alu 0xfffe
	s_or_b32 exec_lo, exec_lo, s34
	s_cbranch_execnz .LBB139_3
.LBB139_29:                             ;   in Loop: Header=BB139_4 Depth=1
	s_and_saveexec_b32 s34, s0
	s_cbranch_execz .LBB139_2
; %bb.30:                               ;   in Loop: Header=BB139_4 Depth=1
	s_mul_u64 s[36:37], s[22:23], s[6:7]
	v_lshlrev_b64_e32 v[14:15], 4, v[7:8]
	s_wait_alu 0xfffe
	s_lshl_b64 s[36:37], s[36:37], 4
	v_lshlrev_b64_e32 v[2:3], 4, v[5:6]
	s_wait_alu 0xfffe
	v_add_co_u32 v4, vcc_lo, v38, s36
	s_wait_alu 0xfffd
	v_add_co_ci_u32_e64 v13, null, s37, v39, vcc_lo
	v_add_co_u32 v14, vcc_lo, s18, v14
	s_wait_alu 0xfffd
	v_add_co_ci_u32_e64 v15, null, s19, v15, vcc_lo
	s_and_saveexec_b32 s18, s1
	s_cbranch_execnz .LBB139_33
; %bb.31:                               ;   in Loop: Header=BB139_4 Depth=1
	s_wait_alu 0xfffe
	s_or_b32 exec_lo, exec_lo, s18
	s_and_saveexec_b32 s18, s2
	s_cbranch_execnz .LBB139_34
.LBB139_32:                             ;   in Loop: Header=BB139_4 Depth=1
	s_wait_alu 0xfffe
	s_or_b32 exec_lo, exec_lo, s18
	s_delay_alu instid0(SALU_CYCLE_1)
	s_and_b32 exec_lo, exec_lo, s3
	s_cbranch_execz .LBB139_2
	s_branch .LBB139_35
.LBB139_33:                             ;   in Loop: Header=BB139_4 Depth=1
	v_add_co_u32 v40, vcc_lo, v4, v2
	s_wait_alu 0xfffd
	v_add_co_ci_u32_e64 v41, null, v13, v3, vcc_lo
	v_mul_f64_e32 v[44:45], s[44:45], v[31:32]
	v_mul_f64_e32 v[31:32], s[42:43], v[31:32]
	global_load_b128 v[40:43], v[40:41], off
	v_fma_f64 v[44:45], s[42:43], v[29:30], -v[44:45]
	v_fma_f64 v[31:32], s[44:45], v[29:30], v[31:32]
	s_wait_loadcnt 0x0
	v_mul_f64_e32 v[46:47], s[16:17], v[42:43]
	v_mul_f64_e32 v[42:43], s[14:15], v[42:43]
	s_delay_alu instid0(VALU_DEP_2) | instskip(NEXT) | instid1(VALU_DEP_2)
	v_fma_f64 v[29:30], s[14:15], v[40:41], -v[46:47]
	v_fma_f64 v[40:41], s[16:17], v[40:41], v[42:43]
	s_delay_alu instid0(VALU_DEP_2) | instskip(NEXT) | instid1(VALU_DEP_2)
	v_add_f64_e32 v[29:30], v[44:45], v[29:30]
	v_add_f64_e32 v[31:32], v[31:32], v[40:41]
	v_add_co_u32 v40, vcc_lo, v14, v2
	s_wait_alu 0xfffd
	v_add_co_ci_u32_e64 v41, null, v15, v3, vcc_lo
	global_store_b128 v[40:41], v[29:32], off
	s_wait_alu 0xfffe
	s_or_b32 exec_lo, exec_lo, s18
	s_and_saveexec_b32 s18, s2
	s_cbranch_execz .LBB139_32
.LBB139_34:                             ;   in Loop: Header=BB139_4 Depth=1
	v_add_co_u32 v29, vcc_lo, v4, v2
	s_wait_alu 0xfffd
	v_add_co_ci_u32_e64 v30, null, v13, v3, vcc_lo
	v_mul_f64_e32 v[40:41], s[44:45], v[25:26]
	v_mul_f64_e32 v[25:26], s[42:43], v[25:26]
	global_load_b128 v[29:32], v[29:30], off offset:256
	v_fma_f64 v[40:41], s[42:43], v[17:18], -v[40:41]
	v_fma_f64 v[16:17], s[44:45], v[17:18], v[25:26]
	s_wait_loadcnt 0x0
	v_mul_f64_e32 v[42:43], s[16:17], v[31:32]
	v_mul_f64_e32 v[31:32], s[14:15], v[31:32]
	s_delay_alu instid0(VALU_DEP_2) | instskip(NEXT) | instid1(VALU_DEP_2)
	v_fma_f64 v[25:26], s[14:15], v[29:30], -v[42:43]
	v_fma_f64 v[31:32], s[16:17], v[29:30], v[31:32]
	s_delay_alu instid0(VALU_DEP_2) | instskip(NEXT) | instid1(VALU_DEP_2)
	v_add_f64_e32 v[29:30], v[40:41], v[25:26]
	v_add_f64_e32 v[31:32], v[16:17], v[31:32]
	v_add_co_u32 v16, vcc_lo, v14, v2
	s_wait_alu 0xfffd
	v_add_co_ci_u32_e64 v17, null, v15, v3, vcc_lo
	global_store_b128 v[16:17], v[29:32], off offset:256
	s_wait_alu 0xfffe
	s_or_b32 exec_lo, exec_lo, s18
	s_delay_alu instid0(SALU_CYCLE_1)
	s_and_b32 exec_lo, exec_lo, s3
	s_cbranch_execz .LBB139_2
.LBB139_35:                             ;   in Loop: Header=BB139_4 Depth=1
	v_add_co_u32 v4, vcc_lo, v4, s4
	s_lshl_b64 s[18:19], s[26:27], 4
	s_wait_alu 0xfffd
	v_add_co_ci_u32_e64 v16, null, s5, v13, vcc_lo
	s_wait_alu 0xfffe
	v_add_co_u32 v17, vcc_lo, v14, s18
	s_wait_alu 0xfffd
	v_add_co_ci_u32_e64 v15, null, s19, v15, vcc_lo
	v_add_co_u32 v13, vcc_lo, v4, v2
	s_wait_alu 0xfffd
	v_add_co_ci_u32_e64 v14, null, v16, v3, vcc_lo
	;; [unrolled: 3-line block ×3, first 2 shown]
	s_and_saveexec_b32 s18, s1
	s_cbranch_execz .LBB139_37
; %bb.36:                               ;   in Loop: Header=BB139_4 Depth=1
	global_load_b128 v[15:18], v[13:14], off
	v_mul_f64_e32 v[25:26], s[44:45], v[27:28]
	v_mul_f64_e32 v[27:28], s[42:43], v[27:28]
	s_delay_alu instid0(VALU_DEP_2) | instskip(NEXT) | instid1(VALU_DEP_2)
	v_fma_f64 v[25:26], s[42:43], v[21:22], -v[25:26]
	v_fma_f64 v[21:22], s[44:45], v[21:22], v[27:28]
	s_wait_loadcnt 0x0
	v_mul_f64_e32 v[29:30], s[16:17], v[17:18]
	v_mul_f64_e32 v[17:18], s[14:15], v[17:18]
	s_delay_alu instid0(VALU_DEP_2) | instskip(NEXT) | instid1(VALU_DEP_2)
	v_fma_f64 v[27:28], s[14:15], v[15:16], -v[29:30]
	v_fma_f64 v[17:18], s[16:17], v[15:16], v[17:18]
	s_delay_alu instid0(VALU_DEP_2) | instskip(NEXT) | instid1(VALU_DEP_2)
	v_add_f64_e32 v[15:16], v[25:26], v[27:28]
	v_add_f64_e32 v[17:18], v[21:22], v[17:18]
	global_store_b128 v[2:3], v[15:18], off
.LBB139_37:                             ;   in Loop: Header=BB139_4 Depth=1
	s_wait_alu 0xfffe
	s_or_b32 exec_lo, exec_lo, s18
	s_delay_alu instid0(SALU_CYCLE_1)
	s_and_b32 exec_lo, exec_lo, s2
	s_cbranch_execz .LBB139_2
; %bb.38:                               ;   in Loop: Header=BB139_4 Depth=1
	global_load_b128 v[13:16], v[13:14], off offset:256
	v_mul_f64_e32 v[17:18], s[44:45], v[23:24]
	v_mul_f64_e32 v[21:22], s[42:43], v[23:24]
	s_delay_alu instid0(VALU_DEP_2) | instskip(NEXT) | instid1(VALU_DEP_2)
	v_fma_f64 v[17:18], s[42:43], v[19:20], -v[17:18]
	v_fma_f64 v[19:20], s[44:45], v[19:20], v[21:22]
	s_wait_loadcnt 0x0
	v_mul_f64_e32 v[23:24], s[16:17], v[15:16]
	v_mul_f64_e32 v[15:16], s[14:15], v[15:16]
	s_delay_alu instid0(VALU_DEP_2) | instskip(NEXT) | instid1(VALU_DEP_2)
	v_fma_f64 v[21:22], s[14:15], v[13:14], -v[23:24]
	v_fma_f64 v[15:16], s[16:17], v[13:14], v[15:16]
	s_delay_alu instid0(VALU_DEP_2) | instskip(NEXT) | instid1(VALU_DEP_2)
	v_add_f64_e32 v[13:14], v[17:18], v[21:22]
	v_add_f64_e32 v[15:16], v[19:20], v[15:16]
	global_store_b128 v[2:3], v[13:16], off offset:256
	s_branch .LBB139_2
.LBB139_39:
	s_endpgm
	.section	.rodata,"a",@progbits
	.p2align	6, 0x0
	.amdhsa_kernel _ZN12_GLOBAL__N_135rocblas_gemm_batched_general_kernelI19rocblas_complex_numIdELi16ELi16ELi32ELi32ELi8ELi32ELi8ELi8ELi32ELc84ELc84EKS2_S3_S2_EEvlllT_PT11_llS6_llS4_PT12_llPT13_lli
		.amdhsa_group_segment_fixed_size 8192
		.amdhsa_private_segment_fixed_size 0
		.amdhsa_kernarg_size 156
		.amdhsa_user_sgpr_count 2
		.amdhsa_user_sgpr_dispatch_ptr 0
		.amdhsa_user_sgpr_queue_ptr 0
		.amdhsa_user_sgpr_kernarg_segment_ptr 1
		.amdhsa_user_sgpr_dispatch_id 0
		.amdhsa_user_sgpr_private_segment_size 0
		.amdhsa_wavefront_size32 1
		.amdhsa_uses_dynamic_stack 0
		.amdhsa_enable_private_segment 0
		.amdhsa_system_sgpr_workgroup_id_x 1
		.amdhsa_system_sgpr_workgroup_id_y 1
		.amdhsa_system_sgpr_workgroup_id_z 1
		.amdhsa_system_sgpr_workgroup_info 0
		.amdhsa_system_vgpr_workitem_id 1
		.amdhsa_next_free_vgpr 64
		.amdhsa_next_free_sgpr 53
		.amdhsa_reserve_vcc 1
		.amdhsa_float_round_mode_32 0
		.amdhsa_float_round_mode_16_64 0
		.amdhsa_float_denorm_mode_32 3
		.amdhsa_float_denorm_mode_16_64 3
		.amdhsa_fp16_overflow 0
		.amdhsa_workgroup_processor_mode 1
		.amdhsa_memory_ordered 1
		.amdhsa_forward_progress 1
		.amdhsa_inst_pref_size 32
		.amdhsa_round_robin_scheduling 0
		.amdhsa_exception_fp_ieee_invalid_op 0
		.amdhsa_exception_fp_denorm_src 0
		.amdhsa_exception_fp_ieee_div_zero 0
		.amdhsa_exception_fp_ieee_overflow 0
		.amdhsa_exception_fp_ieee_underflow 0
		.amdhsa_exception_fp_ieee_inexact 0
		.amdhsa_exception_int_div_zero 0
	.end_amdhsa_kernel
	.section	.text._ZN12_GLOBAL__N_135rocblas_gemm_batched_general_kernelI19rocblas_complex_numIdELi16ELi16ELi32ELi32ELi8ELi32ELi8ELi8ELi32ELc84ELc84EKS2_S3_S2_EEvlllT_PT11_llS6_llS4_PT12_llPT13_lli,"axG",@progbits,_ZN12_GLOBAL__N_135rocblas_gemm_batched_general_kernelI19rocblas_complex_numIdELi16ELi16ELi32ELi32ELi8ELi32ELi8ELi8ELi32ELc84ELc84EKS2_S3_S2_EEvlllT_PT11_llS6_llS4_PT12_llPT13_lli,comdat
.Lfunc_end139:
	.size	_ZN12_GLOBAL__N_135rocblas_gemm_batched_general_kernelI19rocblas_complex_numIdELi16ELi16ELi32ELi32ELi8ELi32ELi8ELi8ELi32ELc84ELc84EKS2_S3_S2_EEvlllT_PT11_llS6_llS4_PT12_llPT13_lli, .Lfunc_end139-_ZN12_GLOBAL__N_135rocblas_gemm_batched_general_kernelI19rocblas_complex_numIdELi16ELi16ELi32ELi32ELi8ELi32ELi8ELi8ELi32ELc84ELc84EKS2_S3_S2_EEvlllT_PT11_llS6_llS4_PT12_llPT13_lli
                                        ; -- End function
	.set _ZN12_GLOBAL__N_135rocblas_gemm_batched_general_kernelI19rocblas_complex_numIdELi16ELi16ELi32ELi32ELi8ELi32ELi8ELi8ELi32ELc84ELc84EKS2_S3_S2_EEvlllT_PT11_llS6_llS4_PT12_llPT13_lli.num_vgpr, 64
	.set _ZN12_GLOBAL__N_135rocblas_gemm_batched_general_kernelI19rocblas_complex_numIdELi16ELi16ELi32ELi32ELi8ELi32ELi8ELi8ELi32ELc84ELc84EKS2_S3_S2_EEvlllT_PT11_llS6_llS4_PT12_llPT13_lli.num_agpr, 0
	.set _ZN12_GLOBAL__N_135rocblas_gemm_batched_general_kernelI19rocblas_complex_numIdELi16ELi16ELi32ELi32ELi8ELi32ELi8ELi8ELi32ELc84ELc84EKS2_S3_S2_EEvlllT_PT11_llS6_llS4_PT12_llPT13_lli.numbered_sgpr, 53
	.set _ZN12_GLOBAL__N_135rocblas_gemm_batched_general_kernelI19rocblas_complex_numIdELi16ELi16ELi32ELi32ELi8ELi32ELi8ELi8ELi32ELc84ELc84EKS2_S3_S2_EEvlllT_PT11_llS6_llS4_PT12_llPT13_lli.num_named_barrier, 0
	.set _ZN12_GLOBAL__N_135rocblas_gemm_batched_general_kernelI19rocblas_complex_numIdELi16ELi16ELi32ELi32ELi8ELi32ELi8ELi8ELi32ELc84ELc84EKS2_S3_S2_EEvlllT_PT11_llS6_llS4_PT12_llPT13_lli.private_seg_size, 0
	.set _ZN12_GLOBAL__N_135rocblas_gemm_batched_general_kernelI19rocblas_complex_numIdELi16ELi16ELi32ELi32ELi8ELi32ELi8ELi8ELi32ELc84ELc84EKS2_S3_S2_EEvlllT_PT11_llS6_llS4_PT12_llPT13_lli.uses_vcc, 1
	.set _ZN12_GLOBAL__N_135rocblas_gemm_batched_general_kernelI19rocblas_complex_numIdELi16ELi16ELi32ELi32ELi8ELi32ELi8ELi8ELi32ELc84ELc84EKS2_S3_S2_EEvlllT_PT11_llS6_llS4_PT12_llPT13_lli.uses_flat_scratch, 0
	.set _ZN12_GLOBAL__N_135rocblas_gemm_batched_general_kernelI19rocblas_complex_numIdELi16ELi16ELi32ELi32ELi8ELi32ELi8ELi8ELi32ELc84ELc84EKS2_S3_S2_EEvlllT_PT11_llS6_llS4_PT12_llPT13_lli.has_dyn_sized_stack, 0
	.set _ZN12_GLOBAL__N_135rocblas_gemm_batched_general_kernelI19rocblas_complex_numIdELi16ELi16ELi32ELi32ELi8ELi32ELi8ELi8ELi32ELc84ELc84EKS2_S3_S2_EEvlllT_PT11_llS6_llS4_PT12_llPT13_lli.has_recursion, 0
	.set _ZN12_GLOBAL__N_135rocblas_gemm_batched_general_kernelI19rocblas_complex_numIdELi16ELi16ELi32ELi32ELi8ELi32ELi8ELi8ELi32ELc84ELc84EKS2_S3_S2_EEvlllT_PT11_llS6_llS4_PT12_llPT13_lli.has_indirect_call, 0
	.section	.AMDGPU.csdata,"",@progbits
; Kernel info:
; codeLenInByte = 4056
; TotalNumSgprs: 55
; NumVgprs: 64
; ScratchSize: 0
; MemoryBound: 0
; FloatMode: 240
; IeeeMode: 1
; LDSByteSize: 8192 bytes/workgroup (compile time only)
; SGPRBlocks: 0
; VGPRBlocks: 7
; NumSGPRsForWavesPerEU: 55
; NumVGPRsForWavesPerEU: 64
; Occupancy: 16
; WaveLimiterHint : 0
; COMPUTE_PGM_RSRC2:SCRATCH_EN: 0
; COMPUTE_PGM_RSRC2:USER_SGPR: 2
; COMPUTE_PGM_RSRC2:TRAP_HANDLER: 0
; COMPUTE_PGM_RSRC2:TGID_X_EN: 1
; COMPUTE_PGM_RSRC2:TGID_Y_EN: 1
; COMPUTE_PGM_RSRC2:TGID_Z_EN: 1
; COMPUTE_PGM_RSRC2:TIDIG_COMP_CNT: 1
	.section	.text._ZN12_GLOBAL__N_135rocblas_gemm_batched_general_kernelI19rocblas_complex_numIdELi16ELi16ELi32ELi32ELi8ELi32ELi8ELi8ELi32ELc67ELc67EKS2_S3_S2_EEvlllT_PT11_llS6_llS4_PT12_llPT13_lli,"axG",@progbits,_ZN12_GLOBAL__N_135rocblas_gemm_batched_general_kernelI19rocblas_complex_numIdELi16ELi16ELi32ELi32ELi8ELi32ELi8ELi8ELi32ELc67ELc67EKS2_S3_S2_EEvlllT_PT11_llS6_llS4_PT12_llPT13_lli,comdat
	.globl	_ZN12_GLOBAL__N_135rocblas_gemm_batched_general_kernelI19rocblas_complex_numIdELi16ELi16ELi32ELi32ELi8ELi32ELi8ELi8ELi32ELc67ELc67EKS2_S3_S2_EEvlllT_PT11_llS6_llS4_PT12_llPT13_lli ; -- Begin function _ZN12_GLOBAL__N_135rocblas_gemm_batched_general_kernelI19rocblas_complex_numIdELi16ELi16ELi32ELi32ELi8ELi32ELi8ELi8ELi32ELc67ELc67EKS2_S3_S2_EEvlllT_PT11_llS6_llS4_PT12_llPT13_lli
	.p2align	8
	.type	_ZN12_GLOBAL__N_135rocblas_gemm_batched_general_kernelI19rocblas_complex_numIdELi16ELi16ELi32ELi32ELi8ELi32ELi8ELi8ELi32ELc67ELc67EKS2_S3_S2_EEvlllT_PT11_llS6_llS4_PT12_llPT13_lli,@function
_ZN12_GLOBAL__N_135rocblas_gemm_batched_general_kernelI19rocblas_complex_numIdELi16ELi16ELi32ELi32ELi8ELi32ELi8ELi8ELi32ELc67ELc67EKS2_S3_S2_EEvlllT_PT11_llS6_llS4_PT12_llPT13_lli: ; @_ZN12_GLOBAL__N_135rocblas_gemm_batched_general_kernelI19rocblas_complex_numIdELi16ELi16ELi32ELi32ELi8ELi32ELi8ELi8ELi32ELc67ELc67EKS2_S3_S2_EEvlllT_PT11_llS6_llS4_PT12_llPT13_lli
; %bb.0:
	s_load_b32 s33, s[0:1], 0x98
	s_lshr_b32 s6, ttmp7, 16
	s_wait_kmcnt 0x0
	s_cmp_ge_i32 s6, s33
	s_cbranch_scc1 .LBB140_35
; %bb.1:
	s_clause 0x3
	s_load_b512 s[8:23], s[0:1], 0x40
	s_load_b512 s[36:51], s[0:1], 0x0
	s_load_b64 s[28:29], s[0:1], 0x90
	s_load_b128 s[24:27], s[0:1], 0x80
	s_mov_b32 s2, ttmp9
	s_ashr_i32 s3, ttmp9, 31
	v_bfe_u32 v2, v0, 10, 10
	s_lshl_b64 s[30:31], s[2:3], 5
	s_delay_alu instid0(SALU_CYCLE_1) | instskip(SKIP_3) | instid1(VALU_DEP_3)
	v_dual_mov_b32 v1, s31 :: v_dual_and_b32 v4, 0x3ff, v0
	v_and_b32_e32 v36, 7, v0
	s_and_b32 s34, ttmp7, 0xffff
	v_lshl_add_u32 v38, v2, 7, 0x1000
	v_lshl_add_u32 v0, v2, 4, v4
	s_lshl_b32 s0, s34, 5
	v_lshlrev_b32_e32 v37, 4, v4
	v_add_co_u32 v2, s1, s0, v2
	s_delay_alu instid0(VALU_DEP_3)
	v_lshrrev_b32_e32 v17, 3, v0
	v_and_b32_e32 v11, 31, v0
	s_wait_kmcnt 0x0
	v_cmp_eq_f64_e64 s3, s[14:15], 0
	v_cmp_eq_f64_e64 s4, s[16:17], 0
	v_mad_co_u64_u32 v[12:13], null, v2, s20, 0
	v_add_co_u32 v6, s0, v17, s0
	v_lshrrev_b32_e32 v39, 5, v0
	v_or_b32_e32 v0, s30, v11
	s_wait_alu 0xf1ff
	v_add_co_ci_u32_e64 v7, null, 0, 0, s0
	v_add_co_ci_u32_e64 v3, null, 0, 0, s1
	v_add_co_u32 v8, s1, s30, v4
	s_wait_alu 0xf1ff
	v_add_co_ci_u32_e64 v9, null, s31, 0, s1
	v_cmp_gt_i64_e64 s0, s[36:37], v[0:1]
	v_cmp_gt_i64_e64 s1, s[38:39], v[6:7]
	v_mov_b32_e32 v1, v13
	v_mad_co_u64_u32 v[6:7], null, s10, v36, 0
	v_lshlrev_b32_e32 v10, 4, v36
	v_lshlrev_b32_e32 v14, 4, v11
	v_add_co_u32 v4, vcc_lo, v8, 16
	s_delay_alu instid0(VALU_DEP_1) | instskip(NEXT) | instid1(VALU_DEP_3)
	v_add_co_ci_u32_e64 v5, null, 0, v9, vcc_lo
	v_lshl_or_b32 v40, v39, 9, v14
	v_mad_co_u64_u32 v[13:14], null, v2, s21, v[1:2]
	v_mov_b32_e32 v1, v7
	v_lshl_or_b32 v15, v17, 7, v10
	v_mad_co_u64_u32 v[10:11], null, v2, s26, 0
	v_cmp_gt_i64_e64 s2, s[38:39], v[2:3]
	s_lshl_b64 s[20:21], s[20:21], 4
	v_add_nc_u32_e32 v41, 0x1000, v15
	s_mov_b32 s7, 0
	s_and_b32 s30, s3, s4
	v_mad_co_u64_u32 v[14:15], null, v2, s27, v[11:12]
	v_add_co_u32 v2, vcc_lo, v2, 16
	v_cmp_gt_i64_e64 s4, s[36:37], v[4:5]
	v_lshlrev_b64_e32 v[4:5], 4, v[12:13]
	s_wait_alu 0xfffd
	v_add_co_ci_u32_e64 v3, null, 0, v3, vcc_lo
	v_mad_co_u64_u32 v[15:16], null, s11, v36, v[1:2]
	v_mov_b32_e32 v11, v14
	s_delay_alu instid0(VALU_DEP_4) | instskip(NEXT) | instid1(VALU_DEP_4)
	v_add_co_u32 v42, vcc_lo, s18, v4
	v_cmp_gt_i64_e64 s5, s[38:39], v[2:3]
	s_wait_alu 0xfffd
	v_add_co_ci_u32_e64 v43, null, s19, v5, vcc_lo
	v_mov_b32_e32 v7, v15
	v_mul_lo_u32 v5, s49, v0
	v_mad_co_u64_u32 v[3:4], null, s48, v0, 0
	s_lshl_b32 s18, s34, 9
	v_lshlrev_b64_e32 v[1:2], 4, v[6:7]
	s_mul_i32 s19, s48, s31
	v_lshlrev_b32_e32 v0, 4, v17
	v_cmp_gt_i64_e64 s3, s[36:37], v[8:9]
	v_cmp_gt_i64_e64 s31, s[40:41], 0
	s_wait_alu 0xfffe
	v_add3_u32 v4, v4, s19, v5
	v_add_co_u32 v1, vcc_lo, v1, s18
	s_wait_alu 0xfffd
	v_add_co_ci_u32_e64 v2, null, 0, v2, vcc_lo
	s_lshl_b64 s[26:27], s[26:27], 4
	v_add_co_u32 v5, vcc_lo, v1, v0
	v_lshlrev_b64_e32 v[0:1], 4, v[3:4]
	s_wait_alu 0xfffd
	v_add_co_ci_u32_e64 v2, null, 0, v2, vcc_lo
	v_lshlrev_b32_e32 v3, 4, v39
	v_add_co_u32 v4, vcc_lo, s8, v5
	s_wait_alu 0xfffd
	s_delay_alu instid0(VALU_DEP_3) | instskip(NEXT) | instid1(VALU_DEP_3)
	v_add_co_ci_u32_e64 v2, null, s9, v2, vcc_lo
	v_add_co_u32 v0, vcc_lo, v0, v3
	s_wait_alu 0xfffd
	v_add_co_ci_u32_e64 v1, null, 0, v1, vcc_lo
	v_add_co_u32 v12, vcc_lo, v4, 8
	s_wait_alu 0xfffd
	;; [unrolled: 3-line block ×3, first 2 shown]
	v_add_co_ci_u32_e64 v1, null, s47, v1, vcc_lo
	s_lshl_b64 s[8:9], s[12:13], 4
	v_add_co_u32 v14, vcc_lo, v0, 8
	s_wait_alu 0xfffd
	v_add_co_ci_u32_e64 v15, null, 0, v1, vcc_lo
	s_lshl_b64 s[10:11], s[10:11], 7
	s_lshl_b64 s[12:13], s[50:51], 4
	;; [unrolled: 1-line block ×3, first 2 shown]
	s_branch .LBB140_4
.LBB140_2:                              ;   in Loop: Header=BB140_4 Depth=1
	s_wait_alu 0xfffe
	s_or_b32 exec_lo, exec_lo, s34
.LBB140_3:                              ;   in Loop: Header=BB140_4 Depth=1
	s_add_co_i32 s6, s6, 0x10000
	s_wait_alu 0xfffe
	s_cmp_lt_i32 s6, s33
	s_cbranch_scc0 .LBB140_35
.LBB140_4:                              ; =>This Loop Header: Depth=1
                                        ;     Child Loop BB140_7 Depth 2
	s_and_not1_b32 vcc_lo, exec_lo, s31
	s_wait_alu 0xfffe
	s_cbranch_vccnz .LBB140_11
; %bb.5:                                ;   in Loop: Header=BB140_4 Depth=1
	v_mad_co_u64_u32 v[16:17], null, s8, s6, v[12:13]
	v_mad_co_u64_u32 v[18:19], null, s12, s6, v[14:15]
	v_mov_b32_e32 v22, 0
	v_mov_b32_e32 v20, 0
	;; [unrolled: 1-line block ×4, first 2 shown]
	v_dual_mov_b32 v0, v17 :: v_dual_mov_b32 v23, 0
	v_mov_b32_e32 v1, v19
	v_dual_mov_b32 v21, 0 :: v_dual_mov_b32 v26, 0
	v_dual_mov_b32 v25, 0 :: v_dual_mov_b32 v30, 0
	s_delay_alu instid0(VALU_DEP_3)
	v_mad_co_u64_u32 v[2:3], null, s9, s6, v[0:1]
	v_dual_mov_b32 v29, 0 :: v_dual_mov_b32 v34, 0
	v_dual_mov_b32 v32, 0 :: v_dual_mov_b32 v27, 0
	v_mov_b32_e32 v31, 0
	v_mov_b32_e32 v35, 0
	v_mad_co_u64_u32 v[0:1], null, s13, s6, v[1:2]
	v_mov_b32_e32 v33, 0
	v_mov_b32_e32 v17, v2
	s_mov_b64 s[20:21], 0
	s_delay_alu instid0(VALU_DEP_3)
	v_mov_b32_e32 v19, v0
	s_branch .LBB140_7
.LBB140_6:                              ;   in Loop: Header=BB140_7 Depth=2
	s_wait_alu 0xfffe
	s_or_b32 exec_lo, exec_lo, s34
	ds_store_b128 v41, v[4:7]
	s_wait_dscnt 0x0
	s_barrier_signal -1
	s_barrier_wait -1
	global_inv scope:SCOPE_SE
	ds_load_b128 v[0:3], v38
	ds_load_b128 v[4:7], v37
	ds_load_b128 v[44:47], v37 offset:256
	ds_load_b128 v[48:51], v38 offset:2048
	ds_load_b128 v[52:55], v38 offset:16
	ds_load_b128 v[56:59], v38 offset:2064
	ds_load_b128 v[60:63], v37 offset:512
	ds_load_b128 v[64:67], v37 offset:768
	ds_load_b128 v[68:71], v38 offset:32
	ds_load_b128 v[72:75], v37 offset:1024
	ds_load_b128 v[76:79], v37 offset:1280
	ds_load_b128 v[80:83], v38 offset:2080
	s_add_nc_u64 s[20:21], s[20:21], 8
	v_add_co_u32 v16, vcc_lo, v16, s10
	s_wait_alu 0xfffe
	v_cmp_lt_i64_e64 s34, s[20:21], s[40:41]
	s_wait_alu 0xfffd
	v_add_co_ci_u32_e64 v17, null, s11, v17, vcc_lo
	v_add_co_u32 v18, vcc_lo, 0x80, v18
	s_wait_alu 0xfffd
	v_add_co_ci_u32_e64 v19, null, 0, v19, vcc_lo
	s_and_b32 vcc_lo, exec_lo, s34
	s_wait_dscnt 0xa
	v_mul_f64_e32 v[84:85], v[2:3], v[6:7]
	v_mul_f64_e32 v[86:87], v[0:1], v[6:7]
	s_wait_dscnt 0x9
	v_mul_f64_e32 v[88:89], v[2:3], v[46:47]
	v_mul_f64_e32 v[90:91], v[0:1], v[46:47]
	;; [unrolled: 3-line block ×3, first 2 shown]
	v_mul_f64_e32 v[94:95], v[50:51], v[46:47]
	v_mul_f64_e32 v[46:47], v[48:49], v[46:47]
	s_wait_dscnt 0x5
	v_mul_f64_e32 v[96:97], v[54:55], v[62:63]
	v_mul_f64_e32 v[98:99], v[52:53], v[62:63]
	s_wait_dscnt 0x4
	v_mul_f64_e32 v[100:101], v[54:55], v[66:67]
	v_mul_f64_e32 v[102:103], v[52:53], v[66:67]
	;; [unrolled: 1-line block ×6, first 2 shown]
	s_wait_dscnt 0x2
	v_mul_f64_e32 v[112:113], v[70:71], v[74:75]
	v_mul_f64_e32 v[114:115], v[68:69], v[74:75]
	s_wait_dscnt 0x1
	v_mul_f64_e32 v[116:117], v[70:71], v[78:79]
	v_mul_f64_e32 v[118:119], v[68:69], v[78:79]
	;; [unrolled: 3-line block ×3, first 2 shown]
	v_mul_f64_e32 v[122:123], v[82:83], v[78:79]
	v_mul_f64_e32 v[78:79], v[80:81], v[78:79]
	v_fma_f64 v[84:85], v[0:1], v[4:5], -v[84:85]
	v_fma_f64 v[86:87], v[2:3], v[4:5], v[86:87]
	v_fma_f64 v[88:89], v[0:1], v[44:45], -v[88:89]
	v_fma_f64 v[90:91], v[2:3], v[44:45], v[90:91]
	;; [unrolled: 2-line block ×8, first 2 shown]
	ds_load_b128 v[0:3], v38 offset:48
	ds_load_b128 v[4:7], v38 offset:2096
	;; [unrolled: 1-line block ×4, first 2 shown]
	v_fma_f64 v[112:113], v[68:69], v[72:73], -v[112:113]
	v_fma_f64 v[114:115], v[70:71], v[72:73], v[114:115]
	v_fma_f64 v[68:69], v[68:69], v[76:77], -v[116:117]
	v_fma_f64 v[70:71], v[70:71], v[76:77], v[118:119]
	;; [unrolled: 2-line block ×4, first 2 shown]
	s_wait_dscnt 0x1
	v_mul_f64_e32 v[102:103], v[0:1], v[46:47]
	s_wait_dscnt 0x0
	v_mul_f64_e32 v[104:105], v[2:3], v[50:51]
	v_mul_f64_e32 v[106:107], v[0:1], v[50:51]
	v_add_f64_e32 v[62:63], v[32:33], v[84:85]
	v_add_f64_e32 v[64:65], v[86:87], v[34:35]
	;; [unrolled: 1-line block ×8, first 2 shown]
	v_mul_f64_e32 v[94:95], v[2:3], v[46:47]
	v_mul_f64_e32 v[108:109], v[6:7], v[46:47]
	v_mul_f64_e32 v[46:47], v[4:5], v[46:47]
	v_mul_f64_e32 v[110:111], v[6:7], v[50:51]
	v_mul_f64_e32 v[124:125], v[4:5], v[50:51]
	ds_load_b128 v[20:23], v38 offset:64
	ds_load_b128 v[24:27], v37 offset:2048
	;; [unrolled: 1-line block ×4, first 2 shown]
	s_wait_dscnt 0x0
	v_mul_f64_e32 v[118:119], v[34:35], v[26:27]
	v_mul_f64_e32 v[120:121], v[34:35], v[30:31]
	v_fma_f64 v[102:103], v[2:3], v[44:45], v[102:103]
	v_fma_f64 v[104:105], v[0:1], v[48:49], -v[104:105]
	v_fma_f64 v[106:107], v[2:3], v[48:49], v[106:107]
	v_add_f64_e32 v[78:79], v[62:63], v[96:97]
	v_add_f64_e32 v[80:81], v[98:99], v[64:65]
	;; [unrolled: 1-line block ×8, first 2 shown]
	v_mul_f64_e32 v[92:93], v[22:23], v[26:27]
	v_mul_f64_e32 v[96:97], v[20:21], v[26:27]
	;; [unrolled: 1-line block ×6, first 2 shown]
	v_fma_f64 v[94:95], v[0:1], v[44:45], -v[94:95]
	v_fma_f64 v[108:109], v[4:5], v[44:45], -v[108:109]
	v_fma_f64 v[122:123], v[6:7], v[44:45], v[46:47]
	v_fma_f64 v[110:111], v[4:5], v[48:49], -v[110:111]
	v_fma_f64 v[48:49], v[6:7], v[48:49], v[124:125]
	ds_load_b128 v[50:53], v38 offset:80
	ds_load_b128 v[54:57], v38 offset:2128
	;; [unrolled: 1-line block ×4, first 2 shown]
	v_fma_f64 v[118:119], v[32:33], v[24:25], -v[118:119]
	v_fma_f64 v[120:121], v[32:33], v[28:29], -v[120:121]
	v_add_f64_e32 v[78:79], v[78:79], v[112:113]
	v_add_f64_e32 v[80:81], v[114:115], v[80:81]
	;; [unrolled: 1-line block ×8, first 2 shown]
	s_wait_dscnt 0x1
	v_mul_f64_e32 v[84:85], v[52:53], v[60:61]
	v_mul_f64_e32 v[86:87], v[50:51], v[60:61]
	s_wait_dscnt 0x0
	v_mul_f64_e32 v[88:89], v[52:53], v[64:65]
	v_mul_f64_e32 v[90:91], v[50:51], v[64:65]
	v_mul_f64_e32 v[114:115], v[56:57], v[60:61]
	v_mul_f64_e32 v[60:61], v[54:55], v[60:61]
	v_mul_f64_e32 v[116:117], v[56:57], v[64:65]
	v_mul_f64_e32 v[64:65], v[54:55], v[64:65]
	v_fma_f64 v[92:93], v[20:21], v[24:25], -v[92:93]
	v_fma_f64 v[96:97], v[22:23], v[24:25], v[96:97]
	v_fma_f64 v[98:99], v[20:21], v[28:29], -v[98:99]
	v_fma_f64 v[100:101], v[22:23], v[28:29], v[100:101]
	v_fma_f64 v[124:125], v[34:35], v[24:25], v[26:27]
	;; [unrolled: 1-line block ×3, first 2 shown]
	ds_load_b128 v[0:3], v38 offset:96
	ds_load_b128 v[4:7], v37 offset:3072
	;; [unrolled: 1-line block ×8, first 2 shown]
	s_wait_loadcnt_dscnt 0x0
	s_barrier_signal -1
	s_barrier_wait -1
	global_inv scope:SCOPE_SE
	v_add_f64_e32 v[78:79], v[78:79], v[94:95]
	v_add_f64_e32 v[80:81], v[102:103], v[80:81]
	;; [unrolled: 1-line block ×8, first 2 shown]
	v_mul_f64_e32 v[76:77], v[2:3], v[6:7]
	v_mul_f64_e32 v[102:103], v[0:1], v[6:7]
	;; [unrolled: 1-line block ×8, first 2 shown]
	v_fma_f64 v[84:85], v[50:51], v[58:59], -v[84:85]
	v_fma_f64 v[86:87], v[52:53], v[58:59], v[86:87]
	v_fma_f64 v[50:51], v[50:51], v[62:63], -v[88:89]
	v_fma_f64 v[52:53], v[52:53], v[62:63], v[90:91]
	;; [unrolled: 2-line block ×4, first 2 shown]
	v_mul_f64_e32 v[90:91], v[22:23], v[34:35]
	v_add_f64_e32 v[60:61], v[78:79], v[92:93]
	v_add_f64_e32 v[62:63], v[96:97], v[80:81]
	;; [unrolled: 1-line block ×8, first 2 shown]
	v_mul_f64_e32 v[80:81], v[22:23], v[30:31]
	v_mul_f64_e32 v[82:83], v[20:21], v[30:31]
	v_mul_f64_e32 v[92:93], v[20:21], v[34:35]
	v_mul_f64_e32 v[94:95], v[26:27], v[30:31]
	v_mul_f64_e32 v[30:31], v[24:25], v[30:31]
	v_mul_f64_e32 v[96:97], v[26:27], v[34:35]
	v_mul_f64_e32 v[34:35], v[24:25], v[34:35]
	v_fma_f64 v[76:77], v[0:1], v[4:5], -v[76:77]
	v_fma_f64 v[98:99], v[2:3], v[4:5], v[102:103]
	v_fma_f64 v[0:1], v[0:1], v[44:45], -v[104:105]
	v_fma_f64 v[2:3], v[2:3], v[44:45], v[106:107]
	;; [unrolled: 2-line block ×4, first 2 shown]
	v_add_f64_e32 v[46:47], v[60:61], v[84:85]
	v_add_f64_e32 v[60:61], v[86:87], v[62:63]
	;; [unrolled: 1-line block ×8, first 2 shown]
	v_fma_f64 v[56:57], v[20:21], v[28:29], -v[80:81]
	v_fma_f64 v[64:65], v[22:23], v[28:29], v[82:83]
	v_fma_f64 v[20:21], v[20:21], v[32:33], -v[90:91]
	v_fma_f64 v[22:23], v[22:23], v[32:33], v[92:93]
	;; [unrolled: 2-line block ×4, first 2 shown]
	v_add_f64_e32 v[24:25], v[46:47], v[76:77]
	v_add_f64_e32 v[26:27], v[98:99], v[60:61]
	;; [unrolled: 1-line block ×16, first 2 shown]
	s_wait_alu 0xfffe
	s_cbranch_vccz .LBB140_12
.LBB140_7:                              ;   Parent Loop BB140_4 Depth=1
                                        ; =>  This Inner Loop Header: Depth=2
	s_wait_alu 0xfffe
	v_add_co_u32 v0, s34, v39, s20
	s_wait_alu 0xf1ff
	v_add_co_ci_u32_e64 v1, null, 0, s21, s34
	v_mov_b32_e32 v2, 0
	v_mov_b32_e32 v3, 0
	s_delay_alu instid0(VALU_DEP_3)
	v_cmp_gt_i64_e32 vcc_lo, s[40:41], v[0:1]
	v_mov_b32_e32 v0, 0
	v_mov_b32_e32 v1, 0
	s_and_b32 s35, s0, vcc_lo
	s_wait_alu 0xfffe
	s_and_saveexec_b32 s34, s35
	s_cbranch_execz .LBB140_9
; %bb.8:                                ;   in Loop: Header=BB140_7 Depth=2
	global_load_b128 v[0:3], v[18:19], off offset:-8
	s_wait_loadcnt 0x0
	v_xor_b32_e32 v3, 0x80000000, v3
.LBB140_9:                              ;   in Loop: Header=BB140_7 Depth=2
	s_wait_alu 0xfffe
	s_or_b32 exec_lo, exec_lo, s34
	v_add_co_u32 v4, s34, v36, s20
	s_wait_alu 0xf1ff
	v_add_co_ci_u32_e64 v5, null, 0, s21, s34
	ds_store_b128 v40, v[0:3]
	v_mov_b32_e32 v6, 0
	v_mov_b32_e32 v7, 0
	v_cmp_gt_i64_e32 vcc_lo, s[40:41], v[4:5]
	v_mov_b32_e32 v4, 0
	v_mov_b32_e32 v5, 0
	s_and_b32 s35, vcc_lo, s1
	s_wait_alu 0xfffe
	s_and_saveexec_b32 s34, s35
	s_cbranch_execz .LBB140_6
; %bb.10:                               ;   in Loop: Header=BB140_7 Depth=2
	global_load_b128 v[4:7], v[16:17], off offset:-8
	s_wait_loadcnt 0x0
	v_xor_b32_e32 v7, 0x80000000, v7
	s_branch .LBB140_6
.LBB140_11:                             ;   in Loop: Header=BB140_4 Depth=1
	v_mov_b32_e32 v32, 0
	v_mov_b32_e32 v28, 0
	v_mov_b32_e32 v24, 0
	v_dual_mov_b32 v20, 0 :: v_dual_mov_b32 v33, 0
	v_dual_mov_b32 v34, 0 :: v_dual_mov_b32 v29, 0
	;; [unrolled: 1-line block ×5, first 2 shown]
	v_mov_b32_e32 v31, 0
	v_mov_b32_e32 v27, 0
	;; [unrolled: 1-line block ×3, first 2 shown]
.LBB140_12:                             ;   in Loop: Header=BB140_4 Depth=1
	s_mul_u64 s[20:21], s[28:29], s[6:7]
	s_and_not1_b32 vcc_lo, exec_lo, s30
	s_wait_alu 0xfffe
	s_lshl_b64 s[20:21], s[20:21], 4
	s_mov_b32 s34, -1
	s_wait_alu 0xfffe
	s_add_nc_u64 s[20:21], s[24:25], s[20:21]
	s_cbranch_vccz .LBB140_14
; %bb.13:                               ;   in Loop: Header=BB140_4 Depth=1
	s_and_not1_b32 vcc_lo, exec_lo, s34
	s_wait_alu 0xfffe
	s_cbranch_vccnz .LBB140_3
	s_branch .LBB140_25
.LBB140_14:                             ;   in Loop: Header=BB140_4 Depth=1
	s_and_saveexec_b32 s34, s2
	s_cbranch_execz .LBB140_24
; %bb.15:                               ;   in Loop: Header=BB140_4 Depth=1
	v_lshlrev_b64_e32 v[0:1], 4, v[10:11]
	s_wait_alu 0xfffe
	s_delay_alu instid0(VALU_DEP_1) | instskip(SKIP_1) | instid1(VALU_DEP_2)
	v_add_co_u32 v0, vcc_lo, s20, v0
	s_wait_alu 0xfffd
	v_add_co_ci_u32_e64 v1, null, s21, v1, vcc_lo
	s_and_saveexec_b32 s35, s3
	s_cbranch_execnz .LBB140_18
; %bb.16:                               ;   in Loop: Header=BB140_4 Depth=1
	s_wait_alu 0xfffe
	s_or_b32 exec_lo, exec_lo, s35
	s_and_saveexec_b32 s35, s4
	s_cbranch_execnz .LBB140_19
.LBB140_17:                             ;   in Loop: Header=BB140_4 Depth=1
	s_wait_alu 0xfffe
	s_or_b32 exec_lo, exec_lo, s35
	s_delay_alu instid0(SALU_CYCLE_1)
	s_and_b32 exec_lo, exec_lo, s5
	s_cbranch_execnz .LBB140_20
	s_branch .LBB140_24
.LBB140_18:                             ;   in Loop: Header=BB140_4 Depth=1
	v_mul_f64_e32 v[2:3], s[44:45], v[34:35]
	v_mul_f64_e32 v[4:5], s[42:43], v[34:35]
	v_lshlrev_b64_e32 v[6:7], 4, v[8:9]
	s_delay_alu instid0(VALU_DEP_1) | instskip(SKIP_1) | instid1(VALU_DEP_2)
	v_add_co_u32 v6, vcc_lo, v0, v6
	s_wait_alu 0xfffd
	v_add_co_ci_u32_e64 v7, null, v1, v7, vcc_lo
	v_fma_f64 v[2:3], s[42:43], v[32:33], -v[2:3]
	v_fma_f64 v[4:5], s[44:45], v[32:33], v[4:5]
	global_store_b128 v[6:7], v[2:5], off
	s_wait_alu 0xfffe
	s_or_b32 exec_lo, exec_lo, s35
	s_and_saveexec_b32 s35, s4
	s_cbranch_execz .LBB140_17
.LBB140_19:                             ;   in Loop: Header=BB140_4 Depth=1
	v_mul_f64_e32 v[2:3], s[44:45], v[30:31]
	v_mul_f64_e32 v[4:5], s[42:43], v[30:31]
	v_lshlrev_b64_e32 v[6:7], 4, v[8:9]
	s_delay_alu instid0(VALU_DEP_1) | instskip(SKIP_1) | instid1(VALU_DEP_2)
	v_add_co_u32 v6, vcc_lo, v0, v6
	s_wait_alu 0xfffd
	v_add_co_ci_u32_e64 v7, null, v1, v7, vcc_lo
	v_fma_f64 v[2:3], s[42:43], v[28:29], -v[2:3]
	v_fma_f64 v[4:5], s[44:45], v[28:29], v[4:5]
	global_store_b128 v[6:7], v[2:5], off offset:256
	s_wait_alu 0xfffe
	s_or_b32 exec_lo, exec_lo, s35
	s_delay_alu instid0(SALU_CYCLE_1)
	s_and_b32 exec_lo, exec_lo, s5
	s_cbranch_execz .LBB140_24
.LBB140_20:                             ;   in Loop: Header=BB140_4 Depth=1
	s_lshl_b64 s[36:37], s[26:27], 4
	v_lshlrev_b64_e32 v[2:3], 4, v[8:9]
	s_wait_alu 0xfffe
	v_add_co_u32 v0, vcc_lo, v0, s36
	s_wait_alu 0xfffd
	v_add_co_ci_u32_e64 v1, null, s37, v1, vcc_lo
	s_delay_alu instid0(VALU_DEP_2) | instskip(SKIP_1) | instid1(VALU_DEP_2)
	v_add_co_u32 v0, vcc_lo, v0, v2
	s_wait_alu 0xfffd
	v_add_co_ci_u32_e64 v1, null, v1, v3, vcc_lo
	s_and_saveexec_b32 s35, s3
	s_cbranch_execz .LBB140_22
; %bb.21:                               ;   in Loop: Header=BB140_4 Depth=1
	v_mul_f64_e32 v[2:3], s[44:45], v[26:27]
	v_mul_f64_e32 v[4:5], s[42:43], v[26:27]
	s_delay_alu instid0(VALU_DEP_2) | instskip(NEXT) | instid1(VALU_DEP_2)
	v_fma_f64 v[2:3], s[42:43], v[24:25], -v[2:3]
	v_fma_f64 v[4:5], s[44:45], v[24:25], v[4:5]
	global_store_b128 v[0:1], v[2:5], off
.LBB140_22:                             ;   in Loop: Header=BB140_4 Depth=1
	s_wait_alu 0xfffe
	s_or_b32 exec_lo, exec_lo, s35
	s_delay_alu instid0(SALU_CYCLE_1)
	s_and_b32 exec_lo, exec_lo, s4
	s_cbranch_execz .LBB140_24
; %bb.23:                               ;   in Loop: Header=BB140_4 Depth=1
	v_mul_f64_e32 v[2:3], s[44:45], v[22:23]
	v_mul_f64_e32 v[4:5], s[42:43], v[22:23]
	s_delay_alu instid0(VALU_DEP_2) | instskip(NEXT) | instid1(VALU_DEP_2)
	v_fma_f64 v[2:3], s[42:43], v[20:21], -v[2:3]
	v_fma_f64 v[4:5], s[44:45], v[20:21], v[4:5]
	global_store_b128 v[0:1], v[2:5], off offset:256
.LBB140_24:                             ;   in Loop: Header=BB140_4 Depth=1
	s_wait_alu 0xfffe
	s_or_b32 exec_lo, exec_lo, s34
	s_cbranch_execnz .LBB140_3
.LBB140_25:                             ;   in Loop: Header=BB140_4 Depth=1
	s_and_saveexec_b32 s34, s2
	s_cbranch_execz .LBB140_2
; %bb.26:                               ;   in Loop: Header=BB140_4 Depth=1
	s_mul_u64 s[36:37], s[22:23], s[6:7]
	v_lshlrev_b64_e32 v[4:5], 4, v[10:11]
	s_wait_alu 0xfffe
	s_lshl_b64 s[36:37], s[36:37], 4
	v_lshlrev_b64_e32 v[0:1], 4, v[8:9]
	s_wait_alu 0xfffe
	v_add_co_u32 v2, vcc_lo, v42, s36
	s_wait_alu 0xfffd
	v_add_co_ci_u32_e64 v3, null, s37, v43, vcc_lo
	v_add_co_u32 v4, vcc_lo, s20, v4
	s_wait_alu 0xfffd
	v_add_co_ci_u32_e64 v5, null, s21, v5, vcc_lo
	s_and_saveexec_b32 s20, s3
	s_cbranch_execnz .LBB140_29
; %bb.27:                               ;   in Loop: Header=BB140_4 Depth=1
	s_wait_alu 0xfffe
	s_or_b32 exec_lo, exec_lo, s20
	s_and_saveexec_b32 s20, s4
	s_cbranch_execnz .LBB140_30
.LBB140_28:                             ;   in Loop: Header=BB140_4 Depth=1
	s_wait_alu 0xfffe
	s_or_b32 exec_lo, exec_lo, s20
	s_delay_alu instid0(SALU_CYCLE_1)
	s_and_b32 exec_lo, exec_lo, s5
	s_cbranch_execz .LBB140_2
	s_branch .LBB140_31
.LBB140_29:                             ;   in Loop: Header=BB140_4 Depth=1
	v_add_co_u32 v6, vcc_lo, v2, v0
	s_wait_alu 0xfffd
	v_add_co_ci_u32_e64 v7, null, v3, v1, vcc_lo
	global_load_b128 v[16:19], v[6:7], off
	v_mul_f64_e32 v[6:7], s[44:45], v[34:35]
	v_mul_f64_e32 v[34:35], s[42:43], v[34:35]
	s_delay_alu instid0(VALU_DEP_2) | instskip(NEXT) | instid1(VALU_DEP_2)
	v_fma_f64 v[6:7], s[42:43], v[32:33], -v[6:7]
	v_fma_f64 v[32:33], s[44:45], v[32:33], v[34:35]
	s_wait_loadcnt 0x0
	v_mul_f64_e32 v[44:45], s[16:17], v[18:19]
	v_mul_f64_e32 v[18:19], s[14:15], v[18:19]
	s_delay_alu instid0(VALU_DEP_2) | instskip(NEXT) | instid1(VALU_DEP_2)
	v_fma_f64 v[34:35], s[14:15], v[16:17], -v[44:45]
	v_fma_f64 v[18:19], s[16:17], v[16:17], v[18:19]
	s_delay_alu instid0(VALU_DEP_2) | instskip(NEXT) | instid1(VALU_DEP_2)
	v_add_f64_e32 v[16:17], v[6:7], v[34:35]
	v_add_f64_e32 v[18:19], v[32:33], v[18:19]
	v_add_co_u32 v6, vcc_lo, v4, v0
	s_wait_alu 0xfffd
	v_add_co_ci_u32_e64 v7, null, v5, v1, vcc_lo
	global_store_b128 v[6:7], v[16:19], off
	s_wait_alu 0xfffe
	s_or_b32 exec_lo, exec_lo, s20
	s_and_saveexec_b32 s20, s4
	s_cbranch_execz .LBB140_28
.LBB140_30:                             ;   in Loop: Header=BB140_4 Depth=1
	v_add_co_u32 v6, vcc_lo, v2, v0
	s_wait_alu 0xfffd
	v_add_co_ci_u32_e64 v7, null, v3, v1, vcc_lo
	global_load_b128 v[16:19], v[6:7], off offset:256
	v_mul_f64_e32 v[6:7], s[44:45], v[30:31]
	v_mul_f64_e32 v[30:31], s[42:43], v[30:31]
	s_delay_alu instid0(VALU_DEP_2) | instskip(NEXT) | instid1(VALU_DEP_2)
	v_fma_f64 v[6:7], s[42:43], v[28:29], -v[6:7]
	v_fma_f64 v[28:29], s[44:45], v[28:29], v[30:31]
	s_wait_loadcnt 0x0
	v_mul_f64_e32 v[32:33], s[16:17], v[18:19]
	v_mul_f64_e32 v[18:19], s[14:15], v[18:19]
	s_delay_alu instid0(VALU_DEP_2) | instskip(NEXT) | instid1(VALU_DEP_2)
	v_fma_f64 v[30:31], s[14:15], v[16:17], -v[32:33]
	v_fma_f64 v[18:19], s[16:17], v[16:17], v[18:19]
	s_delay_alu instid0(VALU_DEP_2) | instskip(NEXT) | instid1(VALU_DEP_2)
	v_add_f64_e32 v[16:17], v[6:7], v[30:31]
	v_add_f64_e32 v[18:19], v[28:29], v[18:19]
	v_add_co_u32 v6, vcc_lo, v4, v0
	s_wait_alu 0xfffd
	v_add_co_ci_u32_e64 v7, null, v5, v1, vcc_lo
	global_store_b128 v[6:7], v[16:19], off offset:256
	s_wait_alu 0xfffe
	s_or_b32 exec_lo, exec_lo, s20
	s_delay_alu instid0(SALU_CYCLE_1)
	s_and_b32 exec_lo, exec_lo, s5
	s_cbranch_execz .LBB140_2
.LBB140_31:                             ;   in Loop: Header=BB140_4 Depth=1
	v_add_co_u32 v2, vcc_lo, v2, s18
	s_lshl_b64 s[20:21], s[26:27], 4
	s_wait_alu 0xfffd
	v_add_co_ci_u32_e64 v3, null, s19, v3, vcc_lo
	s_wait_alu 0xfffe
	v_add_co_u32 v4, vcc_lo, v4, s20
	s_wait_alu 0xfffd
	v_add_co_ci_u32_e64 v5, null, s21, v5, vcc_lo
	v_add_co_u32 v2, vcc_lo, v2, v0
	s_wait_alu 0xfffd
	v_add_co_ci_u32_e64 v3, null, v3, v1, vcc_lo
	;; [unrolled: 3-line block ×3, first 2 shown]
	s_and_saveexec_b32 s20, s3
	s_cbranch_execz .LBB140_33
; %bb.32:                               ;   in Loop: Header=BB140_4 Depth=1
	global_load_b128 v[4:7], v[2:3], off
	v_mul_f64_e32 v[16:17], s[44:45], v[26:27]
	v_mul_f64_e32 v[18:19], s[42:43], v[26:27]
	s_delay_alu instid0(VALU_DEP_2) | instskip(NEXT) | instid1(VALU_DEP_2)
	v_fma_f64 v[16:17], s[42:43], v[24:25], -v[16:17]
	v_fma_f64 v[18:19], s[44:45], v[24:25], v[18:19]
	s_wait_loadcnt 0x0
	v_mul_f64_e32 v[26:27], s[16:17], v[6:7]
	v_mul_f64_e32 v[6:7], s[14:15], v[6:7]
	s_delay_alu instid0(VALU_DEP_2) | instskip(NEXT) | instid1(VALU_DEP_2)
	v_fma_f64 v[24:25], s[14:15], v[4:5], -v[26:27]
	v_fma_f64 v[6:7], s[16:17], v[4:5], v[6:7]
	s_delay_alu instid0(VALU_DEP_2) | instskip(NEXT) | instid1(VALU_DEP_2)
	v_add_f64_e32 v[4:5], v[16:17], v[24:25]
	v_add_f64_e32 v[6:7], v[18:19], v[6:7]
	global_store_b128 v[0:1], v[4:7], off
.LBB140_33:                             ;   in Loop: Header=BB140_4 Depth=1
	s_wait_alu 0xfffe
	s_or_b32 exec_lo, exec_lo, s20
	s_delay_alu instid0(SALU_CYCLE_1)
	s_and_b32 exec_lo, exec_lo, s4
	s_cbranch_execz .LBB140_2
; %bb.34:                               ;   in Loop: Header=BB140_4 Depth=1
	global_load_b128 v[2:5], v[2:3], off offset:256
	v_mul_f64_e32 v[6:7], s[44:45], v[22:23]
	v_mul_f64_e32 v[16:17], s[42:43], v[22:23]
	s_delay_alu instid0(VALU_DEP_2) | instskip(NEXT) | instid1(VALU_DEP_2)
	v_fma_f64 v[6:7], s[42:43], v[20:21], -v[6:7]
	v_fma_f64 v[16:17], s[44:45], v[20:21], v[16:17]
	s_wait_loadcnt 0x0
	v_mul_f64_e32 v[18:19], s[16:17], v[4:5]
	v_mul_f64_e32 v[4:5], s[14:15], v[4:5]
	s_delay_alu instid0(VALU_DEP_2) | instskip(NEXT) | instid1(VALU_DEP_2)
	v_fma_f64 v[18:19], s[14:15], v[2:3], -v[18:19]
	v_fma_f64 v[4:5], s[16:17], v[2:3], v[4:5]
	s_delay_alu instid0(VALU_DEP_2) | instskip(NEXT) | instid1(VALU_DEP_2)
	v_add_f64_e32 v[2:3], v[6:7], v[18:19]
	v_add_f64_e32 v[4:5], v[16:17], v[4:5]
	global_store_b128 v[0:1], v[2:5], off offset:256
	s_branch .LBB140_2
.LBB140_35:
	s_nop 0
	s_sendmsg sendmsg(MSG_DEALLOC_VGPRS)
	s_endpgm
	.section	.rodata,"a",@progbits
	.p2align	6, 0x0
	.amdhsa_kernel _ZN12_GLOBAL__N_135rocblas_gemm_batched_general_kernelI19rocblas_complex_numIdELi16ELi16ELi32ELi32ELi8ELi32ELi8ELi8ELi32ELc67ELc67EKS2_S3_S2_EEvlllT_PT11_llS6_llS4_PT12_llPT13_lli
		.amdhsa_group_segment_fixed_size 8192
		.amdhsa_private_segment_fixed_size 0
		.amdhsa_kernarg_size 156
		.amdhsa_user_sgpr_count 2
		.amdhsa_user_sgpr_dispatch_ptr 0
		.amdhsa_user_sgpr_queue_ptr 0
		.amdhsa_user_sgpr_kernarg_segment_ptr 1
		.amdhsa_user_sgpr_dispatch_id 0
		.amdhsa_user_sgpr_private_segment_size 0
		.amdhsa_wavefront_size32 1
		.amdhsa_uses_dynamic_stack 0
		.amdhsa_enable_private_segment 0
		.amdhsa_system_sgpr_workgroup_id_x 1
		.amdhsa_system_sgpr_workgroup_id_y 1
		.amdhsa_system_sgpr_workgroup_id_z 1
		.amdhsa_system_sgpr_workgroup_info 0
		.amdhsa_system_vgpr_workitem_id 1
		.amdhsa_next_free_vgpr 128
		.amdhsa_next_free_sgpr 52
		.amdhsa_reserve_vcc 1
		.amdhsa_float_round_mode_32 0
		.amdhsa_float_round_mode_16_64 0
		.amdhsa_float_denorm_mode_32 3
		.amdhsa_float_denorm_mode_16_64 3
		.amdhsa_fp16_overflow 0
		.amdhsa_workgroup_processor_mode 1
		.amdhsa_memory_ordered 1
		.amdhsa_forward_progress 1
		.amdhsa_inst_pref_size 30
		.amdhsa_round_robin_scheduling 0
		.amdhsa_exception_fp_ieee_invalid_op 0
		.amdhsa_exception_fp_denorm_src 0
		.amdhsa_exception_fp_ieee_div_zero 0
		.amdhsa_exception_fp_ieee_overflow 0
		.amdhsa_exception_fp_ieee_underflow 0
		.amdhsa_exception_fp_ieee_inexact 0
		.amdhsa_exception_int_div_zero 0
	.end_amdhsa_kernel
	.section	.text._ZN12_GLOBAL__N_135rocblas_gemm_batched_general_kernelI19rocblas_complex_numIdELi16ELi16ELi32ELi32ELi8ELi32ELi8ELi8ELi32ELc67ELc67EKS2_S3_S2_EEvlllT_PT11_llS6_llS4_PT12_llPT13_lli,"axG",@progbits,_ZN12_GLOBAL__N_135rocblas_gemm_batched_general_kernelI19rocblas_complex_numIdELi16ELi16ELi32ELi32ELi8ELi32ELi8ELi8ELi32ELc67ELc67EKS2_S3_S2_EEvlllT_PT11_llS6_llS4_PT12_llPT13_lli,comdat
.Lfunc_end140:
	.size	_ZN12_GLOBAL__N_135rocblas_gemm_batched_general_kernelI19rocblas_complex_numIdELi16ELi16ELi32ELi32ELi8ELi32ELi8ELi8ELi32ELc67ELc67EKS2_S3_S2_EEvlllT_PT11_llS6_llS4_PT12_llPT13_lli, .Lfunc_end140-_ZN12_GLOBAL__N_135rocblas_gemm_batched_general_kernelI19rocblas_complex_numIdELi16ELi16ELi32ELi32ELi8ELi32ELi8ELi8ELi32ELc67ELc67EKS2_S3_S2_EEvlllT_PT11_llS6_llS4_PT12_llPT13_lli
                                        ; -- End function
	.set _ZN12_GLOBAL__N_135rocblas_gemm_batched_general_kernelI19rocblas_complex_numIdELi16ELi16ELi32ELi32ELi8ELi32ELi8ELi8ELi32ELc67ELc67EKS2_S3_S2_EEvlllT_PT11_llS6_llS4_PT12_llPT13_lli.num_vgpr, 128
	.set _ZN12_GLOBAL__N_135rocblas_gemm_batched_general_kernelI19rocblas_complex_numIdELi16ELi16ELi32ELi32ELi8ELi32ELi8ELi8ELi32ELc67ELc67EKS2_S3_S2_EEvlllT_PT11_llS6_llS4_PT12_llPT13_lli.num_agpr, 0
	.set _ZN12_GLOBAL__N_135rocblas_gemm_batched_general_kernelI19rocblas_complex_numIdELi16ELi16ELi32ELi32ELi8ELi32ELi8ELi8ELi32ELc67ELc67EKS2_S3_S2_EEvlllT_PT11_llS6_llS4_PT12_llPT13_lli.numbered_sgpr, 52
	.set _ZN12_GLOBAL__N_135rocblas_gemm_batched_general_kernelI19rocblas_complex_numIdELi16ELi16ELi32ELi32ELi8ELi32ELi8ELi8ELi32ELc67ELc67EKS2_S3_S2_EEvlllT_PT11_llS6_llS4_PT12_llPT13_lli.num_named_barrier, 0
	.set _ZN12_GLOBAL__N_135rocblas_gemm_batched_general_kernelI19rocblas_complex_numIdELi16ELi16ELi32ELi32ELi8ELi32ELi8ELi8ELi32ELc67ELc67EKS2_S3_S2_EEvlllT_PT11_llS6_llS4_PT12_llPT13_lli.private_seg_size, 0
	.set _ZN12_GLOBAL__N_135rocblas_gemm_batched_general_kernelI19rocblas_complex_numIdELi16ELi16ELi32ELi32ELi8ELi32ELi8ELi8ELi32ELc67ELc67EKS2_S3_S2_EEvlllT_PT11_llS6_llS4_PT12_llPT13_lli.uses_vcc, 1
	.set _ZN12_GLOBAL__N_135rocblas_gemm_batched_general_kernelI19rocblas_complex_numIdELi16ELi16ELi32ELi32ELi8ELi32ELi8ELi8ELi32ELc67ELc67EKS2_S3_S2_EEvlllT_PT11_llS6_llS4_PT12_llPT13_lli.uses_flat_scratch, 0
	.set _ZN12_GLOBAL__N_135rocblas_gemm_batched_general_kernelI19rocblas_complex_numIdELi16ELi16ELi32ELi32ELi8ELi32ELi8ELi8ELi32ELc67ELc67EKS2_S3_S2_EEvlllT_PT11_llS6_llS4_PT12_llPT13_lli.has_dyn_sized_stack, 0
	.set _ZN12_GLOBAL__N_135rocblas_gemm_batched_general_kernelI19rocblas_complex_numIdELi16ELi16ELi32ELi32ELi8ELi32ELi8ELi8ELi32ELc67ELc67EKS2_S3_S2_EEvlllT_PT11_llS6_llS4_PT12_llPT13_lli.has_recursion, 0
	.set _ZN12_GLOBAL__N_135rocblas_gemm_batched_general_kernelI19rocblas_complex_numIdELi16ELi16ELi32ELi32ELi8ELi32ELi8ELi8ELi32ELc67ELc67EKS2_S3_S2_EEvlllT_PT11_llS6_llS4_PT12_llPT13_lli.has_indirect_call, 0
	.section	.AMDGPU.csdata,"",@progbits
; Kernel info:
; codeLenInByte = 3800
; TotalNumSgprs: 54
; NumVgprs: 128
; ScratchSize: 0
; MemoryBound: 1
; FloatMode: 240
; IeeeMode: 1
; LDSByteSize: 8192 bytes/workgroup (compile time only)
; SGPRBlocks: 0
; VGPRBlocks: 15
; NumSGPRsForWavesPerEU: 54
; NumVGPRsForWavesPerEU: 128
; Occupancy: 10
; WaveLimiterHint : 0
; COMPUTE_PGM_RSRC2:SCRATCH_EN: 0
; COMPUTE_PGM_RSRC2:USER_SGPR: 2
; COMPUTE_PGM_RSRC2:TRAP_HANDLER: 0
; COMPUTE_PGM_RSRC2:TGID_X_EN: 1
; COMPUTE_PGM_RSRC2:TGID_Y_EN: 1
; COMPUTE_PGM_RSRC2:TGID_Z_EN: 1
; COMPUTE_PGM_RSRC2:TIDIG_COMP_CNT: 1
	.section	.text._ZN12_GLOBAL__N_135rocblas_gemm_batched_general_kernelI19rocblas_complex_numIdELi16ELi16ELi32ELi32ELi8ELi32ELi8ELi8ELi32ELc67ELc78EKS2_S3_S2_EEvlllT_PT11_llS6_llS4_PT12_llPT13_lli,"axG",@progbits,_ZN12_GLOBAL__N_135rocblas_gemm_batched_general_kernelI19rocblas_complex_numIdELi16ELi16ELi32ELi32ELi8ELi32ELi8ELi8ELi32ELc67ELc78EKS2_S3_S2_EEvlllT_PT11_llS6_llS4_PT12_llPT13_lli,comdat
	.globl	_ZN12_GLOBAL__N_135rocblas_gemm_batched_general_kernelI19rocblas_complex_numIdELi16ELi16ELi32ELi32ELi8ELi32ELi8ELi8ELi32ELc67ELc78EKS2_S3_S2_EEvlllT_PT11_llS6_llS4_PT12_llPT13_lli ; -- Begin function _ZN12_GLOBAL__N_135rocblas_gemm_batched_general_kernelI19rocblas_complex_numIdELi16ELi16ELi32ELi32ELi8ELi32ELi8ELi8ELi32ELc67ELc78EKS2_S3_S2_EEvlllT_PT11_llS6_llS4_PT12_llPT13_lli
	.p2align	8
	.type	_ZN12_GLOBAL__N_135rocblas_gemm_batched_general_kernelI19rocblas_complex_numIdELi16ELi16ELi32ELi32ELi8ELi32ELi8ELi8ELi32ELc67ELc78EKS2_S3_S2_EEvlllT_PT11_llS6_llS4_PT12_llPT13_lli,@function
_ZN12_GLOBAL__N_135rocblas_gemm_batched_general_kernelI19rocblas_complex_numIdELi16ELi16ELi32ELi32ELi8ELi32ELi8ELi8ELi32ELc67ELc78EKS2_S3_S2_EEvlllT_PT11_llS6_llS4_PT12_llPT13_lli: ; @_ZN12_GLOBAL__N_135rocblas_gemm_batched_general_kernelI19rocblas_complex_numIdELi16ELi16ELi32ELi32ELi8ELi32ELi8ELi8ELi32ELc67ELc78EKS2_S3_S2_EEvlllT_PT11_llS6_llS4_PT12_llPT13_lli
; %bb.0:
	s_load_b32 s30, s[0:1], 0x98
	s_lshr_b32 s6, ttmp7, 16
	s_wait_kmcnt 0x0
	s_cmp_ge_i32 s6, s30
	s_cbranch_scc1 .LBB141_37
; %bb.1:
	s_clause 0x3
	s_load_b512 s[8:23], s[0:1], 0x40
	s_load_b512 s[36:51], s[0:1], 0x0
	s_load_b64 s[28:29], s[0:1], 0x90
	s_load_b128 s[24:27], s[0:1], 0x80
	v_bfe_u32 v2, v0, 10, 10
	v_dual_mov_b32 v1, 0 :: v_dual_and_b32 v6, 0x3ff, v0
	s_and_b32 s0, ttmp7, 0xffff
	s_mov_b32 s2, ttmp9
	s_lshl_b32 s0, s0, 5
	s_ashr_i32 s3, ttmp9, 31
	v_lshl_add_u32 v8, v2, 4, v6
	v_add_co_u32 v4, s1, s0, v2
	s_lshl_b64 s[4:5], s[2:3], 5
	s_delay_alu instid0(SALU_CYCLE_1)
	v_dual_mov_b32 v3, s5 :: v_dual_and_b32 v0, 7, v0
	v_and_b32_e32 v9, 31, v8
	v_lshrrev_b32_e32 v14, 3, v8
	v_lshl_add_u32 v35, v2, 7, 0x1000
	s_wait_kmcnt 0x0
	v_cmp_eq_f64_e64 s2, s[14:15], 0
	v_cmp_eq_f64_e64 s3, s[16:17], 0
	v_lshrrev_b32_e32 v36, 5, v8
	v_or_b32_e32 v2, s4, v9
	v_lshlrev_b32_e32 v15, 4, v9
	v_mad_co_u64_u32 v[8:9], null, v4, s26, 0
	v_lshlrev_b32_e32 v34, 4, v6
	s_wait_alu 0xf1ff
	v_add_co_ci_u32_e64 v5, null, 0, 0, s1
	v_add_co_u32 v6, s1, s4, v6
	v_add_co_u32 v12, s0, v14, s0
	v_lshlrev_b32_e32 v20, 4, v0
	s_wait_alu 0xf1ff
	v_add_co_ci_u32_e64 v7, null, s5, 0, s1
	v_add_co_ci_u32_e64 v13, null, 0, 0, s0
	v_add_co_u32 v10, vcc_lo, v6, 16
	s_delay_alu instid0(VALU_DEP_1) | instskip(SKIP_1) | instid1(VALU_DEP_4)
	v_add_co_ci_u32_e64 v11, null, 0, v7, vcc_lo
	v_cmp_gt_i64_e64 s0, s[36:37], v[2:3]
	v_cmp_gt_i64_e32 vcc_lo, s[38:39], v[12:13]
	v_mov_b32_e32 v3, v9
	v_lshl_or_b32 v16, v14, 7, v20
	v_mad_co_u64_u32 v[13:14], null, v4, s20, 0
	v_cmp_gt_i64_e64 s1, s[38:39], v[4:5]
	s_delay_alu instid0(VALU_DEP_4) | instskip(NEXT) | instid1(VALU_DEP_4)
	v_mad_co_u64_u32 v[17:18], null, v4, s27, v[3:4]
	v_add_nc_u32_e32 v38, 0x1000, v16
	s_mul_i32 s5, s48, s5
	s_mov_b32 s7, 0
	s_delay_alu instid0(VALU_DEP_4) | instskip(NEXT) | instid1(VALU_DEP_3)
	v_mov_b32_e32 v3, v14
	v_mov_b32_e32 v9, v17
	s_and_b32 s31, s2, s3
	s_delay_alu instid0(VALU_DEP_2)
	v_mad_co_u64_u32 v[18:19], null, v4, s21, v[3:4]
	v_cmp_gt_i64_e64 s3, s[36:37], v[10:11]
	v_add_co_u32 v3, s4, v4, 16
	s_wait_alu 0xf1ff
	v_add_co_ci_u32_e64 v4, null, 0, v5, s4
	v_mul_lo_u32 v17, s49, v2
	v_mov_b32_e32 v14, v18
	v_lshl_or_b32 v37, v36, 9, v15
	v_mad_co_u64_u32 v[15:16], null, s10, v12, 0
	v_cmp_gt_i64_e64 s4, s[38:39], v[3:4]
	v_cmp_gt_i64_e64 s2, s[36:37], v[6:7]
	s_lshl_b64 s[20:21], s[20:21], 4
	v_mov_b32_e32 v10, v16
	s_delay_alu instid0(VALU_DEP_1) | instskip(SKIP_4) | instid1(VALU_DEP_3)
	v_mad_co_u64_u32 v[10:11], null, s11, v12, v[10:11]
	v_mad_co_u64_u32 v[11:12], null, s48, v2, 0
	v_lshlrev_b64_e32 v[2:3], 4, v[13:14]
	s_lshl_b64 s[10:11], s[26:27], 4
	s_xor_b32 s26, vcc_lo, -1
	v_mov_b32_e32 v16, v10
	v_lshlrev_b32_e32 v10, 4, v36
	s_wait_alu 0xfffe
	s_delay_alu instid0(VALU_DEP_4)
	v_add3_u32 v12, v12, s5, v17
	v_add_co_u32 v39, s5, s18, v2
	v_lshlrev_b64_e32 v[4:5], 4, v[15:16]
	s_wait_alu 0xf1ff
	v_add_co_ci_u32_e64 v40, null, s19, v3, s5
	v_lshlrev_b64_e32 v[2:3], 4, v[11:12]
	s_lshl_b64 s[18:19], s[20:21], 4
	s_delay_alu instid0(VALU_DEP_3) | instskip(SKIP_2) | instid1(VALU_DEP_3)
	v_add_co_u32 v4, s5, v4, v20
	s_wait_alu 0xf1ff
	v_add_co_ci_u32_e64 v5, null, 0, v5, s5
	v_add_co_u32 v2, s5, v2, v10
	s_wait_alu 0xf1ff
	v_add_co_ci_u32_e64 v3, null, 0, v3, s5
	;; [unrolled: 3-line block ×4, first 2 shown]
	s_lshl_b64 s[8:9], s[12:13], 4
	v_add_co_u32 v12, s5, v2, 8
	s_wait_alu 0xf1ff
	v_add_co_ci_u32_e64 v13, null, 0, v3, s5
	v_cmp_gt_i64_e64 s5, s[40:41], 0
	s_lshl_b64 s[12:13], s[50:51], 4
	s_branch .LBB141_4
.LBB141_2:                              ;   in Loop: Header=BB141_4 Depth=1
	s_wait_alu 0xfffe
	s_or_b32 exec_lo, exec_lo, s27
.LBB141_3:                              ;   in Loop: Header=BB141_4 Depth=1
	s_add_co_i32 s6, s6, 0x10000
	s_wait_alu 0xfffe
	s_cmp_lt_i32 s6, s30
	s_cbranch_scc0 .LBB141_37
.LBB141_4:                              ; =>This Loop Header: Depth=1
                                        ;     Child Loop BB141_7 Depth 2
	s_and_not1_b32 vcc_lo, exec_lo, s5
	s_wait_alu 0xfffe
	s_cbranch_vccnz .LBB141_13
; %bb.5:                                ;   in Loop: Header=BB141_4 Depth=1
	v_mad_co_u64_u32 v[14:15], null, s8, s6, v[10:11]
	v_mad_co_u64_u32 v[16:17], null, s12, s6, v[12:13]
	v_mov_b32_e32 v20, 0
	v_mov_b32_e32 v18, 0
	;; [unrolled: 1-line block ×4, first 2 shown]
	v_dual_mov_b32 v2, v15 :: v_dual_mov_b32 v21, 0
	v_mov_b32_e32 v3, v17
	v_dual_mov_b32 v19, 0 :: v_dual_mov_b32 v24, 0
	v_dual_mov_b32 v23, 0 :: v_dual_mov_b32 v28, 0
	s_delay_alu instid0(VALU_DEP_3)
	v_mad_co_u64_u32 v[4:5], null, s9, s6, v[2:3]
	v_dual_mov_b32 v27, 0 :: v_dual_mov_b32 v32, 0
	v_dual_mov_b32 v30, 0 :: v_dual_mov_b32 v25, 0
	v_mov_b32_e32 v29, 0
	v_mov_b32_e32 v33, 0
	v_mad_co_u64_u32 v[2:3], null, s13, s6, v[3:4]
	v_mov_b32_e32 v31, 0
	v_mov_b32_e32 v15, v4
	s_mov_b64 s[20:21], 0
	s_delay_alu instid0(VALU_DEP_3)
	v_mov_b32_e32 v17, v2
	s_branch .LBB141_7
.LBB141_6:                              ;   in Loop: Header=BB141_7 Depth=2
	s_wait_alu 0xfffe
	s_or_b32 exec_lo, exec_lo, s27
	s_wait_dscnt 0x0
	s_barrier_signal -1
	s_barrier_wait -1
	global_inv scope:SCOPE_SE
	ds_load_b128 v[2:5], v35
	ds_load_b128 v[41:44], v34
	ds_load_b128 v[45:48], v34 offset:256
	ds_load_b128 v[49:52], v35 offset:2048
	;; [unrolled: 1-line block ×10, first 2 shown]
	s_add_nc_u64 s[20:21], s[20:21], 8
	v_add_co_u32 v14, vcc_lo, 0x80, v14
	s_wait_alu 0xfffe
	v_cmp_lt_i64_e64 s27, s[20:21], s[40:41]
	s_wait_alu 0xfffd
	v_add_co_ci_u32_e64 v15, null, 0, v15, vcc_lo
	v_add_co_u32 v16, vcc_lo, 0x80, v16
	s_wait_alu 0xfffd
	v_add_co_ci_u32_e64 v17, null, 0, v17, vcc_lo
	s_and_b32 vcc_lo, exec_lo, s27
	s_wait_dscnt 0xa
	v_mul_f64_e32 v[85:86], v[4:5], v[43:44]
	v_mul_f64_e32 v[87:88], v[2:3], v[43:44]
	s_wait_dscnt 0x9
	v_mul_f64_e32 v[89:90], v[4:5], v[47:48]
	v_mul_f64_e32 v[91:92], v[2:3], v[47:48]
	;; [unrolled: 3-line block ×3, first 2 shown]
	v_mul_f64_e32 v[95:96], v[51:52], v[47:48]
	v_mul_f64_e32 v[47:48], v[49:50], v[47:48]
	s_wait_dscnt 0x5
	v_mul_f64_e32 v[97:98], v[55:56], v[63:64]
	v_mul_f64_e32 v[99:100], v[53:54], v[63:64]
	s_wait_dscnt 0x4
	v_mul_f64_e32 v[101:102], v[55:56], v[67:68]
	v_mul_f64_e32 v[103:104], v[53:54], v[67:68]
	;; [unrolled: 1-line block ×6, first 2 shown]
	s_wait_dscnt 0x2
	v_mul_f64_e32 v[113:114], v[71:72], v[75:76]
	v_mul_f64_e32 v[115:116], v[69:70], v[75:76]
	s_wait_dscnt 0x1
	v_mul_f64_e32 v[117:118], v[71:72], v[79:80]
	v_mul_f64_e32 v[119:120], v[69:70], v[79:80]
	;; [unrolled: 3-line block ×3, first 2 shown]
	v_mul_f64_e32 v[123:124], v[83:84], v[79:80]
	v_mul_f64_e32 v[79:80], v[81:82], v[79:80]
	v_fma_f64 v[85:86], v[2:3], v[41:42], -v[85:86]
	v_fma_f64 v[87:88], v[4:5], v[41:42], v[87:88]
	v_fma_f64 v[89:90], v[2:3], v[45:46], -v[89:90]
	v_fma_f64 v[91:92], v[4:5], v[45:46], v[91:92]
	;; [unrolled: 2-line block ×8, first 2 shown]
	ds_load_b128 v[2:5], v35 offset:48
	ds_load_b128 v[41:44], v35 offset:2096
	;; [unrolled: 1-line block ×4, first 2 shown]
	v_fma_f64 v[113:114], v[69:70], v[73:74], -v[113:114]
	v_fma_f64 v[115:116], v[71:72], v[73:74], v[115:116]
	v_fma_f64 v[69:70], v[69:70], v[77:78], -v[117:118]
	v_fma_f64 v[71:72], v[71:72], v[77:78], v[119:120]
	v_fma_f64 v[117:118], v[81:82], v[73:74], -v[121:122]
	v_fma_f64 v[73:74], v[83:84], v[73:74], v[75:76]
	v_fma_f64 v[75:76], v[81:82], v[77:78], -v[123:124]
	v_fma_f64 v[77:78], v[83:84], v[77:78], v[79:80]
	s_wait_dscnt 0x1
	v_mul_f64_e32 v[103:104], v[2:3], v[47:48]
	s_wait_dscnt 0x0
	v_mul_f64_e32 v[105:106], v[4:5], v[51:52]
	v_mul_f64_e32 v[107:108], v[2:3], v[51:52]
	v_add_f64_e32 v[63:64], v[30:31], v[85:86]
	v_add_f64_e32 v[65:66], v[87:88], v[32:33]
	;; [unrolled: 1-line block ×8, first 2 shown]
	v_mul_f64_e32 v[95:96], v[4:5], v[47:48]
	v_mul_f64_e32 v[109:110], v[43:44], v[47:48]
	;; [unrolled: 1-line block ×5, first 2 shown]
	ds_load_b128 v[18:21], v35 offset:64
	ds_load_b128 v[22:25], v34 offset:2048
	;; [unrolled: 1-line block ×4, first 2 shown]
	s_wait_dscnt 0x0
	v_mul_f64_e32 v[119:120], v[32:33], v[24:25]
	v_mul_f64_e32 v[121:122], v[32:33], v[28:29]
	v_fma_f64 v[103:104], v[4:5], v[45:46], v[103:104]
	v_fma_f64 v[105:106], v[2:3], v[49:50], -v[105:106]
	v_fma_f64 v[107:108], v[4:5], v[49:50], v[107:108]
	v_add_f64_e32 v[79:80], v[63:64], v[97:98]
	v_add_f64_e32 v[81:82], v[99:100], v[65:66]
	;; [unrolled: 1-line block ×8, first 2 shown]
	v_mul_f64_e32 v[93:94], v[20:21], v[24:25]
	v_mul_f64_e32 v[97:98], v[18:19], v[24:25]
	;; [unrolled: 1-line block ×6, first 2 shown]
	v_fma_f64 v[95:96], v[2:3], v[45:46], -v[95:96]
	v_fma_f64 v[109:110], v[41:42], v[45:46], -v[109:110]
	v_fma_f64 v[123:124], v[43:44], v[45:46], v[47:48]
	v_fma_f64 v[111:112], v[41:42], v[49:50], -v[111:112]
	v_fma_f64 v[49:50], v[43:44], v[49:50], v[125:126]
	ds_load_b128 v[51:54], v35 offset:80
	ds_load_b128 v[55:58], v35 offset:2128
	;; [unrolled: 1-line block ×4, first 2 shown]
	v_fma_f64 v[119:120], v[30:31], v[22:23], -v[119:120]
	v_fma_f64 v[121:122], v[30:31], v[26:27], -v[121:122]
	v_add_f64_e32 v[79:80], v[79:80], v[113:114]
	v_add_f64_e32 v[81:82], v[115:116], v[81:82]
	;; [unrolled: 1-line block ×8, first 2 shown]
	s_wait_dscnt 0x1
	v_mul_f64_e32 v[85:86], v[53:54], v[61:62]
	v_mul_f64_e32 v[87:88], v[51:52], v[61:62]
	s_wait_dscnt 0x0
	v_mul_f64_e32 v[89:90], v[53:54], v[65:66]
	v_mul_f64_e32 v[91:92], v[51:52], v[65:66]
	;; [unrolled: 1-line block ×6, first 2 shown]
	v_fma_f64 v[93:94], v[18:19], v[22:23], -v[93:94]
	v_fma_f64 v[97:98], v[20:21], v[22:23], v[97:98]
	v_fma_f64 v[99:100], v[18:19], v[26:27], -v[99:100]
	v_fma_f64 v[101:102], v[20:21], v[26:27], v[101:102]
	v_fma_f64 v[125:126], v[32:33], v[22:23], v[24:25]
	;; [unrolled: 1-line block ×3, first 2 shown]
	ds_load_b128 v[2:5], v35 offset:96
	ds_load_b128 v[41:44], v34 offset:3072
	;; [unrolled: 1-line block ×8, first 2 shown]
	s_wait_loadcnt_dscnt 0x0
	s_barrier_signal -1
	s_barrier_wait -1
	global_inv scope:SCOPE_SE
	v_add_f64_e32 v[79:80], v[79:80], v[95:96]
	v_add_f64_e32 v[81:82], v[103:104], v[81:82]
	;; [unrolled: 1-line block ×8, first 2 shown]
	v_mul_f64_e32 v[77:78], v[4:5], v[43:44]
	v_mul_f64_e32 v[103:104], v[2:3], v[43:44]
	v_mul_f64_e32 v[105:106], v[4:5], v[47:48]
	v_mul_f64_e32 v[107:108], v[2:3], v[47:48]
	v_mul_f64_e32 v[109:110], v[69:70], v[43:44]
	v_mul_f64_e32 v[43:44], v[67:68], v[43:44]
	v_mul_f64_e32 v[111:112], v[69:70], v[47:48]
	v_mul_f64_e32 v[47:48], v[67:68], v[47:48]
	v_fma_f64 v[85:86], v[51:52], v[59:60], -v[85:86]
	v_fma_f64 v[87:88], v[53:54], v[59:60], v[87:88]
	v_fma_f64 v[51:52], v[51:52], v[63:64], -v[89:90]
	v_fma_f64 v[53:54], v[53:54], v[63:64], v[91:92]
	;; [unrolled: 2-line block ×4, first 2 shown]
	v_mul_f64_e32 v[91:92], v[20:21], v[32:33]
	v_add_f64_e32 v[61:62], v[79:80], v[93:94]
	v_add_f64_e32 v[63:64], v[97:98], v[81:82]
	;; [unrolled: 1-line block ×8, first 2 shown]
	v_mul_f64_e32 v[81:82], v[20:21], v[28:29]
	v_mul_f64_e32 v[83:84], v[18:19], v[28:29]
	;; [unrolled: 1-line block ×7, first 2 shown]
	v_fma_f64 v[77:78], v[2:3], v[41:42], -v[77:78]
	v_fma_f64 v[99:100], v[4:5], v[41:42], v[103:104]
	v_fma_f64 v[2:3], v[2:3], v[45:46], -v[105:106]
	v_fma_f64 v[4:5], v[4:5], v[45:46], v[107:108]
	;; [unrolled: 2-line block ×4, first 2 shown]
	v_add_f64_e32 v[47:48], v[61:62], v[85:86]
	v_add_f64_e32 v[61:62], v[87:88], v[63:64]
	;; [unrolled: 1-line block ×8, first 2 shown]
	v_fma_f64 v[57:58], v[18:19], v[26:27], -v[81:82]
	v_fma_f64 v[65:66], v[20:21], v[26:27], v[83:84]
	v_fma_f64 v[18:19], v[18:19], v[30:31], -v[91:92]
	v_fma_f64 v[20:21], v[20:21], v[30:31], v[93:94]
	v_fma_f64 v[67:68], v[22:23], v[26:27], -v[95:96]
	v_fma_f64 v[69:70], v[24:25], v[26:27], v[28:29]
	v_fma_f64 v[71:72], v[22:23], v[30:31], -v[97:98]
	v_fma_f64 v[73:74], v[24:25], v[30:31], v[32:33]
	v_add_f64_e32 v[22:23], v[47:48], v[77:78]
	v_add_f64_e32 v[24:25], v[99:100], v[61:62]
	;; [unrolled: 1-line block ×16, first 2 shown]
	s_wait_alu 0xfffe
	s_cbranch_vccz .LBB141_14
.LBB141_7:                              ;   Parent Loop BB141_4 Depth=1
                                        ; =>  This Inner Loop Header: Depth=2
	s_wait_alu 0xfffe
	v_add_co_u32 v2, s27, v36, s20
	s_wait_alu 0xf1ff
	v_add_co_ci_u32_e64 v3, null, 0, s21, s27
	v_mov_b32_e32 v4, 0
	v_mov_b32_e32 v5, 0
	s_delay_alu instid0(VALU_DEP_3) | instskip(SKIP_3) | instid1(SALU_CYCLE_1)
	v_cmp_gt_i64_e32 vcc_lo, s[40:41], v[2:3]
	v_mov_b32_e32 v2, 0
	v_mov_b32_e32 v3, 0
	s_and_b32 s33, s0, vcc_lo
	s_and_saveexec_b32 s27, s33
	s_cbranch_execz .LBB141_9
; %bb.8:                                ;   in Loop: Header=BB141_7 Depth=2
	global_load_b128 v[2:5], v[16:17], off offset:-8
	s_wait_loadcnt 0x0
	v_xor_b32_e32 v5, 0x80000000, v5
.LBB141_9:                              ;   in Loop: Header=BB141_7 Depth=2
	s_wait_alu 0xfffe
	s_or_b32 exec_lo, exec_lo, s27
	v_add_co_u32 v41, s27, v0, s20
	s_wait_alu 0xf1ff
	v_add_co_ci_u32_e64 v42, null, 0, s21, s27
	ds_store_b128 v37, v[2:5]
	v_cmp_le_i64_e32 vcc_lo, s[40:41], v[41:42]
	s_or_b32 s27, vcc_lo, s26
	s_wait_alu 0xfffe
	s_and_saveexec_b32 s33, s27
	s_delay_alu instid0(SALU_CYCLE_1)
	s_xor_b32 s27, exec_lo, s33
; %bb.10:                               ;   in Loop: Header=BB141_7 Depth=2
	v_dual_mov_b32 v2, v1 :: v_dual_mov_b32 v3, v1
	v_mov_b32_e32 v4, v1
	ds_store_b128 v38, v[1:4]
; %bb.11:                               ;   in Loop: Header=BB141_7 Depth=2
	s_wait_alu 0xfffe
	s_and_not1_saveexec_b32 s27, s27
	s_cbranch_execz .LBB141_6
; %bb.12:                               ;   in Loop: Header=BB141_7 Depth=2
	global_load_b128 v[2:5], v[14:15], off
	s_wait_loadcnt 0x0
	ds_store_2addr_b64 v38, v[2:3], v[4:5] offset1:1
	s_branch .LBB141_6
.LBB141_13:                             ;   in Loop: Header=BB141_4 Depth=1
	v_mov_b32_e32 v30, 0
	v_mov_b32_e32 v26, 0
	v_mov_b32_e32 v22, 0
	v_dual_mov_b32 v18, 0 :: v_dual_mov_b32 v31, 0
	v_dual_mov_b32 v32, 0 :: v_dual_mov_b32 v27, 0
	;; [unrolled: 1-line block ×5, first 2 shown]
	v_mov_b32_e32 v29, 0
	v_mov_b32_e32 v25, 0
	;; [unrolled: 1-line block ×3, first 2 shown]
.LBB141_14:                             ;   in Loop: Header=BB141_4 Depth=1
	s_mul_u64 s[20:21], s[28:29], s[6:7]
	s_and_not1_b32 vcc_lo, exec_lo, s31
	s_wait_alu 0xfffe
	s_lshl_b64 s[20:21], s[20:21], 4
	s_mov_b32 s27, -1
	s_wait_alu 0xfffe
	s_add_nc_u64 s[20:21], s[24:25], s[20:21]
	s_cbranch_vccz .LBB141_16
; %bb.15:                               ;   in Loop: Header=BB141_4 Depth=1
	s_and_not1_b32 vcc_lo, exec_lo, s27
	s_wait_alu 0xfffe
	s_cbranch_vccnz .LBB141_3
	s_branch .LBB141_27
.LBB141_16:                             ;   in Loop: Header=BB141_4 Depth=1
	s_and_saveexec_b32 s27, s1
	s_cbranch_execz .LBB141_26
; %bb.17:                               ;   in Loop: Header=BB141_4 Depth=1
	v_lshlrev_b64_e32 v[2:3], 4, v[8:9]
	s_wait_alu 0xfffe
	s_delay_alu instid0(VALU_DEP_1) | instskip(SKIP_1) | instid1(VALU_DEP_2)
	v_add_co_u32 v2, vcc_lo, s20, v2
	s_wait_alu 0xfffd
	v_add_co_ci_u32_e64 v3, null, s21, v3, vcc_lo
	s_and_saveexec_b32 s33, s2
	s_cbranch_execnz .LBB141_20
; %bb.18:                               ;   in Loop: Header=BB141_4 Depth=1
	s_or_b32 exec_lo, exec_lo, s33
	s_and_saveexec_b32 s33, s3
	s_cbranch_execnz .LBB141_21
.LBB141_19:                             ;   in Loop: Header=BB141_4 Depth=1
	s_or_b32 exec_lo, exec_lo, s33
	s_delay_alu instid0(SALU_CYCLE_1)
	s_and_b32 exec_lo, exec_lo, s4
	s_cbranch_execnz .LBB141_22
	s_branch .LBB141_26
.LBB141_20:                             ;   in Loop: Header=BB141_4 Depth=1
	v_mul_f64_e32 v[4:5], s[44:45], v[32:33]
	v_mul_f64_e32 v[16:17], s[42:43], v[32:33]
	s_delay_alu instid0(VALU_DEP_2) | instskip(NEXT) | instid1(VALU_DEP_2)
	v_fma_f64 v[14:15], s[42:43], v[30:31], -v[4:5]
	v_fma_f64 v[16:17], s[44:45], v[30:31], v[16:17]
	v_lshlrev_b64_e32 v[4:5], 4, v[6:7]
	s_delay_alu instid0(VALU_DEP_1) | instskip(SKIP_1) | instid1(VALU_DEP_2)
	v_add_co_u32 v4, vcc_lo, v2, v4
	s_wait_alu 0xfffd
	v_add_co_ci_u32_e64 v5, null, v3, v5, vcc_lo
	global_store_b128 v[4:5], v[14:17], off
	s_or_b32 exec_lo, exec_lo, s33
	s_and_saveexec_b32 s33, s3
	s_cbranch_execz .LBB141_19
.LBB141_21:                             ;   in Loop: Header=BB141_4 Depth=1
	v_mul_f64_e32 v[4:5], s[44:45], v[28:29]
	v_mul_f64_e32 v[16:17], s[42:43], v[28:29]
	s_delay_alu instid0(VALU_DEP_2) | instskip(NEXT) | instid1(VALU_DEP_2)
	v_fma_f64 v[14:15], s[42:43], v[26:27], -v[4:5]
	v_fma_f64 v[16:17], s[44:45], v[26:27], v[16:17]
	v_lshlrev_b64_e32 v[4:5], 4, v[6:7]
	s_delay_alu instid0(VALU_DEP_1) | instskip(SKIP_1) | instid1(VALU_DEP_2)
	v_add_co_u32 v4, vcc_lo, v2, v4
	s_wait_alu 0xfffd
	v_add_co_ci_u32_e64 v5, null, v3, v5, vcc_lo
	global_store_b128 v[4:5], v[14:17], off offset:256
	s_or_b32 exec_lo, exec_lo, s33
	s_delay_alu instid0(SALU_CYCLE_1)
	s_and_b32 exec_lo, exec_lo, s4
	s_cbranch_execz .LBB141_26
.LBB141_22:                             ;   in Loop: Header=BB141_4 Depth=1
	s_lshl_b64 s[34:35], s[10:11], 4
	v_lshlrev_b64_e32 v[4:5], 4, v[6:7]
	s_wait_alu 0xfffe
	v_add_co_u32 v2, vcc_lo, v2, s34
	s_wait_alu 0xfffd
	v_add_co_ci_u32_e64 v3, null, s35, v3, vcc_lo
	s_delay_alu instid0(VALU_DEP_2) | instskip(SKIP_1) | instid1(VALU_DEP_2)
	v_add_co_u32 v2, vcc_lo, v2, v4
	s_wait_alu 0xfffd
	v_add_co_ci_u32_e64 v3, null, v3, v5, vcc_lo
	s_and_saveexec_b32 s33, s2
	s_cbranch_execz .LBB141_24
; %bb.23:                               ;   in Loop: Header=BB141_4 Depth=1
	v_mul_f64_e32 v[4:5], s[44:45], v[24:25]
	v_mul_f64_e32 v[16:17], s[42:43], v[24:25]
	s_delay_alu instid0(VALU_DEP_2) | instskip(NEXT) | instid1(VALU_DEP_2)
	v_fma_f64 v[14:15], s[42:43], v[22:23], -v[4:5]
	v_fma_f64 v[16:17], s[44:45], v[22:23], v[16:17]
	global_store_b128 v[2:3], v[14:17], off
.LBB141_24:                             ;   in Loop: Header=BB141_4 Depth=1
	s_or_b32 exec_lo, exec_lo, s33
	s_delay_alu instid0(SALU_CYCLE_1)
	s_and_b32 exec_lo, exec_lo, s3
	s_cbranch_execz .LBB141_26
; %bb.25:                               ;   in Loop: Header=BB141_4 Depth=1
	v_mul_f64_e32 v[4:5], s[44:45], v[20:21]
	v_mul_f64_e32 v[16:17], s[42:43], v[20:21]
	s_delay_alu instid0(VALU_DEP_2) | instskip(NEXT) | instid1(VALU_DEP_2)
	v_fma_f64 v[14:15], s[42:43], v[18:19], -v[4:5]
	v_fma_f64 v[16:17], s[44:45], v[18:19], v[16:17]
	global_store_b128 v[2:3], v[14:17], off offset:256
.LBB141_26:                             ;   in Loop: Header=BB141_4 Depth=1
	s_wait_alu 0xfffe
	s_or_b32 exec_lo, exec_lo, s27
	s_cbranch_execnz .LBB141_3
.LBB141_27:                             ;   in Loop: Header=BB141_4 Depth=1
	s_and_saveexec_b32 s27, s1
	s_cbranch_execz .LBB141_2
; %bb.28:                               ;   in Loop: Header=BB141_4 Depth=1
	s_mul_u64 s[34:35], s[22:23], s[6:7]
	v_lshlrev_b64_e32 v[14:15], 4, v[8:9]
	s_wait_alu 0xfffe
	s_lshl_b64 s[34:35], s[34:35], 4
	v_lshlrev_b64_e32 v[2:3], 4, v[6:7]
	s_wait_alu 0xfffe
	v_add_co_u32 v4, vcc_lo, v39, s34
	s_wait_alu 0xfffd
	v_add_co_ci_u32_e64 v5, null, s35, v40, vcc_lo
	v_add_co_u32 v14, vcc_lo, s20, v14
	s_wait_alu 0xfffd
	v_add_co_ci_u32_e64 v15, null, s21, v15, vcc_lo
	s_and_saveexec_b32 s20, s2
	s_cbranch_execnz .LBB141_31
; %bb.29:                               ;   in Loop: Header=BB141_4 Depth=1
	s_wait_alu 0xfffe
	s_or_b32 exec_lo, exec_lo, s20
	s_and_saveexec_b32 s20, s3
	s_cbranch_execnz .LBB141_32
.LBB141_30:                             ;   in Loop: Header=BB141_4 Depth=1
	s_wait_alu 0xfffe
	s_or_b32 exec_lo, exec_lo, s20
	s_delay_alu instid0(SALU_CYCLE_1)
	s_and_b32 exec_lo, exec_lo, s4
	s_cbranch_execz .LBB141_2
	s_branch .LBB141_33
.LBB141_31:                             ;   in Loop: Header=BB141_4 Depth=1
	v_add_co_u32 v16, vcc_lo, v4, v2
	s_wait_alu 0xfffd
	v_add_co_ci_u32_e64 v17, null, v5, v3, vcc_lo
	global_load_b128 v[41:44], v[16:17], off
	v_mul_f64_e32 v[16:17], s[44:45], v[32:33]
	v_mul_f64_e32 v[32:33], s[42:43], v[32:33]
	s_delay_alu instid0(VALU_DEP_2) | instskip(NEXT) | instid1(VALU_DEP_2)
	v_fma_f64 v[16:17], s[42:43], v[30:31], -v[16:17]
	v_fma_f64 v[32:33], s[44:45], v[30:31], v[32:33]
	s_wait_loadcnt 0x0
	v_mul_f64_e32 v[45:46], s[16:17], v[43:44]
	v_mul_f64_e32 v[43:44], s[14:15], v[43:44]
	s_delay_alu instid0(VALU_DEP_2) | instskip(NEXT) | instid1(VALU_DEP_2)
	v_fma_f64 v[30:31], s[14:15], v[41:42], -v[45:46]
	v_fma_f64 v[41:42], s[16:17], v[41:42], v[43:44]
	s_delay_alu instid0(VALU_DEP_2) | instskip(NEXT) | instid1(VALU_DEP_2)
	v_add_f64_e32 v[30:31], v[16:17], v[30:31]
	v_add_f64_e32 v[32:33], v[32:33], v[41:42]
	v_add_co_u32 v16, vcc_lo, v14, v2
	s_wait_alu 0xfffd
	v_add_co_ci_u32_e64 v17, null, v15, v3, vcc_lo
	global_store_b128 v[16:17], v[30:33], off
	s_wait_alu 0xfffe
	s_or_b32 exec_lo, exec_lo, s20
	s_and_saveexec_b32 s20, s3
	s_cbranch_execz .LBB141_30
.LBB141_32:                             ;   in Loop: Header=BB141_4 Depth=1
	v_add_co_u32 v16, vcc_lo, v4, v2
	s_wait_alu 0xfffd
	v_add_co_ci_u32_e64 v17, null, v5, v3, vcc_lo
	global_load_b128 v[30:33], v[16:17], off offset:256
	v_mul_f64_e32 v[16:17], s[44:45], v[28:29]
	v_mul_f64_e32 v[28:29], s[42:43], v[28:29]
	s_delay_alu instid0(VALU_DEP_2) | instskip(NEXT) | instid1(VALU_DEP_2)
	v_fma_f64 v[16:17], s[42:43], v[26:27], -v[16:17]
	v_fma_f64 v[28:29], s[44:45], v[26:27], v[28:29]
	s_wait_loadcnt 0x0
	v_mul_f64_e32 v[41:42], s[16:17], v[32:33]
	v_mul_f64_e32 v[32:33], s[14:15], v[32:33]
	s_delay_alu instid0(VALU_DEP_2) | instskip(NEXT) | instid1(VALU_DEP_2)
	v_fma_f64 v[26:27], s[14:15], v[30:31], -v[41:42]
	v_fma_f64 v[30:31], s[16:17], v[30:31], v[32:33]
	s_delay_alu instid0(VALU_DEP_2) | instskip(NEXT) | instid1(VALU_DEP_2)
	v_add_f64_e32 v[26:27], v[16:17], v[26:27]
	v_add_f64_e32 v[28:29], v[28:29], v[30:31]
	v_add_co_u32 v16, vcc_lo, v14, v2
	s_wait_alu 0xfffd
	v_add_co_ci_u32_e64 v17, null, v15, v3, vcc_lo
	global_store_b128 v[16:17], v[26:29], off offset:256
	s_wait_alu 0xfffe
	s_or_b32 exec_lo, exec_lo, s20
	s_delay_alu instid0(SALU_CYCLE_1)
	s_and_b32 exec_lo, exec_lo, s4
	s_cbranch_execz .LBB141_2
.LBB141_33:                             ;   in Loop: Header=BB141_4 Depth=1
	v_add_co_u32 v4, vcc_lo, v4, s18
	s_lshl_b64 s[20:21], s[10:11], 4
	s_wait_alu 0xfffd
	v_add_co_ci_u32_e64 v5, null, s19, v5, vcc_lo
	s_wait_alu 0xfffe
	v_add_co_u32 v14, vcc_lo, v14, s20
	s_wait_alu 0xfffd
	v_add_co_ci_u32_e64 v15, null, s21, v15, vcc_lo
	v_add_co_u32 v4, vcc_lo, v4, v2
	s_wait_alu 0xfffd
	v_add_co_ci_u32_e64 v5, null, v5, v3, vcc_lo
	;; [unrolled: 3-line block ×3, first 2 shown]
	s_and_saveexec_b32 s20, s2
	s_cbranch_execz .LBB141_35
; %bb.34:                               ;   in Loop: Header=BB141_4 Depth=1
	global_load_b128 v[14:17], v[4:5], off
	v_mul_f64_e32 v[26:27], s[44:45], v[24:25]
	v_mul_f64_e32 v[24:25], s[42:43], v[24:25]
	s_delay_alu instid0(VALU_DEP_2) | instskip(NEXT) | instid1(VALU_DEP_2)
	v_fma_f64 v[26:27], s[42:43], v[22:23], -v[26:27]
	v_fma_f64 v[22:23], s[44:45], v[22:23], v[24:25]
	s_wait_loadcnt 0x0
	v_mul_f64_e32 v[28:29], s[16:17], v[16:17]
	v_mul_f64_e32 v[16:17], s[14:15], v[16:17]
	s_delay_alu instid0(VALU_DEP_2) | instskip(NEXT) | instid1(VALU_DEP_2)
	v_fma_f64 v[24:25], s[14:15], v[14:15], -v[28:29]
	v_fma_f64 v[16:17], s[16:17], v[14:15], v[16:17]
	s_delay_alu instid0(VALU_DEP_2) | instskip(NEXT) | instid1(VALU_DEP_2)
	v_add_f64_e32 v[14:15], v[26:27], v[24:25]
	v_add_f64_e32 v[16:17], v[22:23], v[16:17]
	global_store_b128 v[2:3], v[14:17], off
.LBB141_35:                             ;   in Loop: Header=BB141_4 Depth=1
	s_wait_alu 0xfffe
	s_or_b32 exec_lo, exec_lo, s20
	s_delay_alu instid0(SALU_CYCLE_1)
	s_and_b32 exec_lo, exec_lo, s3
	s_cbranch_execz .LBB141_2
; %bb.36:                               ;   in Loop: Header=BB141_4 Depth=1
	global_load_b128 v[14:17], v[4:5], off offset:256
	v_mul_f64_e32 v[4:5], s[44:45], v[20:21]
	v_mul_f64_e32 v[20:21], s[42:43], v[20:21]
	s_delay_alu instid0(VALU_DEP_2) | instskip(NEXT) | instid1(VALU_DEP_2)
	v_fma_f64 v[4:5], s[42:43], v[18:19], -v[4:5]
	v_fma_f64 v[18:19], s[44:45], v[18:19], v[20:21]
	s_wait_loadcnt 0x0
	v_mul_f64_e32 v[22:23], s[16:17], v[16:17]
	v_mul_f64_e32 v[16:17], s[14:15], v[16:17]
	s_delay_alu instid0(VALU_DEP_2) | instskip(NEXT) | instid1(VALU_DEP_2)
	v_fma_f64 v[20:21], s[14:15], v[14:15], -v[22:23]
	v_fma_f64 v[16:17], s[16:17], v[14:15], v[16:17]
	s_delay_alu instid0(VALU_DEP_2) | instskip(NEXT) | instid1(VALU_DEP_2)
	v_add_f64_e32 v[14:15], v[4:5], v[20:21]
	v_add_f64_e32 v[16:17], v[18:19], v[16:17]
	global_store_b128 v[2:3], v[14:17], off offset:256
	s_branch .LBB141_2
.LBB141_37:
	s_nop 0
	s_sendmsg sendmsg(MSG_DEALLOC_VGPRS)
	s_endpgm
	.section	.rodata,"a",@progbits
	.p2align	6, 0x0
	.amdhsa_kernel _ZN12_GLOBAL__N_135rocblas_gemm_batched_general_kernelI19rocblas_complex_numIdELi16ELi16ELi32ELi32ELi8ELi32ELi8ELi8ELi32ELc67ELc78EKS2_S3_S2_EEvlllT_PT11_llS6_llS4_PT12_llPT13_lli
		.amdhsa_group_segment_fixed_size 8192
		.amdhsa_private_segment_fixed_size 0
		.amdhsa_kernarg_size 156
		.amdhsa_user_sgpr_count 2
		.amdhsa_user_sgpr_dispatch_ptr 0
		.amdhsa_user_sgpr_queue_ptr 0
		.amdhsa_user_sgpr_kernarg_segment_ptr 1
		.amdhsa_user_sgpr_dispatch_id 0
		.amdhsa_user_sgpr_private_segment_size 0
		.amdhsa_wavefront_size32 1
		.amdhsa_uses_dynamic_stack 0
		.amdhsa_enable_private_segment 0
		.amdhsa_system_sgpr_workgroup_id_x 1
		.amdhsa_system_sgpr_workgroup_id_y 1
		.amdhsa_system_sgpr_workgroup_id_z 1
		.amdhsa_system_sgpr_workgroup_info 0
		.amdhsa_system_vgpr_workitem_id 1
		.amdhsa_next_free_vgpr 129
		.amdhsa_next_free_sgpr 52
		.amdhsa_reserve_vcc 1
		.amdhsa_float_round_mode_32 0
		.amdhsa_float_round_mode_16_64 0
		.amdhsa_float_denorm_mode_32 3
		.amdhsa_float_denorm_mode_16_64 3
		.amdhsa_fp16_overflow 0
		.amdhsa_workgroup_processor_mode 1
		.amdhsa_memory_ordered 1
		.amdhsa_forward_progress 1
		.amdhsa_inst_pref_size 30
		.amdhsa_round_robin_scheduling 0
		.amdhsa_exception_fp_ieee_invalid_op 0
		.amdhsa_exception_fp_denorm_src 0
		.amdhsa_exception_fp_ieee_div_zero 0
		.amdhsa_exception_fp_ieee_overflow 0
		.amdhsa_exception_fp_ieee_underflow 0
		.amdhsa_exception_fp_ieee_inexact 0
		.amdhsa_exception_int_div_zero 0
	.end_amdhsa_kernel
	.section	.text._ZN12_GLOBAL__N_135rocblas_gemm_batched_general_kernelI19rocblas_complex_numIdELi16ELi16ELi32ELi32ELi8ELi32ELi8ELi8ELi32ELc67ELc78EKS2_S3_S2_EEvlllT_PT11_llS6_llS4_PT12_llPT13_lli,"axG",@progbits,_ZN12_GLOBAL__N_135rocblas_gemm_batched_general_kernelI19rocblas_complex_numIdELi16ELi16ELi32ELi32ELi8ELi32ELi8ELi8ELi32ELc67ELc78EKS2_S3_S2_EEvlllT_PT11_llS6_llS4_PT12_llPT13_lli,comdat
.Lfunc_end141:
	.size	_ZN12_GLOBAL__N_135rocblas_gemm_batched_general_kernelI19rocblas_complex_numIdELi16ELi16ELi32ELi32ELi8ELi32ELi8ELi8ELi32ELc67ELc78EKS2_S3_S2_EEvlllT_PT11_llS6_llS4_PT12_llPT13_lli, .Lfunc_end141-_ZN12_GLOBAL__N_135rocblas_gemm_batched_general_kernelI19rocblas_complex_numIdELi16ELi16ELi32ELi32ELi8ELi32ELi8ELi8ELi32ELc67ELc78EKS2_S3_S2_EEvlllT_PT11_llS6_llS4_PT12_llPT13_lli
                                        ; -- End function
	.set _ZN12_GLOBAL__N_135rocblas_gemm_batched_general_kernelI19rocblas_complex_numIdELi16ELi16ELi32ELi32ELi8ELi32ELi8ELi8ELi32ELc67ELc78EKS2_S3_S2_EEvlllT_PT11_llS6_llS4_PT12_llPT13_lli.num_vgpr, 129
	.set _ZN12_GLOBAL__N_135rocblas_gemm_batched_general_kernelI19rocblas_complex_numIdELi16ELi16ELi32ELi32ELi8ELi32ELi8ELi8ELi32ELc67ELc78EKS2_S3_S2_EEvlllT_PT11_llS6_llS4_PT12_llPT13_lli.num_agpr, 0
	.set _ZN12_GLOBAL__N_135rocblas_gemm_batched_general_kernelI19rocblas_complex_numIdELi16ELi16ELi32ELi32ELi8ELi32ELi8ELi8ELi32ELc67ELc78EKS2_S3_S2_EEvlllT_PT11_llS6_llS4_PT12_llPT13_lli.numbered_sgpr, 52
	.set _ZN12_GLOBAL__N_135rocblas_gemm_batched_general_kernelI19rocblas_complex_numIdELi16ELi16ELi32ELi32ELi8ELi32ELi8ELi8ELi32ELc67ELc78EKS2_S3_S2_EEvlllT_PT11_llS6_llS4_PT12_llPT13_lli.num_named_barrier, 0
	.set _ZN12_GLOBAL__N_135rocblas_gemm_batched_general_kernelI19rocblas_complex_numIdELi16ELi16ELi32ELi32ELi8ELi32ELi8ELi8ELi32ELc67ELc78EKS2_S3_S2_EEvlllT_PT11_llS6_llS4_PT12_llPT13_lli.private_seg_size, 0
	.set _ZN12_GLOBAL__N_135rocblas_gemm_batched_general_kernelI19rocblas_complex_numIdELi16ELi16ELi32ELi32ELi8ELi32ELi8ELi8ELi32ELc67ELc78EKS2_S3_S2_EEvlllT_PT11_llS6_llS4_PT12_llPT13_lli.uses_vcc, 1
	.set _ZN12_GLOBAL__N_135rocblas_gemm_batched_general_kernelI19rocblas_complex_numIdELi16ELi16ELi32ELi32ELi8ELi32ELi8ELi8ELi32ELc67ELc78EKS2_S3_S2_EEvlllT_PT11_llS6_llS4_PT12_llPT13_lli.uses_flat_scratch, 0
	.set _ZN12_GLOBAL__N_135rocblas_gemm_batched_general_kernelI19rocblas_complex_numIdELi16ELi16ELi32ELi32ELi8ELi32ELi8ELi8ELi32ELc67ELc78EKS2_S3_S2_EEvlllT_PT11_llS6_llS4_PT12_llPT13_lli.has_dyn_sized_stack, 0
	.set _ZN12_GLOBAL__N_135rocblas_gemm_batched_general_kernelI19rocblas_complex_numIdELi16ELi16ELi32ELi32ELi8ELi32ELi8ELi8ELi32ELc67ELc78EKS2_S3_S2_EEvlllT_PT11_llS6_llS4_PT12_llPT13_lli.has_recursion, 0
	.set _ZN12_GLOBAL__N_135rocblas_gemm_batched_general_kernelI19rocblas_complex_numIdELi16ELi16ELi32ELi32ELi8ELi32ELi8ELi8ELi32ELc67ELc78EKS2_S3_S2_EEvlllT_PT11_llS6_llS4_PT12_llPT13_lli.has_indirect_call, 0
	.section	.AMDGPU.csdata,"",@progbits
; Kernel info:
; codeLenInByte = 3772
; TotalNumSgprs: 54
; NumVgprs: 129
; ScratchSize: 0
; MemoryBound: 1
; FloatMode: 240
; IeeeMode: 1
; LDSByteSize: 8192 bytes/workgroup (compile time only)
; SGPRBlocks: 0
; VGPRBlocks: 16
; NumSGPRsForWavesPerEU: 54
; NumVGPRsForWavesPerEU: 129
; Occupancy: 10
; WaveLimiterHint : 0
; COMPUTE_PGM_RSRC2:SCRATCH_EN: 0
; COMPUTE_PGM_RSRC2:USER_SGPR: 2
; COMPUTE_PGM_RSRC2:TRAP_HANDLER: 0
; COMPUTE_PGM_RSRC2:TGID_X_EN: 1
; COMPUTE_PGM_RSRC2:TGID_Y_EN: 1
; COMPUTE_PGM_RSRC2:TGID_Z_EN: 1
; COMPUTE_PGM_RSRC2:TIDIG_COMP_CNT: 1
	.section	.text._ZN12_GLOBAL__N_135rocblas_gemm_batched_general_kernelI19rocblas_complex_numIdELi16ELi16ELi32ELi32ELi8ELi32ELi8ELi8ELi32ELc67ELc84EKS2_S3_S2_EEvlllT_PT11_llS6_llS4_PT12_llPT13_lli,"axG",@progbits,_ZN12_GLOBAL__N_135rocblas_gemm_batched_general_kernelI19rocblas_complex_numIdELi16ELi16ELi32ELi32ELi8ELi32ELi8ELi8ELi32ELc67ELc84EKS2_S3_S2_EEvlllT_PT11_llS6_llS4_PT12_llPT13_lli,comdat
	.globl	_ZN12_GLOBAL__N_135rocblas_gemm_batched_general_kernelI19rocblas_complex_numIdELi16ELi16ELi32ELi32ELi8ELi32ELi8ELi8ELi32ELc67ELc84EKS2_S3_S2_EEvlllT_PT11_llS6_llS4_PT12_llPT13_lli ; -- Begin function _ZN12_GLOBAL__N_135rocblas_gemm_batched_general_kernelI19rocblas_complex_numIdELi16ELi16ELi32ELi32ELi8ELi32ELi8ELi8ELi32ELc67ELc84EKS2_S3_S2_EEvlllT_PT11_llS6_llS4_PT12_llPT13_lli
	.p2align	8
	.type	_ZN12_GLOBAL__N_135rocblas_gemm_batched_general_kernelI19rocblas_complex_numIdELi16ELi16ELi32ELi32ELi8ELi32ELi8ELi8ELi32ELc67ELc84EKS2_S3_S2_EEvlllT_PT11_llS6_llS4_PT12_llPT13_lli,@function
_ZN12_GLOBAL__N_135rocblas_gemm_batched_general_kernelI19rocblas_complex_numIdELi16ELi16ELi32ELi32ELi8ELi32ELi8ELi8ELi32ELc67ELc84EKS2_S3_S2_EEvlllT_PT11_llS6_llS4_PT12_llPT13_lli: ; @_ZN12_GLOBAL__N_135rocblas_gemm_batched_general_kernelI19rocblas_complex_numIdELi16ELi16ELi32ELi32ELi8ELi32ELi8ELi8ELi32ELc67ELc84EKS2_S3_S2_EEvlllT_PT11_llS6_llS4_PT12_llPT13_lli
; %bb.0:
	s_load_b32 s33, s[0:1], 0x98
	s_lshr_b32 s6, ttmp7, 16
	s_wait_kmcnt 0x0
	s_cmp_ge_i32 s6, s33
	s_cbranch_scc1 .LBB142_37
; %bb.1:
	s_clause 0x3
	s_load_b512 s[8:23], s[0:1], 0x40
	s_load_b512 s[36:51], s[0:1], 0x0
	s_load_b64 s[28:29], s[0:1], 0x90
	s_load_b128 s[24:27], s[0:1], 0x80
	s_mov_b32 s2, ttmp9
	s_ashr_i32 s3, ttmp9, 31
	v_bfe_u32 v2, v0, 10, 10
	s_lshl_b64 s[30:31], s[2:3], 5
	v_dual_mov_b32 v1, 0 :: v_dual_and_b32 v6, 0x3ff, v0
	s_and_b32 s34, ttmp7, 0xffff
	v_dual_mov_b32 v3, s31 :: v_dual_and_b32 v0, 7, v0
	s_lshl_b32 s0, s34, 5
	s_delay_alu instid0(VALU_DEP_2)
	v_lshl_add_u32 v8, v2, 4, v6
	v_add_co_u32 v4, s1, s0, v2
	v_lshl_add_u32 v35, v2, 7, 0x1000
	s_wait_alu 0xf1ff
	v_add_co_ci_u32_e64 v5, null, 0, 0, s1
	s_wait_kmcnt 0x0
	v_cmp_eq_f64_e64 s2, s[14:15], 0
	v_cmp_eq_f64_e64 s3, s[16:17], 0
	v_and_b32_e32 v14, 31, v8
	v_lshrrev_b32_e32 v19, 3, v8
	v_lshlrev_b32_e32 v9, 4, v0
	v_lshrrev_b32_e32 v36, 5, v8
	s_mov_b32 s7, 0
	v_or_b32_e32 v2, s30, v14
	v_add_co_u32 v12, s0, v19, s0
	v_lshlrev_b32_e32 v16, 4, v14
	v_mad_co_u64_u32 v[14:15], null, v4, s20, 0
	v_lshlrev_b32_e32 v34, 4, v6
	v_add_co_u32 v6, s1, s30, v6
	s_wait_alu 0xf1ff
	v_add_co_ci_u32_e64 v7, null, s31, 0, s1
	v_add_co_ci_u32_e64 v13, null, 0, 0, s0
	s_delay_alu instid0(VALU_DEP_3) | instskip(NEXT) | instid1(VALU_DEP_1)
	v_add_co_u32 v10, vcc_lo, v6, 16
	v_add_co_ci_u32_e64 v11, null, 0, v7, vcc_lo
	v_lshl_or_b32 v17, v19, 7, v9
	v_mad_co_u64_u32 v[8:9], null, v4, s26, 0
	v_cmp_gt_i64_e32 vcc_lo, s[38:39], v[12:13]
	v_mad_co_u64_u32 v[12:13], null, s10, v0, 0
	v_cmp_gt_i64_e64 s0, s[36:37], v[2:3]
	v_mov_b32_e32 v3, v15
	v_lshl_or_b32 v37, v36, 9, v16
	v_add_nc_u32_e32 v38, 0x1000, v17
	v_cmp_gt_i64_e64 s1, s[38:39], v[4:5]
	s_delay_alu instid0(VALU_DEP_4)
	v_mad_co_u64_u32 v[15:16], null, v4, s21, v[3:4]
	v_mad_co_u64_u32 v[16:17], null, v4, s27, v[9:10]
	s_and_b32 s30, s2, s3
	v_mov_b32_e32 v3, v13
	v_add_co_u32 v4, s2, v4, 16
	v_cmp_gt_i64_e64 s3, s[36:37], v[10:11]
	v_lshlrev_b64_e32 v[10:11], 4, v[14:15]
	v_add_co_ci_u32_e64 v5, null, 0, v5, s2
	s_delay_alu instid0(VALU_DEP_4) | instskip(SKIP_1) | instid1(VALU_DEP_4)
	v_mad_co_u64_u32 v[17:18], null, s11, v0, v[3:4]
	v_cmp_gt_i64_e64 s2, s[36:37], v[6:7]
	v_add_co_u32 v39, s5, s18, v10
	s_delay_alu instid0(VALU_DEP_4)
	v_cmp_gt_i64_e64 s4, s[38:39], v[4:5]
	v_add_co_ci_u32_e64 v40, null, s19, v11, s5
	v_mov_b32_e32 v13, v17
	v_mul_lo_u32 v5, s49, v2
	v_mad_co_u64_u32 v[10:11], null, s48, v2, 0
	s_lshl_b32 s5, s34, 9
	v_lshlrev_b64_e32 v[3:4], 4, v[12:13]
	s_mul_i32 s18, s48, s31
	v_lshlrev_b32_e32 v2, 4, v19
	v_dual_mov_b32 v9, v16 :: v_dual_lshlrev_b32 v12, 4, v36
	s_wait_alu 0xfffe
	v_add3_u32 v11, v11, s18, v5
	v_add_co_u32 v3, s5, v3, s5
	s_wait_alu 0xf1ff
	v_add_co_ci_u32_e64 v4, null, 0, v4, s5
	s_lshl_b64 s[20:21], s[20:21], 4
	v_add_co_u32 v5, s5, v3, v2
	v_lshlrev_b64_e32 v[2:3], 4, v[10:11]
	s_wait_alu 0xf1ff
	v_add_co_ci_u32_e64 v4, null, 0, v4, s5
	s_delay_alu instid0(VALU_DEP_3)
	v_add_co_u32 v10, s5, s8, v5
	s_lshl_b64 s[26:27], s[26:27], 4
	v_add_co_ci_u32_e64 v11, null, s9, v4, s5
	v_add_co_u32 v2, s5, v2, v12
	s_wait_alu 0xf1ff
	v_add_co_ci_u32_e64 v3, null, 0, v3, s5
	s_lshl_b64 s[8:9], s[12:13], 4
	v_add_co_u32 v2, s5, s46, v2
	s_wait_alu 0xf1ff
	v_add_co_ci_u32_e64 v3, null, s47, v3, s5
	s_lshl_b64 s[10:11], s[10:11], 7
	v_add_co_u32 v12, s5, v2, 8
	s_wait_alu 0xf1ff
	v_add_co_ci_u32_e64 v13, null, 0, v3, s5
	v_cmp_gt_i64_e64 s5, s[40:41], 0
	s_lshl_b64 s[12:13], s[50:51], 4
	s_xor_b32 s31, vcc_lo, -1
	s_wait_alu 0xfffe
	s_lshl_b64 s[18:19], s[20:21], 4
	s_branch .LBB142_4
.LBB142_2:                              ;   in Loop: Header=BB142_4 Depth=1
	s_wait_alu 0xfffe
	s_or_b32 exec_lo, exec_lo, s34
.LBB142_3:                              ;   in Loop: Header=BB142_4 Depth=1
	s_add_co_i32 s6, s6, 0x10000
	s_wait_alu 0xfffe
	s_cmp_lt_i32 s6, s33
	s_cbranch_scc0 .LBB142_37
.LBB142_4:                              ; =>This Loop Header: Depth=1
                                        ;     Child Loop BB142_7 Depth 2
	s_and_not1_b32 vcc_lo, exec_lo, s5
	s_wait_alu 0xfffe
	s_cbranch_vccnz .LBB142_13
; %bb.5:                                ;   in Loop: Header=BB142_4 Depth=1
	v_mad_co_u64_u32 v[14:15], null, s8, s6, v[10:11]
	v_mad_co_u64_u32 v[16:17], null, s12, s6, v[12:13]
	v_mov_b32_e32 v20, 0
	v_mov_b32_e32 v18, 0
	;; [unrolled: 1-line block ×4, first 2 shown]
	v_dual_mov_b32 v2, v15 :: v_dual_mov_b32 v21, 0
	v_mov_b32_e32 v3, v17
	v_dual_mov_b32 v19, 0 :: v_dual_mov_b32 v24, 0
	v_dual_mov_b32 v23, 0 :: v_dual_mov_b32 v28, 0
	s_delay_alu instid0(VALU_DEP_3)
	v_mad_co_u64_u32 v[4:5], null, s9, s6, v[2:3]
	v_dual_mov_b32 v27, 0 :: v_dual_mov_b32 v32, 0
	v_dual_mov_b32 v30, 0 :: v_dual_mov_b32 v25, 0
	v_mov_b32_e32 v29, 0
	v_mov_b32_e32 v33, 0
	v_mad_co_u64_u32 v[2:3], null, s13, s6, v[3:4]
	v_mov_b32_e32 v31, 0
	v_mov_b32_e32 v15, v4
	s_mov_b64 s[20:21], 0
	s_delay_alu instid0(VALU_DEP_3)
	v_mov_b32_e32 v17, v2
	s_branch .LBB142_7
.LBB142_6:                              ;   in Loop: Header=BB142_7 Depth=2
	s_wait_alu 0xfffe
	s_or_b32 exec_lo, exec_lo, s34
	s_wait_dscnt 0x0
	s_barrier_signal -1
	s_barrier_wait -1
	global_inv scope:SCOPE_SE
	ds_load_b128 v[2:5], v35
	ds_load_b128 v[41:44], v34
	ds_load_b128 v[45:48], v34 offset:256
	ds_load_b128 v[49:52], v35 offset:2048
	;; [unrolled: 1-line block ×10, first 2 shown]
	s_add_nc_u64 s[20:21], s[20:21], 8
	v_add_co_u32 v14, vcc_lo, v14, s10
	s_wait_alu 0xfffe
	v_cmp_lt_i64_e64 s34, s[20:21], s[40:41]
	s_wait_alu 0xfffd
	v_add_co_ci_u32_e64 v15, null, s11, v15, vcc_lo
	v_add_co_u32 v16, vcc_lo, 0x80, v16
	s_wait_alu 0xfffd
	v_add_co_ci_u32_e64 v17, null, 0, v17, vcc_lo
	s_and_b32 vcc_lo, exec_lo, s34
	s_wait_dscnt 0xa
	v_mul_f64_e32 v[85:86], v[4:5], v[43:44]
	v_mul_f64_e32 v[87:88], v[2:3], v[43:44]
	s_wait_dscnt 0x9
	v_mul_f64_e32 v[89:90], v[4:5], v[47:48]
	v_mul_f64_e32 v[91:92], v[2:3], v[47:48]
	;; [unrolled: 3-line block ×3, first 2 shown]
	v_mul_f64_e32 v[95:96], v[51:52], v[47:48]
	v_mul_f64_e32 v[47:48], v[49:50], v[47:48]
	s_wait_dscnt 0x5
	v_mul_f64_e32 v[97:98], v[55:56], v[63:64]
	v_mul_f64_e32 v[99:100], v[53:54], v[63:64]
	s_wait_dscnt 0x4
	v_mul_f64_e32 v[101:102], v[55:56], v[67:68]
	v_mul_f64_e32 v[103:104], v[53:54], v[67:68]
	;; [unrolled: 1-line block ×6, first 2 shown]
	s_wait_dscnt 0x2
	v_mul_f64_e32 v[113:114], v[71:72], v[75:76]
	v_mul_f64_e32 v[115:116], v[69:70], v[75:76]
	s_wait_dscnt 0x1
	v_mul_f64_e32 v[117:118], v[71:72], v[79:80]
	v_mul_f64_e32 v[119:120], v[69:70], v[79:80]
	;; [unrolled: 3-line block ×3, first 2 shown]
	v_mul_f64_e32 v[123:124], v[83:84], v[79:80]
	v_mul_f64_e32 v[79:80], v[81:82], v[79:80]
	v_fma_f64 v[85:86], v[2:3], v[41:42], -v[85:86]
	v_fma_f64 v[87:88], v[4:5], v[41:42], v[87:88]
	v_fma_f64 v[89:90], v[2:3], v[45:46], -v[89:90]
	v_fma_f64 v[91:92], v[4:5], v[45:46], v[91:92]
	;; [unrolled: 2-line block ×8, first 2 shown]
	ds_load_b128 v[2:5], v35 offset:48
	ds_load_b128 v[41:44], v35 offset:2096
	ds_load_b128 v[45:48], v34 offset:1536
	ds_load_b128 v[49:52], v34 offset:1792
	v_fma_f64 v[113:114], v[69:70], v[73:74], -v[113:114]
	v_fma_f64 v[115:116], v[71:72], v[73:74], v[115:116]
	v_fma_f64 v[69:70], v[69:70], v[77:78], -v[117:118]
	v_fma_f64 v[71:72], v[71:72], v[77:78], v[119:120]
	;; [unrolled: 2-line block ×4, first 2 shown]
	s_wait_dscnt 0x1
	v_mul_f64_e32 v[103:104], v[2:3], v[47:48]
	s_wait_dscnt 0x0
	v_mul_f64_e32 v[105:106], v[4:5], v[51:52]
	v_mul_f64_e32 v[107:108], v[2:3], v[51:52]
	v_add_f64_e32 v[63:64], v[30:31], v[85:86]
	v_add_f64_e32 v[65:66], v[87:88], v[32:33]
	;; [unrolled: 1-line block ×8, first 2 shown]
	v_mul_f64_e32 v[95:96], v[4:5], v[47:48]
	v_mul_f64_e32 v[109:110], v[43:44], v[47:48]
	v_mul_f64_e32 v[47:48], v[41:42], v[47:48]
	v_mul_f64_e32 v[111:112], v[43:44], v[51:52]
	v_mul_f64_e32 v[125:126], v[41:42], v[51:52]
	ds_load_b128 v[18:21], v35 offset:64
	ds_load_b128 v[22:25], v34 offset:2048
	;; [unrolled: 1-line block ×4, first 2 shown]
	s_wait_dscnt 0x0
	v_mul_f64_e32 v[119:120], v[32:33], v[24:25]
	v_mul_f64_e32 v[121:122], v[32:33], v[28:29]
	v_fma_f64 v[103:104], v[4:5], v[45:46], v[103:104]
	v_fma_f64 v[105:106], v[2:3], v[49:50], -v[105:106]
	v_fma_f64 v[107:108], v[4:5], v[49:50], v[107:108]
	v_add_f64_e32 v[79:80], v[63:64], v[97:98]
	v_add_f64_e32 v[81:82], v[99:100], v[65:66]
	;; [unrolled: 1-line block ×8, first 2 shown]
	v_mul_f64_e32 v[93:94], v[20:21], v[24:25]
	v_mul_f64_e32 v[97:98], v[18:19], v[24:25]
	;; [unrolled: 1-line block ×6, first 2 shown]
	v_fma_f64 v[95:96], v[2:3], v[45:46], -v[95:96]
	v_fma_f64 v[109:110], v[41:42], v[45:46], -v[109:110]
	v_fma_f64 v[123:124], v[43:44], v[45:46], v[47:48]
	v_fma_f64 v[111:112], v[41:42], v[49:50], -v[111:112]
	v_fma_f64 v[49:50], v[43:44], v[49:50], v[125:126]
	ds_load_b128 v[51:54], v35 offset:80
	ds_load_b128 v[55:58], v35 offset:2128
	;; [unrolled: 1-line block ×4, first 2 shown]
	v_fma_f64 v[119:120], v[30:31], v[22:23], -v[119:120]
	v_fma_f64 v[121:122], v[30:31], v[26:27], -v[121:122]
	v_add_f64_e32 v[79:80], v[79:80], v[113:114]
	v_add_f64_e32 v[81:82], v[115:116], v[81:82]
	;; [unrolled: 1-line block ×8, first 2 shown]
	s_wait_dscnt 0x1
	v_mul_f64_e32 v[85:86], v[53:54], v[61:62]
	v_mul_f64_e32 v[87:88], v[51:52], v[61:62]
	s_wait_dscnt 0x0
	v_mul_f64_e32 v[89:90], v[53:54], v[65:66]
	v_mul_f64_e32 v[91:92], v[51:52], v[65:66]
	;; [unrolled: 1-line block ×6, first 2 shown]
	v_fma_f64 v[93:94], v[18:19], v[22:23], -v[93:94]
	v_fma_f64 v[97:98], v[20:21], v[22:23], v[97:98]
	v_fma_f64 v[99:100], v[18:19], v[26:27], -v[99:100]
	v_fma_f64 v[101:102], v[20:21], v[26:27], v[101:102]
	v_fma_f64 v[125:126], v[32:33], v[22:23], v[24:25]
	;; [unrolled: 1-line block ×3, first 2 shown]
	ds_load_b128 v[2:5], v35 offset:96
	ds_load_b128 v[41:44], v34 offset:3072
	;; [unrolled: 1-line block ×8, first 2 shown]
	s_wait_loadcnt_dscnt 0x0
	s_barrier_signal -1
	s_barrier_wait -1
	global_inv scope:SCOPE_SE
	v_add_f64_e32 v[79:80], v[79:80], v[95:96]
	v_add_f64_e32 v[81:82], v[103:104], v[81:82]
	;; [unrolled: 1-line block ×8, first 2 shown]
	v_mul_f64_e32 v[77:78], v[4:5], v[43:44]
	v_mul_f64_e32 v[103:104], v[2:3], v[43:44]
	;; [unrolled: 1-line block ×8, first 2 shown]
	v_fma_f64 v[85:86], v[51:52], v[59:60], -v[85:86]
	v_fma_f64 v[87:88], v[53:54], v[59:60], v[87:88]
	v_fma_f64 v[51:52], v[51:52], v[63:64], -v[89:90]
	v_fma_f64 v[53:54], v[53:54], v[63:64], v[91:92]
	;; [unrolled: 2-line block ×4, first 2 shown]
	v_mul_f64_e32 v[91:92], v[20:21], v[32:33]
	v_add_f64_e32 v[61:62], v[79:80], v[93:94]
	v_add_f64_e32 v[63:64], v[97:98], v[81:82]
	;; [unrolled: 1-line block ×8, first 2 shown]
	v_mul_f64_e32 v[81:82], v[20:21], v[28:29]
	v_mul_f64_e32 v[83:84], v[18:19], v[28:29]
	;; [unrolled: 1-line block ×7, first 2 shown]
	v_fma_f64 v[77:78], v[2:3], v[41:42], -v[77:78]
	v_fma_f64 v[99:100], v[4:5], v[41:42], v[103:104]
	v_fma_f64 v[2:3], v[2:3], v[45:46], -v[105:106]
	v_fma_f64 v[4:5], v[4:5], v[45:46], v[107:108]
	;; [unrolled: 2-line block ×4, first 2 shown]
	v_add_f64_e32 v[47:48], v[61:62], v[85:86]
	v_add_f64_e32 v[61:62], v[87:88], v[63:64]
	;; [unrolled: 1-line block ×8, first 2 shown]
	v_fma_f64 v[57:58], v[18:19], v[26:27], -v[81:82]
	v_fma_f64 v[65:66], v[20:21], v[26:27], v[83:84]
	v_fma_f64 v[18:19], v[18:19], v[30:31], -v[91:92]
	v_fma_f64 v[20:21], v[20:21], v[30:31], v[93:94]
	;; [unrolled: 2-line block ×4, first 2 shown]
	v_add_f64_e32 v[22:23], v[47:48], v[77:78]
	v_add_f64_e32 v[24:25], v[99:100], v[61:62]
	;; [unrolled: 1-line block ×16, first 2 shown]
	s_wait_alu 0xfffe
	s_cbranch_vccz .LBB142_14
.LBB142_7:                              ;   Parent Loop BB142_4 Depth=1
                                        ; =>  This Inner Loop Header: Depth=2
	s_wait_alu 0xfffe
	v_add_co_u32 v2, s34, v36, s20
	s_wait_alu 0xf1ff
	v_add_co_ci_u32_e64 v3, null, 0, s21, s34
	v_mov_b32_e32 v4, 0
	v_mov_b32_e32 v5, 0
	s_delay_alu instid0(VALU_DEP_3)
	v_cmp_gt_i64_e32 vcc_lo, s[40:41], v[2:3]
	v_mov_b32_e32 v2, 0
	v_mov_b32_e32 v3, 0
	s_and_b32 s35, s0, vcc_lo
	s_wait_alu 0xfffe
	s_and_saveexec_b32 s34, s35
	s_cbranch_execz .LBB142_9
; %bb.8:                                ;   in Loop: Header=BB142_7 Depth=2
	global_load_b128 v[2:5], v[16:17], off offset:-8
	s_wait_loadcnt 0x0
	v_xor_b32_e32 v5, 0x80000000, v5
.LBB142_9:                              ;   in Loop: Header=BB142_7 Depth=2
	s_wait_alu 0xfffe
	s_or_b32 exec_lo, exec_lo, s34
	v_add_co_u32 v41, s34, v0, s20
	s_wait_alu 0xf1ff
	v_add_co_ci_u32_e64 v42, null, 0, s21, s34
	ds_store_b128 v37, v[2:5]
	v_cmp_le_i64_e32 vcc_lo, s[40:41], v[41:42]
	s_or_b32 s34, vcc_lo, s31
	s_wait_alu 0xfffe
	s_and_saveexec_b32 s35, s34
	s_wait_alu 0xfffe
	s_xor_b32 s34, exec_lo, s35
; %bb.10:                               ;   in Loop: Header=BB142_7 Depth=2
	v_dual_mov_b32 v2, v1 :: v_dual_mov_b32 v3, v1
	v_mov_b32_e32 v4, v1
	ds_store_b128 v38, v[1:4]
; %bb.11:                               ;   in Loop: Header=BB142_7 Depth=2
	s_wait_alu 0xfffe
	s_and_not1_saveexec_b32 s34, s34
	s_cbranch_execz .LBB142_6
; %bb.12:                               ;   in Loop: Header=BB142_7 Depth=2
	global_load_b128 v[2:5], v[14:15], off
	s_wait_loadcnt 0x0
	ds_store_2addr_b64 v38, v[2:3], v[4:5] offset1:1
	s_branch .LBB142_6
.LBB142_13:                             ;   in Loop: Header=BB142_4 Depth=1
	v_mov_b32_e32 v30, 0
	v_mov_b32_e32 v26, 0
	;; [unrolled: 1-line block ×3, first 2 shown]
	v_dual_mov_b32 v18, 0 :: v_dual_mov_b32 v31, 0
	v_dual_mov_b32 v32, 0 :: v_dual_mov_b32 v27, 0
	v_dual_mov_b32 v28, 0 :: v_dual_mov_b32 v23, 0
	v_dual_mov_b32 v24, 0 :: v_dual_mov_b32 v19, 0
	v_dual_mov_b32 v20, 0 :: v_dual_mov_b32 v33, 0
	v_mov_b32_e32 v29, 0
	v_mov_b32_e32 v25, 0
	;; [unrolled: 1-line block ×3, first 2 shown]
.LBB142_14:                             ;   in Loop: Header=BB142_4 Depth=1
	s_mul_u64 s[20:21], s[28:29], s[6:7]
	s_and_not1_b32 vcc_lo, exec_lo, s30
	s_wait_alu 0xfffe
	s_lshl_b64 s[20:21], s[20:21], 4
	s_mov_b32 s34, -1
	s_wait_alu 0xfffe
	s_add_nc_u64 s[20:21], s[24:25], s[20:21]
	s_cbranch_vccz .LBB142_16
; %bb.15:                               ;   in Loop: Header=BB142_4 Depth=1
	s_and_not1_b32 vcc_lo, exec_lo, s34
	s_wait_alu 0xfffe
	s_cbranch_vccnz .LBB142_3
	s_branch .LBB142_27
.LBB142_16:                             ;   in Loop: Header=BB142_4 Depth=1
	s_and_saveexec_b32 s34, s1
	s_cbranch_execz .LBB142_26
; %bb.17:                               ;   in Loop: Header=BB142_4 Depth=1
	v_lshlrev_b64_e32 v[2:3], 4, v[8:9]
	s_wait_alu 0xfffe
	s_delay_alu instid0(VALU_DEP_1) | instskip(SKIP_1) | instid1(VALU_DEP_2)
	v_add_co_u32 v2, vcc_lo, s20, v2
	s_wait_alu 0xfffd
	v_add_co_ci_u32_e64 v3, null, s21, v3, vcc_lo
	s_and_saveexec_b32 s35, s2
	s_cbranch_execnz .LBB142_20
; %bb.18:                               ;   in Loop: Header=BB142_4 Depth=1
	s_wait_alu 0xfffe
	s_or_b32 exec_lo, exec_lo, s35
	s_and_saveexec_b32 s35, s3
	s_cbranch_execnz .LBB142_21
.LBB142_19:                             ;   in Loop: Header=BB142_4 Depth=1
	s_wait_alu 0xfffe
	s_or_b32 exec_lo, exec_lo, s35
	s_delay_alu instid0(SALU_CYCLE_1)
	s_and_b32 exec_lo, exec_lo, s4
	s_cbranch_execnz .LBB142_22
	s_branch .LBB142_26
.LBB142_20:                             ;   in Loop: Header=BB142_4 Depth=1
	v_mul_f64_e32 v[4:5], s[44:45], v[32:33]
	v_mul_f64_e32 v[16:17], s[42:43], v[32:33]
	s_delay_alu instid0(VALU_DEP_2) | instskip(NEXT) | instid1(VALU_DEP_2)
	v_fma_f64 v[14:15], s[42:43], v[30:31], -v[4:5]
	v_fma_f64 v[16:17], s[44:45], v[30:31], v[16:17]
	v_lshlrev_b64_e32 v[4:5], 4, v[6:7]
	s_delay_alu instid0(VALU_DEP_1) | instskip(SKIP_1) | instid1(VALU_DEP_2)
	v_add_co_u32 v4, vcc_lo, v2, v4
	s_wait_alu 0xfffd
	v_add_co_ci_u32_e64 v5, null, v3, v5, vcc_lo
	global_store_b128 v[4:5], v[14:17], off
	s_wait_alu 0xfffe
	s_or_b32 exec_lo, exec_lo, s35
	s_and_saveexec_b32 s35, s3
	s_cbranch_execz .LBB142_19
.LBB142_21:                             ;   in Loop: Header=BB142_4 Depth=1
	v_mul_f64_e32 v[4:5], s[44:45], v[28:29]
	v_mul_f64_e32 v[16:17], s[42:43], v[28:29]
	s_delay_alu instid0(VALU_DEP_2) | instskip(NEXT) | instid1(VALU_DEP_2)
	v_fma_f64 v[14:15], s[42:43], v[26:27], -v[4:5]
	v_fma_f64 v[16:17], s[44:45], v[26:27], v[16:17]
	v_lshlrev_b64_e32 v[4:5], 4, v[6:7]
	s_delay_alu instid0(VALU_DEP_1) | instskip(SKIP_1) | instid1(VALU_DEP_2)
	v_add_co_u32 v4, vcc_lo, v2, v4
	s_wait_alu 0xfffd
	v_add_co_ci_u32_e64 v5, null, v3, v5, vcc_lo
	global_store_b128 v[4:5], v[14:17], off offset:256
	s_wait_alu 0xfffe
	s_or_b32 exec_lo, exec_lo, s35
	s_delay_alu instid0(SALU_CYCLE_1)
	s_and_b32 exec_lo, exec_lo, s4
	s_cbranch_execz .LBB142_26
.LBB142_22:                             ;   in Loop: Header=BB142_4 Depth=1
	s_lshl_b64 s[36:37], s[26:27], 4
	v_lshlrev_b64_e32 v[4:5], 4, v[6:7]
	s_wait_alu 0xfffe
	v_add_co_u32 v2, vcc_lo, v2, s36
	s_wait_alu 0xfffd
	v_add_co_ci_u32_e64 v3, null, s37, v3, vcc_lo
	s_delay_alu instid0(VALU_DEP_2) | instskip(SKIP_1) | instid1(VALU_DEP_2)
	v_add_co_u32 v2, vcc_lo, v2, v4
	s_wait_alu 0xfffd
	v_add_co_ci_u32_e64 v3, null, v3, v5, vcc_lo
	s_and_saveexec_b32 s35, s2
	s_cbranch_execz .LBB142_24
; %bb.23:                               ;   in Loop: Header=BB142_4 Depth=1
	v_mul_f64_e32 v[4:5], s[44:45], v[24:25]
	v_mul_f64_e32 v[16:17], s[42:43], v[24:25]
	s_delay_alu instid0(VALU_DEP_2) | instskip(NEXT) | instid1(VALU_DEP_2)
	v_fma_f64 v[14:15], s[42:43], v[22:23], -v[4:5]
	v_fma_f64 v[16:17], s[44:45], v[22:23], v[16:17]
	global_store_b128 v[2:3], v[14:17], off
.LBB142_24:                             ;   in Loop: Header=BB142_4 Depth=1
	s_wait_alu 0xfffe
	s_or_b32 exec_lo, exec_lo, s35
	s_delay_alu instid0(SALU_CYCLE_1)
	s_and_b32 exec_lo, exec_lo, s3
	s_cbranch_execz .LBB142_26
; %bb.25:                               ;   in Loop: Header=BB142_4 Depth=1
	v_mul_f64_e32 v[4:5], s[44:45], v[20:21]
	v_mul_f64_e32 v[16:17], s[42:43], v[20:21]
	s_delay_alu instid0(VALU_DEP_2) | instskip(NEXT) | instid1(VALU_DEP_2)
	v_fma_f64 v[14:15], s[42:43], v[18:19], -v[4:5]
	v_fma_f64 v[16:17], s[44:45], v[18:19], v[16:17]
	global_store_b128 v[2:3], v[14:17], off offset:256
.LBB142_26:                             ;   in Loop: Header=BB142_4 Depth=1
	s_wait_alu 0xfffe
	s_or_b32 exec_lo, exec_lo, s34
	s_cbranch_execnz .LBB142_3
.LBB142_27:                             ;   in Loop: Header=BB142_4 Depth=1
	s_and_saveexec_b32 s34, s1
	s_cbranch_execz .LBB142_2
; %bb.28:                               ;   in Loop: Header=BB142_4 Depth=1
	s_mul_u64 s[36:37], s[22:23], s[6:7]
	v_lshlrev_b64_e32 v[14:15], 4, v[8:9]
	s_wait_alu 0xfffe
	s_lshl_b64 s[36:37], s[36:37], 4
	v_lshlrev_b64_e32 v[2:3], 4, v[6:7]
	s_wait_alu 0xfffe
	v_add_co_u32 v4, vcc_lo, v39, s36
	s_wait_alu 0xfffd
	v_add_co_ci_u32_e64 v5, null, s37, v40, vcc_lo
	v_add_co_u32 v14, vcc_lo, s20, v14
	s_wait_alu 0xfffd
	v_add_co_ci_u32_e64 v15, null, s21, v15, vcc_lo
	s_and_saveexec_b32 s20, s2
	s_cbranch_execnz .LBB142_31
; %bb.29:                               ;   in Loop: Header=BB142_4 Depth=1
	s_wait_alu 0xfffe
	s_or_b32 exec_lo, exec_lo, s20
	s_and_saveexec_b32 s20, s3
	s_cbranch_execnz .LBB142_32
.LBB142_30:                             ;   in Loop: Header=BB142_4 Depth=1
	s_wait_alu 0xfffe
	s_or_b32 exec_lo, exec_lo, s20
	s_delay_alu instid0(SALU_CYCLE_1)
	s_and_b32 exec_lo, exec_lo, s4
	s_cbranch_execz .LBB142_2
	s_branch .LBB142_33
.LBB142_31:                             ;   in Loop: Header=BB142_4 Depth=1
	v_add_co_u32 v16, vcc_lo, v4, v2
	s_wait_alu 0xfffd
	v_add_co_ci_u32_e64 v17, null, v5, v3, vcc_lo
	global_load_b128 v[41:44], v[16:17], off
	v_mul_f64_e32 v[16:17], s[44:45], v[32:33]
	v_mul_f64_e32 v[32:33], s[42:43], v[32:33]
	s_delay_alu instid0(VALU_DEP_2) | instskip(NEXT) | instid1(VALU_DEP_2)
	v_fma_f64 v[16:17], s[42:43], v[30:31], -v[16:17]
	v_fma_f64 v[32:33], s[44:45], v[30:31], v[32:33]
	s_wait_loadcnt 0x0
	v_mul_f64_e32 v[45:46], s[16:17], v[43:44]
	v_mul_f64_e32 v[43:44], s[14:15], v[43:44]
	s_delay_alu instid0(VALU_DEP_2) | instskip(NEXT) | instid1(VALU_DEP_2)
	v_fma_f64 v[30:31], s[14:15], v[41:42], -v[45:46]
	v_fma_f64 v[41:42], s[16:17], v[41:42], v[43:44]
	s_delay_alu instid0(VALU_DEP_2) | instskip(NEXT) | instid1(VALU_DEP_2)
	v_add_f64_e32 v[30:31], v[16:17], v[30:31]
	v_add_f64_e32 v[32:33], v[32:33], v[41:42]
	v_add_co_u32 v16, vcc_lo, v14, v2
	s_wait_alu 0xfffd
	v_add_co_ci_u32_e64 v17, null, v15, v3, vcc_lo
	global_store_b128 v[16:17], v[30:33], off
	s_wait_alu 0xfffe
	s_or_b32 exec_lo, exec_lo, s20
	s_and_saveexec_b32 s20, s3
	s_cbranch_execz .LBB142_30
.LBB142_32:                             ;   in Loop: Header=BB142_4 Depth=1
	v_add_co_u32 v16, vcc_lo, v4, v2
	s_wait_alu 0xfffd
	v_add_co_ci_u32_e64 v17, null, v5, v3, vcc_lo
	global_load_b128 v[30:33], v[16:17], off offset:256
	v_mul_f64_e32 v[16:17], s[44:45], v[28:29]
	v_mul_f64_e32 v[28:29], s[42:43], v[28:29]
	s_delay_alu instid0(VALU_DEP_2) | instskip(NEXT) | instid1(VALU_DEP_2)
	v_fma_f64 v[16:17], s[42:43], v[26:27], -v[16:17]
	v_fma_f64 v[28:29], s[44:45], v[26:27], v[28:29]
	s_wait_loadcnt 0x0
	v_mul_f64_e32 v[41:42], s[16:17], v[32:33]
	v_mul_f64_e32 v[32:33], s[14:15], v[32:33]
	s_delay_alu instid0(VALU_DEP_2) | instskip(NEXT) | instid1(VALU_DEP_2)
	v_fma_f64 v[26:27], s[14:15], v[30:31], -v[41:42]
	v_fma_f64 v[30:31], s[16:17], v[30:31], v[32:33]
	s_delay_alu instid0(VALU_DEP_2) | instskip(NEXT) | instid1(VALU_DEP_2)
	v_add_f64_e32 v[26:27], v[16:17], v[26:27]
	v_add_f64_e32 v[28:29], v[28:29], v[30:31]
	v_add_co_u32 v16, vcc_lo, v14, v2
	s_wait_alu 0xfffd
	v_add_co_ci_u32_e64 v17, null, v15, v3, vcc_lo
	global_store_b128 v[16:17], v[26:29], off offset:256
	s_wait_alu 0xfffe
	s_or_b32 exec_lo, exec_lo, s20
	s_delay_alu instid0(SALU_CYCLE_1)
	s_and_b32 exec_lo, exec_lo, s4
	s_cbranch_execz .LBB142_2
.LBB142_33:                             ;   in Loop: Header=BB142_4 Depth=1
	v_add_co_u32 v4, vcc_lo, v4, s18
	s_lshl_b64 s[20:21], s[26:27], 4
	s_wait_alu 0xfffd
	v_add_co_ci_u32_e64 v5, null, s19, v5, vcc_lo
	s_wait_alu 0xfffe
	v_add_co_u32 v14, vcc_lo, v14, s20
	s_wait_alu 0xfffd
	v_add_co_ci_u32_e64 v15, null, s21, v15, vcc_lo
	v_add_co_u32 v4, vcc_lo, v4, v2
	s_wait_alu 0xfffd
	v_add_co_ci_u32_e64 v5, null, v5, v3, vcc_lo
	;; [unrolled: 3-line block ×3, first 2 shown]
	s_and_saveexec_b32 s20, s2
	s_cbranch_execz .LBB142_35
; %bb.34:                               ;   in Loop: Header=BB142_4 Depth=1
	global_load_b128 v[14:17], v[4:5], off
	v_mul_f64_e32 v[26:27], s[44:45], v[24:25]
	v_mul_f64_e32 v[24:25], s[42:43], v[24:25]
	s_delay_alu instid0(VALU_DEP_2) | instskip(NEXT) | instid1(VALU_DEP_2)
	v_fma_f64 v[26:27], s[42:43], v[22:23], -v[26:27]
	v_fma_f64 v[22:23], s[44:45], v[22:23], v[24:25]
	s_wait_loadcnt 0x0
	v_mul_f64_e32 v[28:29], s[16:17], v[16:17]
	v_mul_f64_e32 v[16:17], s[14:15], v[16:17]
	s_delay_alu instid0(VALU_DEP_2) | instskip(NEXT) | instid1(VALU_DEP_2)
	v_fma_f64 v[24:25], s[14:15], v[14:15], -v[28:29]
	v_fma_f64 v[16:17], s[16:17], v[14:15], v[16:17]
	s_delay_alu instid0(VALU_DEP_2) | instskip(NEXT) | instid1(VALU_DEP_2)
	v_add_f64_e32 v[14:15], v[26:27], v[24:25]
	v_add_f64_e32 v[16:17], v[22:23], v[16:17]
	global_store_b128 v[2:3], v[14:17], off
.LBB142_35:                             ;   in Loop: Header=BB142_4 Depth=1
	s_wait_alu 0xfffe
	s_or_b32 exec_lo, exec_lo, s20
	s_delay_alu instid0(SALU_CYCLE_1)
	s_and_b32 exec_lo, exec_lo, s3
	s_cbranch_execz .LBB142_2
; %bb.36:                               ;   in Loop: Header=BB142_4 Depth=1
	global_load_b128 v[14:17], v[4:5], off offset:256
	v_mul_f64_e32 v[4:5], s[44:45], v[20:21]
	v_mul_f64_e32 v[20:21], s[42:43], v[20:21]
	s_delay_alu instid0(VALU_DEP_2) | instskip(NEXT) | instid1(VALU_DEP_2)
	v_fma_f64 v[4:5], s[42:43], v[18:19], -v[4:5]
	v_fma_f64 v[18:19], s[44:45], v[18:19], v[20:21]
	s_wait_loadcnt 0x0
	v_mul_f64_e32 v[22:23], s[16:17], v[16:17]
	v_mul_f64_e32 v[16:17], s[14:15], v[16:17]
	s_delay_alu instid0(VALU_DEP_2) | instskip(NEXT) | instid1(VALU_DEP_2)
	v_fma_f64 v[20:21], s[14:15], v[14:15], -v[22:23]
	v_fma_f64 v[16:17], s[16:17], v[14:15], v[16:17]
	s_delay_alu instid0(VALU_DEP_2) | instskip(NEXT) | instid1(VALU_DEP_2)
	v_add_f64_e32 v[14:15], v[4:5], v[20:21]
	v_add_f64_e32 v[16:17], v[18:19], v[16:17]
	global_store_b128 v[2:3], v[14:17], off offset:256
	s_branch .LBB142_2
.LBB142_37:
	s_nop 0
	s_sendmsg sendmsg(MSG_DEALLOC_VGPRS)
	s_endpgm
	.section	.rodata,"a",@progbits
	.p2align	6, 0x0
	.amdhsa_kernel _ZN12_GLOBAL__N_135rocblas_gemm_batched_general_kernelI19rocblas_complex_numIdELi16ELi16ELi32ELi32ELi8ELi32ELi8ELi8ELi32ELc67ELc84EKS2_S3_S2_EEvlllT_PT11_llS6_llS4_PT12_llPT13_lli
		.amdhsa_group_segment_fixed_size 8192
		.amdhsa_private_segment_fixed_size 0
		.amdhsa_kernarg_size 156
		.amdhsa_user_sgpr_count 2
		.amdhsa_user_sgpr_dispatch_ptr 0
		.amdhsa_user_sgpr_queue_ptr 0
		.amdhsa_user_sgpr_kernarg_segment_ptr 1
		.amdhsa_user_sgpr_dispatch_id 0
		.amdhsa_user_sgpr_private_segment_size 0
		.amdhsa_wavefront_size32 1
		.amdhsa_uses_dynamic_stack 0
		.amdhsa_enable_private_segment 0
		.amdhsa_system_sgpr_workgroup_id_x 1
		.amdhsa_system_sgpr_workgroup_id_y 1
		.amdhsa_system_sgpr_workgroup_id_z 1
		.amdhsa_system_sgpr_workgroup_info 0
		.amdhsa_system_vgpr_workitem_id 1
		.amdhsa_next_free_vgpr 129
		.amdhsa_next_free_sgpr 52
		.amdhsa_reserve_vcc 1
		.amdhsa_float_round_mode_32 0
		.amdhsa_float_round_mode_16_64 0
		.amdhsa_float_denorm_mode_32 3
		.amdhsa_float_denorm_mode_16_64 3
		.amdhsa_fp16_overflow 0
		.amdhsa_workgroup_processor_mode 1
		.amdhsa_memory_ordered 1
		.amdhsa_forward_progress 1
		.amdhsa_inst_pref_size 30
		.amdhsa_round_robin_scheduling 0
		.amdhsa_exception_fp_ieee_invalid_op 0
		.amdhsa_exception_fp_denorm_src 0
		.amdhsa_exception_fp_ieee_div_zero 0
		.amdhsa_exception_fp_ieee_overflow 0
		.amdhsa_exception_fp_ieee_underflow 0
		.amdhsa_exception_fp_ieee_inexact 0
		.amdhsa_exception_int_div_zero 0
	.end_amdhsa_kernel
	.section	.text._ZN12_GLOBAL__N_135rocblas_gemm_batched_general_kernelI19rocblas_complex_numIdELi16ELi16ELi32ELi32ELi8ELi32ELi8ELi8ELi32ELc67ELc84EKS2_S3_S2_EEvlllT_PT11_llS6_llS4_PT12_llPT13_lli,"axG",@progbits,_ZN12_GLOBAL__N_135rocblas_gemm_batched_general_kernelI19rocblas_complex_numIdELi16ELi16ELi32ELi32ELi8ELi32ELi8ELi8ELi32ELc67ELc84EKS2_S3_S2_EEvlllT_PT11_llS6_llS4_PT12_llPT13_lli,comdat
.Lfunc_end142:
	.size	_ZN12_GLOBAL__N_135rocblas_gemm_batched_general_kernelI19rocblas_complex_numIdELi16ELi16ELi32ELi32ELi8ELi32ELi8ELi8ELi32ELc67ELc84EKS2_S3_S2_EEvlllT_PT11_llS6_llS4_PT12_llPT13_lli, .Lfunc_end142-_ZN12_GLOBAL__N_135rocblas_gemm_batched_general_kernelI19rocblas_complex_numIdELi16ELi16ELi32ELi32ELi8ELi32ELi8ELi8ELi32ELc67ELc84EKS2_S3_S2_EEvlllT_PT11_llS6_llS4_PT12_llPT13_lli
                                        ; -- End function
	.set _ZN12_GLOBAL__N_135rocblas_gemm_batched_general_kernelI19rocblas_complex_numIdELi16ELi16ELi32ELi32ELi8ELi32ELi8ELi8ELi32ELc67ELc84EKS2_S3_S2_EEvlllT_PT11_llS6_llS4_PT12_llPT13_lli.num_vgpr, 129
	.set _ZN12_GLOBAL__N_135rocblas_gemm_batched_general_kernelI19rocblas_complex_numIdELi16ELi16ELi32ELi32ELi8ELi32ELi8ELi8ELi32ELc67ELc84EKS2_S3_S2_EEvlllT_PT11_llS6_llS4_PT12_llPT13_lli.num_agpr, 0
	.set _ZN12_GLOBAL__N_135rocblas_gemm_batched_general_kernelI19rocblas_complex_numIdELi16ELi16ELi32ELi32ELi8ELi32ELi8ELi8ELi32ELc67ELc84EKS2_S3_S2_EEvlllT_PT11_llS6_llS4_PT12_llPT13_lli.numbered_sgpr, 52
	.set _ZN12_GLOBAL__N_135rocblas_gemm_batched_general_kernelI19rocblas_complex_numIdELi16ELi16ELi32ELi32ELi8ELi32ELi8ELi8ELi32ELc67ELc84EKS2_S3_S2_EEvlllT_PT11_llS6_llS4_PT12_llPT13_lli.num_named_barrier, 0
	.set _ZN12_GLOBAL__N_135rocblas_gemm_batched_general_kernelI19rocblas_complex_numIdELi16ELi16ELi32ELi32ELi8ELi32ELi8ELi8ELi32ELc67ELc84EKS2_S3_S2_EEvlllT_PT11_llS6_llS4_PT12_llPT13_lli.private_seg_size, 0
	.set _ZN12_GLOBAL__N_135rocblas_gemm_batched_general_kernelI19rocblas_complex_numIdELi16ELi16ELi32ELi32ELi8ELi32ELi8ELi8ELi32ELc67ELc84EKS2_S3_S2_EEvlllT_PT11_llS6_llS4_PT12_llPT13_lli.uses_vcc, 1
	.set _ZN12_GLOBAL__N_135rocblas_gemm_batched_general_kernelI19rocblas_complex_numIdELi16ELi16ELi32ELi32ELi8ELi32ELi8ELi8ELi32ELc67ELc84EKS2_S3_S2_EEvlllT_PT11_llS6_llS4_PT12_llPT13_lli.uses_flat_scratch, 0
	.set _ZN12_GLOBAL__N_135rocblas_gemm_batched_general_kernelI19rocblas_complex_numIdELi16ELi16ELi32ELi32ELi8ELi32ELi8ELi8ELi32ELc67ELc84EKS2_S3_S2_EEvlllT_PT11_llS6_llS4_PT12_llPT13_lli.has_dyn_sized_stack, 0
	.set _ZN12_GLOBAL__N_135rocblas_gemm_batched_general_kernelI19rocblas_complex_numIdELi16ELi16ELi32ELi32ELi8ELi32ELi8ELi8ELi32ELc67ELc84EKS2_S3_S2_EEvlllT_PT11_llS6_llS4_PT12_llPT13_lli.has_recursion, 0
	.set _ZN12_GLOBAL__N_135rocblas_gemm_batched_general_kernelI19rocblas_complex_numIdELi16ELi16ELi32ELi32ELi8ELi32ELi8ELi8ELi32ELc67ELc84EKS2_S3_S2_EEvlllT_PT11_llS6_llS4_PT12_llPT13_lli.has_indirect_call, 0
	.section	.AMDGPU.csdata,"",@progbits
; Kernel info:
; codeLenInByte = 3800
; TotalNumSgprs: 54
; NumVgprs: 129
; ScratchSize: 0
; MemoryBound: 1
; FloatMode: 240
; IeeeMode: 1
; LDSByteSize: 8192 bytes/workgroup (compile time only)
; SGPRBlocks: 0
; VGPRBlocks: 16
; NumSGPRsForWavesPerEU: 54
; NumVGPRsForWavesPerEU: 129
; Occupancy: 10
; WaveLimiterHint : 0
; COMPUTE_PGM_RSRC2:SCRATCH_EN: 0
; COMPUTE_PGM_RSRC2:USER_SGPR: 2
; COMPUTE_PGM_RSRC2:TRAP_HANDLER: 0
; COMPUTE_PGM_RSRC2:TGID_X_EN: 1
; COMPUTE_PGM_RSRC2:TGID_Y_EN: 1
; COMPUTE_PGM_RSRC2:TGID_Z_EN: 1
; COMPUTE_PGM_RSRC2:TIDIG_COMP_CNT: 1
	.section	.text._ZN12_GLOBAL__N_135rocblas_gemm_batched_general_kernelI19rocblas_complex_numIdELi16ELi16ELi32ELi32ELi8ELi32ELi8ELi8ELi32ELc78ELc67EKS2_S3_S2_EEvlllT_PT11_llS6_llS4_PT12_llPT13_lli,"axG",@progbits,_ZN12_GLOBAL__N_135rocblas_gemm_batched_general_kernelI19rocblas_complex_numIdELi16ELi16ELi32ELi32ELi8ELi32ELi8ELi8ELi32ELc78ELc67EKS2_S3_S2_EEvlllT_PT11_llS6_llS4_PT12_llPT13_lli,comdat
	.globl	_ZN12_GLOBAL__N_135rocblas_gemm_batched_general_kernelI19rocblas_complex_numIdELi16ELi16ELi32ELi32ELi8ELi32ELi8ELi8ELi32ELc78ELc67EKS2_S3_S2_EEvlllT_PT11_llS6_llS4_PT12_llPT13_lli ; -- Begin function _ZN12_GLOBAL__N_135rocblas_gemm_batched_general_kernelI19rocblas_complex_numIdELi16ELi16ELi32ELi32ELi8ELi32ELi8ELi8ELi32ELc78ELc67EKS2_S3_S2_EEvlllT_PT11_llS6_llS4_PT12_llPT13_lli
	.p2align	8
	.type	_ZN12_GLOBAL__N_135rocblas_gemm_batched_general_kernelI19rocblas_complex_numIdELi16ELi16ELi32ELi32ELi8ELi32ELi8ELi8ELi32ELc78ELc67EKS2_S3_S2_EEvlllT_PT11_llS6_llS4_PT12_llPT13_lli,@function
_ZN12_GLOBAL__N_135rocblas_gemm_batched_general_kernelI19rocblas_complex_numIdELi16ELi16ELi32ELi32ELi8ELi32ELi8ELi8ELi32ELc78ELc67EKS2_S3_S2_EEvlllT_PT11_llS6_llS4_PT12_llPT13_lli: ; @_ZN12_GLOBAL__N_135rocblas_gemm_batched_general_kernelI19rocblas_complex_numIdELi16ELi16ELi32ELi32ELi8ELi32ELi8ELi8ELi32ELc78ELc67EKS2_S3_S2_EEvlllT_PT11_llS6_llS4_PT12_llPT13_lli
; %bb.0:
	s_load_b32 s33, s[0:1], 0x98
	s_lshr_b32 s6, ttmp7, 16
	s_wait_kmcnt 0x0
	s_cmp_ge_i32 s6, s33
	s_cbranch_scc1 .LBB143_37
; %bb.1:
	s_clause 0x3
	s_load_b512 s[8:23], s[0:1], 0x40
	s_load_b512 s[36:51], s[0:1], 0x0
	s_load_b64 s[28:29], s[0:1], 0x90
	s_load_b128 s[24:27], s[0:1], 0x80
	v_bfe_u32 v2, v0, 10, 10
	v_dual_mov_b32 v1, 0 :: v_dual_and_b32 v6, 0x3ff, v0
	s_and_b32 s5, ttmp7, 0xffff
	s_mov_b32 s30, ttmp9
	s_ashr_i32 s31, ttmp9, 31
	s_lshl_b32 s2, s5, 5
	v_lshl_add_u32 v8, v2, 4, v6
	s_lshl_b64 s[0:1], s[30:31], 5
	v_add_co_u32 v4, s34, s2, v2
	v_dual_mov_b32 v3, s1 :: v_dual_and_b32 v0, 7, v0
	s_delay_alu instid0(VALU_DEP_3)
	v_and_b32_e32 v9, 31, v8
	v_lshlrev_b32_e32 v34, 4, v6
	v_add_co_ci_u32_e64 v5, null, 0, 0, s34
	s_wait_kmcnt 0x0
	v_cmp_eq_f64_e64 s3, s[14:15], 0
	v_cmp_eq_f64_e64 s4, s[16:17], 0
	v_add_co_u32 v6, s34, s0, v6
	v_lshrrev_b32_e32 v17, 3, v8
	v_lshl_add_u32 v35, v2, 7, 0x1000
	s_wait_alu 0xf1ff
	v_add_co_ci_u32_e64 v7, null, s1, 0, s34
	v_or_b32_e32 v2, s0, v9
	v_lshlrev_b32_e32 v14, 4, v0
	v_add_co_u32 v10, vcc_lo, v6, 16
	v_add_co_u32 v12, s0, v17, s2
	v_lshrrev_b32_e32 v36, 5, v8
	v_lshlrev_b32_e32 v18, 4, v9
	v_mad_co_u64_u32 v[8:9], null, v4, s26, 0
	v_add_co_ci_u32_e64 v11, null, 0, v7, vcc_lo
	s_wait_alu 0xf1ff
	v_add_co_ci_u32_e64 v13, null, 0, 0, s0
	v_cmp_gt_i64_e32 vcc_lo, s[36:37], v[2:3]
	v_mad_co_u64_u32 v[2:3], null, s10, v0, 0
	v_lshl_or_b32 v14, v17, 7, v14
	s_delay_alu instid0(VALU_DEP_4) | instskip(SKIP_2) | instid1(VALU_DEP_4)
	v_cmp_gt_i64_e64 s0, s[38:39], v[12:13]
	v_mad_co_u64_u32 v[12:13], null, v4, s20, 0
	v_cmp_gt_i64_e64 s1, s[38:39], v[4:5]
	v_add_nc_u32_e32 v38, 0x1000, v14
	v_mad_co_u64_u32 v[14:15], null, v4, s27, v[9:10]
	v_mad_co_u64_u32 v[15:16], null, s11, v0, v[3:4]
	s_lshl_b32 s5, s5, 9
	v_cmp_gt_i64_e64 s2, s[36:37], v[6:7]
	s_mov_b32 s7, 0
	s_lshl_b64 s[26:27], s[26:27], 4
	s_and_b32 s34, s3, s4
	v_cmp_gt_i64_e64 s3, s[36:37], v[10:11]
	v_dual_mov_b32 v10, v13 :: v_dual_mov_b32 v3, v15
	v_mov_b32_e32 v9, v14
	v_mad_co_u64_u32 v[14:15], null, s48, v36, 0
	s_delay_alu instid0(VALU_DEP_3) | instskip(NEXT) | instid1(VALU_DEP_4)
	v_mad_co_u64_u32 v[10:11], null, v4, s21, v[10:11]
	v_lshlrev_b64_e32 v[2:3], 4, v[2:3]
	v_add_co_u32 v4, s4, v4, 16
	s_delay_alu instid0(VALU_DEP_1) | instskip(SKIP_4) | instid1(VALU_DEP_3)
	v_add_co_ci_u32_e64 v5, null, 0, v5, s4
	s_lshl_b64 s[20:21], s[20:21], 4
	v_dual_mov_b32 v13, v10 :: v_dual_mov_b32 v10, v15
	v_add_co_u32 v11, s5, v2, s5
	v_cmp_gt_i64_e64 s4, s[38:39], v[4:5]
	v_lshlrev_b64_e32 v[4:5], 4, v[12:13]
	s_wait_alu 0xf1ff
	v_add_co_ci_u32_e64 v12, null, 0, v3, s5
	v_lshlrev_b32_e32 v13, 4, v17
	v_mad_co_u64_u32 v[2:3], null, s49, v36, v[10:11]
	s_delay_alu instid0(VALU_DEP_4) | instskip(SKIP_3) | instid1(VALU_DEP_4)
	v_add_co_u32 v39, s5, s18, v4
	s_wait_alu 0xf1ff
	v_add_co_ci_u32_e64 v40, null, s19, v5, s5
	v_add_co_u32 v3, s5, v11, v13
	v_mov_b32_e32 v15, v2
	s_wait_alu 0xf1ff
	v_add_co_ci_u32_e64 v4, null, 0, v12, s5
	s_delay_alu instid0(VALU_DEP_3) | instskip(NEXT) | instid1(VALU_DEP_3)
	v_add_co_u32 v5, s5, s8, v3
	v_lshlrev_b64_e32 v[2:3], 4, v[14:15]
	s_wait_alu 0xf1ff
	s_delay_alu instid0(VALU_DEP_3) | instskip(NEXT) | instid1(VALU_DEP_3)
	v_add_co_ci_u32_e64 v4, null, s9, v4, s5
	v_add_co_u32 v10, s5, v5, 8
	s_lshl_b64 s[8:9], s[30:31], 9
	s_wait_alu 0xf1ff
	v_add_co_ci_u32_e64 v11, null, 0, v4, s5
	s_wait_alu 0xfffe
	v_add_co_u32 v2, s5, v2, s8
	s_wait_alu 0xf1ff
	v_add_co_ci_u32_e64 v3, null, s9, v3, s5
	v_lshl_or_b32 v37, v36, 9, v18
	s_delay_alu instid0(VALU_DEP_3) | instskip(SKIP_1) | instid1(VALU_DEP_3)
	v_add_co_u32 v2, s5, v2, v18
	s_wait_alu 0xf1ff
	v_add_co_ci_u32_e64 v3, null, 0, v3, s5
	s_lshl_b64 s[8:9], s[12:13], 4
	v_add_co_u32 v12, s5, s46, v2
	s_wait_alu 0xf1ff
	v_add_co_ci_u32_e64 v13, null, s47, v3, s5
	v_cmp_gt_i64_e64 s5, s[40:41], 0
	s_lshl_b64 s[10:11], s[10:11], 7
	s_lshl_b64 s[12:13], s[50:51], 4
	;; [unrolled: 1-line block ×3, first 2 shown]
	s_xor_b32 s35, vcc_lo, -1
	s_lshl_b64 s[20:21], s[20:21], 4
	s_branch .LBB143_4
.LBB143_2:                              ;   in Loop: Header=BB143_4 Depth=1
	s_wait_alu 0xfffe
	s_or_b32 exec_lo, exec_lo, s36
.LBB143_3:                              ;   in Loop: Header=BB143_4 Depth=1
	s_add_co_i32 s6, s6, 0x10000
	s_wait_alu 0xfffe
	s_cmp_lt_i32 s6, s33
	s_cbranch_scc0 .LBB143_37
.LBB143_4:                              ; =>This Loop Header: Depth=1
                                        ;     Child Loop BB143_7 Depth 2
	s_and_not1_b32 vcc_lo, exec_lo, s5
	s_wait_alu 0xfffe
	s_cbranch_vccnz .LBB143_13
; %bb.5:                                ;   in Loop: Header=BB143_4 Depth=1
	v_mad_co_u64_u32 v[14:15], null, s8, s6, v[10:11]
	v_mad_co_u64_u32 v[16:17], null, s12, s6, v[12:13]
	v_mov_b32_e32 v20, 0
	v_mov_b32_e32 v18, 0
	;; [unrolled: 1-line block ×4, first 2 shown]
	v_dual_mov_b32 v2, v15 :: v_dual_mov_b32 v21, 0
	v_mov_b32_e32 v3, v17
	v_dual_mov_b32 v19, 0 :: v_dual_mov_b32 v24, 0
	v_dual_mov_b32 v23, 0 :: v_dual_mov_b32 v28, 0
	s_delay_alu instid0(VALU_DEP_3)
	v_mad_co_u64_u32 v[4:5], null, s9, s6, v[2:3]
	v_dual_mov_b32 v27, 0 :: v_dual_mov_b32 v32, 0
	v_dual_mov_b32 v30, 0 :: v_dual_mov_b32 v25, 0
	v_mov_b32_e32 v29, 0
	v_mov_b32_e32 v33, 0
	v_mad_co_u64_u32 v[2:3], null, s13, s6, v[3:4]
	v_mov_b32_e32 v31, 0
	v_mov_b32_e32 v15, v4
	s_mov_b64 s[30:31], 0
	s_delay_alu instid0(VALU_DEP_3)
	v_mov_b32_e32 v17, v2
	s_branch .LBB143_7
.LBB143_6:                              ;   in Loop: Header=BB143_7 Depth=2
	s_wait_alu 0xfffe
	s_or_b32 exec_lo, exec_lo, s36
	ds_store_b128 v38, v[2:5]
	s_wait_dscnt 0x0
	s_barrier_signal -1
	s_barrier_wait -1
	global_inv scope:SCOPE_SE
	ds_load_b128 v[2:5], v35
	ds_load_b128 v[41:44], v34
	ds_load_b128 v[45:48], v34 offset:256
	ds_load_b128 v[49:52], v35 offset:2048
	;; [unrolled: 1-line block ×10, first 2 shown]
	s_add_nc_u64 s[30:31], s[30:31], 8
	v_add_co_u32 v14, vcc_lo, v14, s10
	s_wait_alu 0xfffe
	v_cmp_lt_i64_e64 s36, s[30:31], s[40:41]
	s_wait_alu 0xfffd
	v_add_co_ci_u32_e64 v15, null, s11, v15, vcc_lo
	v_add_co_u32 v16, vcc_lo, v16, s18
	s_wait_alu 0xfffd
	v_add_co_ci_u32_e64 v17, null, s19, v17, vcc_lo
	s_and_b32 vcc_lo, exec_lo, s36
	s_wait_dscnt 0xa
	v_mul_f64_e32 v[85:86], v[4:5], v[43:44]
	v_mul_f64_e32 v[87:88], v[2:3], v[43:44]
	s_wait_dscnt 0x9
	v_mul_f64_e32 v[89:90], v[4:5], v[47:48]
	v_mul_f64_e32 v[91:92], v[2:3], v[47:48]
	;; [unrolled: 3-line block ×3, first 2 shown]
	v_mul_f64_e32 v[95:96], v[51:52], v[47:48]
	v_mul_f64_e32 v[47:48], v[49:50], v[47:48]
	s_wait_dscnt 0x5
	v_mul_f64_e32 v[97:98], v[55:56], v[63:64]
	v_mul_f64_e32 v[99:100], v[53:54], v[63:64]
	s_wait_dscnt 0x4
	v_mul_f64_e32 v[101:102], v[55:56], v[67:68]
	v_mul_f64_e32 v[103:104], v[53:54], v[67:68]
	;; [unrolled: 1-line block ×6, first 2 shown]
	s_wait_dscnt 0x2
	v_mul_f64_e32 v[113:114], v[71:72], v[75:76]
	v_mul_f64_e32 v[115:116], v[69:70], v[75:76]
	s_wait_dscnt 0x1
	v_mul_f64_e32 v[117:118], v[71:72], v[79:80]
	v_mul_f64_e32 v[119:120], v[69:70], v[79:80]
	;; [unrolled: 3-line block ×3, first 2 shown]
	v_mul_f64_e32 v[123:124], v[83:84], v[79:80]
	v_mul_f64_e32 v[79:80], v[81:82], v[79:80]
	v_fma_f64 v[85:86], v[2:3], v[41:42], -v[85:86]
	v_fma_f64 v[87:88], v[4:5], v[41:42], v[87:88]
	v_fma_f64 v[89:90], v[2:3], v[45:46], -v[89:90]
	v_fma_f64 v[91:92], v[4:5], v[45:46], v[91:92]
	;; [unrolled: 2-line block ×8, first 2 shown]
	ds_load_b128 v[2:5], v35 offset:48
	ds_load_b128 v[41:44], v35 offset:2096
	;; [unrolled: 1-line block ×4, first 2 shown]
	v_fma_f64 v[113:114], v[69:70], v[73:74], -v[113:114]
	v_fma_f64 v[115:116], v[71:72], v[73:74], v[115:116]
	v_fma_f64 v[69:70], v[69:70], v[77:78], -v[117:118]
	v_fma_f64 v[71:72], v[71:72], v[77:78], v[119:120]
	;; [unrolled: 2-line block ×4, first 2 shown]
	s_wait_dscnt 0x1
	v_mul_f64_e32 v[103:104], v[2:3], v[47:48]
	s_wait_dscnt 0x0
	v_mul_f64_e32 v[105:106], v[4:5], v[51:52]
	v_mul_f64_e32 v[107:108], v[2:3], v[51:52]
	v_add_f64_e32 v[63:64], v[30:31], v[85:86]
	v_add_f64_e32 v[65:66], v[87:88], v[32:33]
	;; [unrolled: 1-line block ×8, first 2 shown]
	v_mul_f64_e32 v[95:96], v[4:5], v[47:48]
	v_mul_f64_e32 v[109:110], v[43:44], v[47:48]
	;; [unrolled: 1-line block ×5, first 2 shown]
	ds_load_b128 v[18:21], v35 offset:64
	ds_load_b128 v[22:25], v34 offset:2048
	;; [unrolled: 1-line block ×4, first 2 shown]
	s_wait_dscnt 0x0
	v_mul_f64_e32 v[119:120], v[32:33], v[24:25]
	v_mul_f64_e32 v[121:122], v[32:33], v[28:29]
	v_fma_f64 v[103:104], v[4:5], v[45:46], v[103:104]
	v_fma_f64 v[105:106], v[2:3], v[49:50], -v[105:106]
	v_fma_f64 v[107:108], v[4:5], v[49:50], v[107:108]
	v_add_f64_e32 v[79:80], v[63:64], v[97:98]
	v_add_f64_e32 v[81:82], v[99:100], v[65:66]
	;; [unrolled: 1-line block ×8, first 2 shown]
	v_mul_f64_e32 v[93:94], v[20:21], v[24:25]
	v_mul_f64_e32 v[97:98], v[18:19], v[24:25]
	;; [unrolled: 1-line block ×6, first 2 shown]
	v_fma_f64 v[95:96], v[2:3], v[45:46], -v[95:96]
	v_fma_f64 v[109:110], v[41:42], v[45:46], -v[109:110]
	v_fma_f64 v[123:124], v[43:44], v[45:46], v[47:48]
	v_fma_f64 v[111:112], v[41:42], v[49:50], -v[111:112]
	v_fma_f64 v[49:50], v[43:44], v[49:50], v[125:126]
	ds_load_b128 v[51:54], v35 offset:80
	ds_load_b128 v[55:58], v35 offset:2128
	;; [unrolled: 1-line block ×4, first 2 shown]
	v_fma_f64 v[119:120], v[30:31], v[22:23], -v[119:120]
	v_fma_f64 v[121:122], v[30:31], v[26:27], -v[121:122]
	v_add_f64_e32 v[79:80], v[79:80], v[113:114]
	v_add_f64_e32 v[81:82], v[115:116], v[81:82]
	;; [unrolled: 1-line block ×8, first 2 shown]
	s_wait_dscnt 0x1
	v_mul_f64_e32 v[85:86], v[53:54], v[61:62]
	v_mul_f64_e32 v[87:88], v[51:52], v[61:62]
	s_wait_dscnt 0x0
	v_mul_f64_e32 v[89:90], v[53:54], v[65:66]
	v_mul_f64_e32 v[91:92], v[51:52], v[65:66]
	;; [unrolled: 1-line block ×6, first 2 shown]
	v_fma_f64 v[93:94], v[18:19], v[22:23], -v[93:94]
	v_fma_f64 v[97:98], v[20:21], v[22:23], v[97:98]
	v_fma_f64 v[99:100], v[18:19], v[26:27], -v[99:100]
	v_fma_f64 v[101:102], v[20:21], v[26:27], v[101:102]
	v_fma_f64 v[125:126], v[32:33], v[22:23], v[24:25]
	;; [unrolled: 1-line block ×3, first 2 shown]
	ds_load_b128 v[2:5], v35 offset:96
	ds_load_b128 v[41:44], v34 offset:3072
	;; [unrolled: 1-line block ×8, first 2 shown]
	s_wait_loadcnt_dscnt 0x0
	s_barrier_signal -1
	s_barrier_wait -1
	global_inv scope:SCOPE_SE
	v_add_f64_e32 v[79:80], v[79:80], v[95:96]
	v_add_f64_e32 v[81:82], v[103:104], v[81:82]
	;; [unrolled: 1-line block ×8, first 2 shown]
	v_mul_f64_e32 v[77:78], v[4:5], v[43:44]
	v_mul_f64_e32 v[103:104], v[2:3], v[43:44]
	;; [unrolled: 1-line block ×8, first 2 shown]
	v_fma_f64 v[85:86], v[51:52], v[59:60], -v[85:86]
	v_fma_f64 v[87:88], v[53:54], v[59:60], v[87:88]
	v_fma_f64 v[51:52], v[51:52], v[63:64], -v[89:90]
	v_fma_f64 v[53:54], v[53:54], v[63:64], v[91:92]
	;; [unrolled: 2-line block ×4, first 2 shown]
	v_mul_f64_e32 v[91:92], v[20:21], v[32:33]
	v_add_f64_e32 v[61:62], v[79:80], v[93:94]
	v_add_f64_e32 v[63:64], v[97:98], v[81:82]
	;; [unrolled: 1-line block ×8, first 2 shown]
	v_mul_f64_e32 v[81:82], v[20:21], v[28:29]
	v_mul_f64_e32 v[83:84], v[18:19], v[28:29]
	v_mul_f64_e32 v[93:94], v[18:19], v[32:33]
	v_mul_f64_e32 v[95:96], v[24:25], v[28:29]
	v_mul_f64_e32 v[28:29], v[22:23], v[28:29]
	v_mul_f64_e32 v[97:98], v[24:25], v[32:33]
	v_mul_f64_e32 v[32:33], v[22:23], v[32:33]
	v_fma_f64 v[77:78], v[2:3], v[41:42], -v[77:78]
	v_fma_f64 v[99:100], v[4:5], v[41:42], v[103:104]
	v_fma_f64 v[2:3], v[2:3], v[45:46], -v[105:106]
	v_fma_f64 v[4:5], v[4:5], v[45:46], v[107:108]
	;; [unrolled: 2-line block ×4, first 2 shown]
	v_add_f64_e32 v[47:48], v[61:62], v[85:86]
	v_add_f64_e32 v[61:62], v[87:88], v[63:64]
	v_add_f64_e32 v[51:52], v[65:66], v[51:52]
	v_add_f64_e32 v[53:54], v[53:54], v[71:72]
	v_add_f64_e32 v[63:64], v[79:80], v[89:90]
	v_add_f64_e32 v[59:60], v[59:60], v[73:74]
	v_add_f64_e32 v[55:56], v[75:76], v[55:56]
	v_add_f64_e32 v[49:50], v[57:58], v[49:50]
	v_fma_f64 v[57:58], v[18:19], v[26:27], -v[81:82]
	v_fma_f64 v[65:66], v[20:21], v[26:27], v[83:84]
	v_fma_f64 v[18:19], v[18:19], v[30:31], -v[91:92]
	v_fma_f64 v[20:21], v[20:21], v[30:31], v[93:94]
	;; [unrolled: 2-line block ×4, first 2 shown]
	v_add_f64_e32 v[22:23], v[47:48], v[77:78]
	v_add_f64_e32 v[24:25], v[99:100], v[61:62]
	v_add_f64_e32 v[2:3], v[51:52], v[2:3]
	v_add_f64_e32 v[4:5], v[4:5], v[53:54]
	v_add_f64_e32 v[47:48], v[63:64], v[101:102]
	v_add_f64_e32 v[41:42], v[41:42], v[59:60]
	v_add_f64_e32 v[43:44], v[55:56], v[43:44]
	v_add_f64_e32 v[45:46], v[45:46], v[49:50]
	v_add_f64_e32 v[30:31], v[22:23], v[57:58]
	v_add_f64_e32 v[32:33], v[65:66], v[24:25]
	v_add_f64_e32 v[26:27], v[2:3], v[18:19]
	v_add_f64_e32 v[28:29], v[20:21], v[4:5]
	v_add_f64_e32 v[22:23], v[47:48], v[67:68]
	v_add_f64_e32 v[24:25], v[69:70], v[41:42]
	v_add_f64_e32 v[18:19], v[43:44], v[71:72]
	v_add_f64_e32 v[20:21], v[73:74], v[45:46]
	s_wait_alu 0xfffe
	s_cbranch_vccz .LBB143_14
.LBB143_7:                              ;   Parent Loop BB143_4 Depth=1
                                        ; =>  This Inner Loop Header: Depth=2
	s_wait_alu 0xfffe
	v_add_co_u32 v2, s36, v36, s30
	s_wait_alu 0xf1ff
	v_add_co_ci_u32_e64 v3, null, 0, s31, s36
	s_delay_alu instid0(VALU_DEP_1)
	v_cmp_le_i64_e32 vcc_lo, s[40:41], v[2:3]
	s_or_b32 s36, s35, vcc_lo
	s_wait_alu 0xfffe
	s_and_saveexec_b32 s37, s36
	s_wait_alu 0xfffe
	s_xor_b32 s36, exec_lo, s37
; %bb.8:                                ;   in Loop: Header=BB143_7 Depth=2
	v_dual_mov_b32 v2, v1 :: v_dual_mov_b32 v3, v1
	v_mov_b32_e32 v4, v1
	ds_store_b128 v37, v[1:4]
; %bb.9:                                ;   in Loop: Header=BB143_7 Depth=2
	s_wait_alu 0xfffe
	s_and_not1_saveexec_b32 s36, s36
	s_cbranch_execz .LBB143_11
; %bb.10:                               ;   in Loop: Header=BB143_7 Depth=2
	global_load_b128 v[2:5], v[16:17], off
	s_wait_loadcnt 0x0
	ds_store_2addr_b64 v37, v[2:3], v[4:5] offset1:1
.LBB143_11:                             ;   in Loop: Header=BB143_7 Depth=2
	s_wait_alu 0xfffe
	s_or_b32 exec_lo, exec_lo, s36
	v_add_co_u32 v2, s36, v0, s30
	s_wait_alu 0xf1ff
	v_add_co_ci_u32_e64 v3, null, 0, s31, s36
	v_mov_b32_e32 v4, 0
	v_mov_b32_e32 v5, 0
	s_delay_alu instid0(VALU_DEP_3)
	v_cmp_gt_i64_e32 vcc_lo, s[40:41], v[2:3]
	v_mov_b32_e32 v2, 0
	v_mov_b32_e32 v3, 0
	s_and_b32 s37, vcc_lo, s0
	s_wait_alu 0xfffe
	s_and_saveexec_b32 s36, s37
	s_cbranch_execz .LBB143_6
; %bb.12:                               ;   in Loop: Header=BB143_7 Depth=2
	global_load_b128 v[2:5], v[14:15], off offset:-8
	s_wait_loadcnt 0x0
	v_xor_b32_e32 v5, 0x80000000, v5
	s_branch .LBB143_6
.LBB143_13:                             ;   in Loop: Header=BB143_4 Depth=1
	v_mov_b32_e32 v30, 0
	v_mov_b32_e32 v26, 0
	;; [unrolled: 1-line block ×3, first 2 shown]
	v_dual_mov_b32 v18, 0 :: v_dual_mov_b32 v31, 0
	v_dual_mov_b32 v32, 0 :: v_dual_mov_b32 v27, 0
	;; [unrolled: 1-line block ×5, first 2 shown]
	v_mov_b32_e32 v29, 0
	v_mov_b32_e32 v25, 0
	;; [unrolled: 1-line block ×3, first 2 shown]
.LBB143_14:                             ;   in Loop: Header=BB143_4 Depth=1
	s_mul_u64 s[30:31], s[28:29], s[6:7]
	s_and_not1_b32 vcc_lo, exec_lo, s34
	s_wait_alu 0xfffe
	s_lshl_b64 s[30:31], s[30:31], 4
	s_mov_b32 s36, -1
	s_wait_alu 0xfffe
	s_add_nc_u64 s[30:31], s[24:25], s[30:31]
	s_cbranch_vccz .LBB143_16
; %bb.15:                               ;   in Loop: Header=BB143_4 Depth=1
	s_and_not1_b32 vcc_lo, exec_lo, s36
	s_wait_alu 0xfffe
	s_cbranch_vccnz .LBB143_3
	s_branch .LBB143_27
.LBB143_16:                             ;   in Loop: Header=BB143_4 Depth=1
	s_and_saveexec_b32 s36, s1
	s_cbranch_execz .LBB143_26
; %bb.17:                               ;   in Loop: Header=BB143_4 Depth=1
	v_lshlrev_b64_e32 v[2:3], 4, v[8:9]
	s_wait_alu 0xfffe
	s_delay_alu instid0(VALU_DEP_1) | instskip(SKIP_1) | instid1(VALU_DEP_2)
	v_add_co_u32 v2, vcc_lo, s30, v2
	s_wait_alu 0xfffd
	v_add_co_ci_u32_e64 v3, null, s31, v3, vcc_lo
	s_and_saveexec_b32 s37, s2
	s_cbranch_execnz .LBB143_20
; %bb.18:                               ;   in Loop: Header=BB143_4 Depth=1
	s_wait_alu 0xfffe
	s_or_b32 exec_lo, exec_lo, s37
	s_and_saveexec_b32 s37, s3
	s_cbranch_execnz .LBB143_21
.LBB143_19:                             ;   in Loop: Header=BB143_4 Depth=1
	s_wait_alu 0xfffe
	s_or_b32 exec_lo, exec_lo, s37
	s_delay_alu instid0(SALU_CYCLE_1)
	s_and_b32 exec_lo, exec_lo, s4
	s_cbranch_execnz .LBB143_22
	s_branch .LBB143_26
.LBB143_20:                             ;   in Loop: Header=BB143_4 Depth=1
	v_mul_f64_e32 v[4:5], s[44:45], v[32:33]
	v_mul_f64_e32 v[16:17], s[42:43], v[32:33]
	s_delay_alu instid0(VALU_DEP_2) | instskip(NEXT) | instid1(VALU_DEP_2)
	v_fma_f64 v[14:15], s[42:43], v[30:31], -v[4:5]
	v_fma_f64 v[16:17], s[44:45], v[30:31], v[16:17]
	v_lshlrev_b64_e32 v[4:5], 4, v[6:7]
	s_delay_alu instid0(VALU_DEP_1) | instskip(SKIP_1) | instid1(VALU_DEP_2)
	v_add_co_u32 v4, vcc_lo, v2, v4
	s_wait_alu 0xfffd
	v_add_co_ci_u32_e64 v5, null, v3, v5, vcc_lo
	global_store_b128 v[4:5], v[14:17], off
	s_wait_alu 0xfffe
	s_or_b32 exec_lo, exec_lo, s37
	s_and_saveexec_b32 s37, s3
	s_cbranch_execz .LBB143_19
.LBB143_21:                             ;   in Loop: Header=BB143_4 Depth=1
	v_mul_f64_e32 v[4:5], s[44:45], v[28:29]
	v_mul_f64_e32 v[16:17], s[42:43], v[28:29]
	s_delay_alu instid0(VALU_DEP_2) | instskip(NEXT) | instid1(VALU_DEP_2)
	v_fma_f64 v[14:15], s[42:43], v[26:27], -v[4:5]
	v_fma_f64 v[16:17], s[44:45], v[26:27], v[16:17]
	v_lshlrev_b64_e32 v[4:5], 4, v[6:7]
	s_delay_alu instid0(VALU_DEP_1) | instskip(SKIP_1) | instid1(VALU_DEP_2)
	v_add_co_u32 v4, vcc_lo, v2, v4
	s_wait_alu 0xfffd
	v_add_co_ci_u32_e64 v5, null, v3, v5, vcc_lo
	global_store_b128 v[4:5], v[14:17], off offset:256
	s_wait_alu 0xfffe
	s_or_b32 exec_lo, exec_lo, s37
	s_delay_alu instid0(SALU_CYCLE_1)
	s_and_b32 exec_lo, exec_lo, s4
	s_cbranch_execz .LBB143_26
.LBB143_22:                             ;   in Loop: Header=BB143_4 Depth=1
	s_lshl_b64 s[38:39], s[26:27], 4
	v_lshlrev_b64_e32 v[4:5], 4, v[6:7]
	s_wait_alu 0xfffe
	v_add_co_u32 v2, vcc_lo, v2, s38
	s_wait_alu 0xfffd
	v_add_co_ci_u32_e64 v3, null, s39, v3, vcc_lo
	s_delay_alu instid0(VALU_DEP_2) | instskip(SKIP_1) | instid1(VALU_DEP_2)
	v_add_co_u32 v2, vcc_lo, v2, v4
	s_wait_alu 0xfffd
	v_add_co_ci_u32_e64 v3, null, v3, v5, vcc_lo
	s_and_saveexec_b32 s37, s2
	s_cbranch_execz .LBB143_24
; %bb.23:                               ;   in Loop: Header=BB143_4 Depth=1
	v_mul_f64_e32 v[4:5], s[44:45], v[24:25]
	v_mul_f64_e32 v[16:17], s[42:43], v[24:25]
	s_delay_alu instid0(VALU_DEP_2) | instskip(NEXT) | instid1(VALU_DEP_2)
	v_fma_f64 v[14:15], s[42:43], v[22:23], -v[4:5]
	v_fma_f64 v[16:17], s[44:45], v[22:23], v[16:17]
	global_store_b128 v[2:3], v[14:17], off
.LBB143_24:                             ;   in Loop: Header=BB143_4 Depth=1
	s_wait_alu 0xfffe
	s_or_b32 exec_lo, exec_lo, s37
	s_delay_alu instid0(SALU_CYCLE_1)
	s_and_b32 exec_lo, exec_lo, s3
	s_cbranch_execz .LBB143_26
; %bb.25:                               ;   in Loop: Header=BB143_4 Depth=1
	v_mul_f64_e32 v[4:5], s[44:45], v[20:21]
	v_mul_f64_e32 v[16:17], s[42:43], v[20:21]
	s_delay_alu instid0(VALU_DEP_2) | instskip(NEXT) | instid1(VALU_DEP_2)
	v_fma_f64 v[14:15], s[42:43], v[18:19], -v[4:5]
	v_fma_f64 v[16:17], s[44:45], v[18:19], v[16:17]
	global_store_b128 v[2:3], v[14:17], off offset:256
.LBB143_26:                             ;   in Loop: Header=BB143_4 Depth=1
	s_wait_alu 0xfffe
	s_or_b32 exec_lo, exec_lo, s36
	s_cbranch_execnz .LBB143_3
.LBB143_27:                             ;   in Loop: Header=BB143_4 Depth=1
	s_and_saveexec_b32 s36, s1
	s_cbranch_execz .LBB143_2
; %bb.28:                               ;   in Loop: Header=BB143_4 Depth=1
	s_mul_u64 s[38:39], s[22:23], s[6:7]
	v_lshlrev_b64_e32 v[14:15], 4, v[8:9]
	s_wait_alu 0xfffe
	s_lshl_b64 s[38:39], s[38:39], 4
	v_lshlrev_b64_e32 v[2:3], 4, v[6:7]
	s_wait_alu 0xfffe
	v_add_co_u32 v4, vcc_lo, v39, s38
	s_wait_alu 0xfffd
	v_add_co_ci_u32_e64 v5, null, s39, v40, vcc_lo
	v_add_co_u32 v14, vcc_lo, s30, v14
	s_wait_alu 0xfffd
	v_add_co_ci_u32_e64 v15, null, s31, v15, vcc_lo
	s_and_saveexec_b32 s30, s2
	s_cbranch_execnz .LBB143_31
; %bb.29:                               ;   in Loop: Header=BB143_4 Depth=1
	s_wait_alu 0xfffe
	s_or_b32 exec_lo, exec_lo, s30
	s_and_saveexec_b32 s30, s3
	s_cbranch_execnz .LBB143_32
.LBB143_30:                             ;   in Loop: Header=BB143_4 Depth=1
	s_wait_alu 0xfffe
	s_or_b32 exec_lo, exec_lo, s30
	s_delay_alu instid0(SALU_CYCLE_1)
	s_and_b32 exec_lo, exec_lo, s4
	s_cbranch_execz .LBB143_2
	s_branch .LBB143_33
.LBB143_31:                             ;   in Loop: Header=BB143_4 Depth=1
	v_add_co_u32 v16, vcc_lo, v4, v2
	s_wait_alu 0xfffd
	v_add_co_ci_u32_e64 v17, null, v5, v3, vcc_lo
	global_load_b128 v[41:44], v[16:17], off
	v_mul_f64_e32 v[16:17], s[44:45], v[32:33]
	v_mul_f64_e32 v[32:33], s[42:43], v[32:33]
	s_delay_alu instid0(VALU_DEP_2) | instskip(NEXT) | instid1(VALU_DEP_2)
	v_fma_f64 v[16:17], s[42:43], v[30:31], -v[16:17]
	v_fma_f64 v[32:33], s[44:45], v[30:31], v[32:33]
	s_wait_loadcnt 0x0
	v_mul_f64_e32 v[45:46], s[16:17], v[43:44]
	v_mul_f64_e32 v[43:44], s[14:15], v[43:44]
	s_delay_alu instid0(VALU_DEP_2) | instskip(NEXT) | instid1(VALU_DEP_2)
	v_fma_f64 v[30:31], s[14:15], v[41:42], -v[45:46]
	v_fma_f64 v[41:42], s[16:17], v[41:42], v[43:44]
	s_delay_alu instid0(VALU_DEP_2) | instskip(NEXT) | instid1(VALU_DEP_2)
	v_add_f64_e32 v[30:31], v[16:17], v[30:31]
	v_add_f64_e32 v[32:33], v[32:33], v[41:42]
	v_add_co_u32 v16, vcc_lo, v14, v2
	s_wait_alu 0xfffd
	v_add_co_ci_u32_e64 v17, null, v15, v3, vcc_lo
	global_store_b128 v[16:17], v[30:33], off
	s_wait_alu 0xfffe
	s_or_b32 exec_lo, exec_lo, s30
	s_and_saveexec_b32 s30, s3
	s_cbranch_execz .LBB143_30
.LBB143_32:                             ;   in Loop: Header=BB143_4 Depth=1
	v_add_co_u32 v16, vcc_lo, v4, v2
	s_wait_alu 0xfffd
	v_add_co_ci_u32_e64 v17, null, v5, v3, vcc_lo
	global_load_b128 v[30:33], v[16:17], off offset:256
	v_mul_f64_e32 v[16:17], s[44:45], v[28:29]
	v_mul_f64_e32 v[28:29], s[42:43], v[28:29]
	s_delay_alu instid0(VALU_DEP_2) | instskip(NEXT) | instid1(VALU_DEP_2)
	v_fma_f64 v[16:17], s[42:43], v[26:27], -v[16:17]
	v_fma_f64 v[28:29], s[44:45], v[26:27], v[28:29]
	s_wait_loadcnt 0x0
	v_mul_f64_e32 v[41:42], s[16:17], v[32:33]
	v_mul_f64_e32 v[32:33], s[14:15], v[32:33]
	s_delay_alu instid0(VALU_DEP_2) | instskip(NEXT) | instid1(VALU_DEP_2)
	v_fma_f64 v[26:27], s[14:15], v[30:31], -v[41:42]
	v_fma_f64 v[30:31], s[16:17], v[30:31], v[32:33]
	s_delay_alu instid0(VALU_DEP_2) | instskip(NEXT) | instid1(VALU_DEP_2)
	v_add_f64_e32 v[26:27], v[16:17], v[26:27]
	v_add_f64_e32 v[28:29], v[28:29], v[30:31]
	v_add_co_u32 v16, vcc_lo, v14, v2
	s_wait_alu 0xfffd
	v_add_co_ci_u32_e64 v17, null, v15, v3, vcc_lo
	global_store_b128 v[16:17], v[26:29], off offset:256
	s_wait_alu 0xfffe
	s_or_b32 exec_lo, exec_lo, s30
	s_delay_alu instid0(SALU_CYCLE_1)
	s_and_b32 exec_lo, exec_lo, s4
	s_cbranch_execz .LBB143_2
.LBB143_33:                             ;   in Loop: Header=BB143_4 Depth=1
	v_add_co_u32 v4, vcc_lo, v4, s20
	s_lshl_b64 s[30:31], s[26:27], 4
	s_wait_alu 0xfffd
	v_add_co_ci_u32_e64 v5, null, s21, v5, vcc_lo
	s_wait_alu 0xfffe
	v_add_co_u32 v14, vcc_lo, v14, s30
	s_wait_alu 0xfffd
	v_add_co_ci_u32_e64 v15, null, s31, v15, vcc_lo
	v_add_co_u32 v4, vcc_lo, v4, v2
	s_wait_alu 0xfffd
	v_add_co_ci_u32_e64 v5, null, v5, v3, vcc_lo
	;; [unrolled: 3-line block ×3, first 2 shown]
	s_and_saveexec_b32 s30, s2
	s_cbranch_execz .LBB143_35
; %bb.34:                               ;   in Loop: Header=BB143_4 Depth=1
	global_load_b128 v[14:17], v[4:5], off
	v_mul_f64_e32 v[26:27], s[44:45], v[24:25]
	v_mul_f64_e32 v[24:25], s[42:43], v[24:25]
	s_delay_alu instid0(VALU_DEP_2) | instskip(NEXT) | instid1(VALU_DEP_2)
	v_fma_f64 v[26:27], s[42:43], v[22:23], -v[26:27]
	v_fma_f64 v[22:23], s[44:45], v[22:23], v[24:25]
	s_wait_loadcnt 0x0
	v_mul_f64_e32 v[28:29], s[16:17], v[16:17]
	v_mul_f64_e32 v[16:17], s[14:15], v[16:17]
	s_delay_alu instid0(VALU_DEP_2) | instskip(NEXT) | instid1(VALU_DEP_2)
	v_fma_f64 v[24:25], s[14:15], v[14:15], -v[28:29]
	v_fma_f64 v[16:17], s[16:17], v[14:15], v[16:17]
	s_delay_alu instid0(VALU_DEP_2) | instskip(NEXT) | instid1(VALU_DEP_2)
	v_add_f64_e32 v[14:15], v[26:27], v[24:25]
	v_add_f64_e32 v[16:17], v[22:23], v[16:17]
	global_store_b128 v[2:3], v[14:17], off
.LBB143_35:                             ;   in Loop: Header=BB143_4 Depth=1
	s_wait_alu 0xfffe
	s_or_b32 exec_lo, exec_lo, s30
	s_delay_alu instid0(SALU_CYCLE_1)
	s_and_b32 exec_lo, exec_lo, s3
	s_cbranch_execz .LBB143_2
; %bb.36:                               ;   in Loop: Header=BB143_4 Depth=1
	global_load_b128 v[14:17], v[4:5], off offset:256
	v_mul_f64_e32 v[4:5], s[44:45], v[20:21]
	v_mul_f64_e32 v[20:21], s[42:43], v[20:21]
	s_delay_alu instid0(VALU_DEP_2) | instskip(NEXT) | instid1(VALU_DEP_2)
	v_fma_f64 v[4:5], s[42:43], v[18:19], -v[4:5]
	v_fma_f64 v[18:19], s[44:45], v[18:19], v[20:21]
	s_wait_loadcnt 0x0
	v_mul_f64_e32 v[22:23], s[16:17], v[16:17]
	v_mul_f64_e32 v[16:17], s[14:15], v[16:17]
	s_delay_alu instid0(VALU_DEP_2) | instskip(NEXT) | instid1(VALU_DEP_2)
	v_fma_f64 v[20:21], s[14:15], v[14:15], -v[22:23]
	v_fma_f64 v[16:17], s[16:17], v[14:15], v[16:17]
	s_delay_alu instid0(VALU_DEP_2) | instskip(NEXT) | instid1(VALU_DEP_2)
	v_add_f64_e32 v[14:15], v[4:5], v[20:21]
	v_add_f64_e32 v[16:17], v[18:19], v[16:17]
	global_store_b128 v[2:3], v[14:17], off offset:256
	s_branch .LBB143_2
.LBB143_37:
	s_nop 0
	s_sendmsg sendmsg(MSG_DEALLOC_VGPRS)
	s_endpgm
	.section	.rodata,"a",@progbits
	.p2align	6, 0x0
	.amdhsa_kernel _ZN12_GLOBAL__N_135rocblas_gemm_batched_general_kernelI19rocblas_complex_numIdELi16ELi16ELi32ELi32ELi8ELi32ELi8ELi8ELi32ELc78ELc67EKS2_S3_S2_EEvlllT_PT11_llS6_llS4_PT12_llPT13_lli
		.amdhsa_group_segment_fixed_size 8192
		.amdhsa_private_segment_fixed_size 0
		.amdhsa_kernarg_size 156
		.amdhsa_user_sgpr_count 2
		.amdhsa_user_sgpr_dispatch_ptr 0
		.amdhsa_user_sgpr_queue_ptr 0
		.amdhsa_user_sgpr_kernarg_segment_ptr 1
		.amdhsa_user_sgpr_dispatch_id 0
		.amdhsa_user_sgpr_private_segment_size 0
		.amdhsa_wavefront_size32 1
		.amdhsa_uses_dynamic_stack 0
		.amdhsa_enable_private_segment 0
		.amdhsa_system_sgpr_workgroup_id_x 1
		.amdhsa_system_sgpr_workgroup_id_y 1
		.amdhsa_system_sgpr_workgroup_id_z 1
		.amdhsa_system_sgpr_workgroup_info 0
		.amdhsa_system_vgpr_workitem_id 1
		.amdhsa_next_free_vgpr 129
		.amdhsa_next_free_sgpr 52
		.amdhsa_reserve_vcc 1
		.amdhsa_float_round_mode_32 0
		.amdhsa_float_round_mode_16_64 0
		.amdhsa_float_denorm_mode_32 3
		.amdhsa_float_denorm_mode_16_64 3
		.amdhsa_fp16_overflow 0
		.amdhsa_workgroup_processor_mode 1
		.amdhsa_memory_ordered 1
		.amdhsa_forward_progress 1
		.amdhsa_inst_pref_size 30
		.amdhsa_round_robin_scheduling 0
		.amdhsa_exception_fp_ieee_invalid_op 0
		.amdhsa_exception_fp_denorm_src 0
		.amdhsa_exception_fp_ieee_div_zero 0
		.amdhsa_exception_fp_ieee_overflow 0
		.amdhsa_exception_fp_ieee_underflow 0
		.amdhsa_exception_fp_ieee_inexact 0
		.amdhsa_exception_int_div_zero 0
	.end_amdhsa_kernel
	.section	.text._ZN12_GLOBAL__N_135rocblas_gemm_batched_general_kernelI19rocblas_complex_numIdELi16ELi16ELi32ELi32ELi8ELi32ELi8ELi8ELi32ELc78ELc67EKS2_S3_S2_EEvlllT_PT11_llS6_llS4_PT12_llPT13_lli,"axG",@progbits,_ZN12_GLOBAL__N_135rocblas_gemm_batched_general_kernelI19rocblas_complex_numIdELi16ELi16ELi32ELi32ELi8ELi32ELi8ELi8ELi32ELc78ELc67EKS2_S3_S2_EEvlllT_PT11_llS6_llS4_PT12_llPT13_lli,comdat
.Lfunc_end143:
	.size	_ZN12_GLOBAL__N_135rocblas_gemm_batched_general_kernelI19rocblas_complex_numIdELi16ELi16ELi32ELi32ELi8ELi32ELi8ELi8ELi32ELc78ELc67EKS2_S3_S2_EEvlllT_PT11_llS6_llS4_PT12_llPT13_lli, .Lfunc_end143-_ZN12_GLOBAL__N_135rocblas_gemm_batched_general_kernelI19rocblas_complex_numIdELi16ELi16ELi32ELi32ELi8ELi32ELi8ELi8ELi32ELc78ELc67EKS2_S3_S2_EEvlllT_PT11_llS6_llS4_PT12_llPT13_lli
                                        ; -- End function
	.set _ZN12_GLOBAL__N_135rocblas_gemm_batched_general_kernelI19rocblas_complex_numIdELi16ELi16ELi32ELi32ELi8ELi32ELi8ELi8ELi32ELc78ELc67EKS2_S3_S2_EEvlllT_PT11_llS6_llS4_PT12_llPT13_lli.num_vgpr, 129
	.set _ZN12_GLOBAL__N_135rocblas_gemm_batched_general_kernelI19rocblas_complex_numIdELi16ELi16ELi32ELi32ELi8ELi32ELi8ELi8ELi32ELc78ELc67EKS2_S3_S2_EEvlllT_PT11_llS6_llS4_PT12_llPT13_lli.num_agpr, 0
	.set _ZN12_GLOBAL__N_135rocblas_gemm_batched_general_kernelI19rocblas_complex_numIdELi16ELi16ELi32ELi32ELi8ELi32ELi8ELi8ELi32ELc78ELc67EKS2_S3_S2_EEvlllT_PT11_llS6_llS4_PT12_llPT13_lli.numbered_sgpr, 52
	.set _ZN12_GLOBAL__N_135rocblas_gemm_batched_general_kernelI19rocblas_complex_numIdELi16ELi16ELi32ELi32ELi8ELi32ELi8ELi8ELi32ELc78ELc67EKS2_S3_S2_EEvlllT_PT11_llS6_llS4_PT12_llPT13_lli.num_named_barrier, 0
	.set _ZN12_GLOBAL__N_135rocblas_gemm_batched_general_kernelI19rocblas_complex_numIdELi16ELi16ELi32ELi32ELi8ELi32ELi8ELi8ELi32ELc78ELc67EKS2_S3_S2_EEvlllT_PT11_llS6_llS4_PT12_llPT13_lli.private_seg_size, 0
	.set _ZN12_GLOBAL__N_135rocblas_gemm_batched_general_kernelI19rocblas_complex_numIdELi16ELi16ELi32ELi32ELi8ELi32ELi8ELi8ELi32ELc78ELc67EKS2_S3_S2_EEvlllT_PT11_llS6_llS4_PT12_llPT13_lli.uses_vcc, 1
	.set _ZN12_GLOBAL__N_135rocblas_gemm_batched_general_kernelI19rocblas_complex_numIdELi16ELi16ELi32ELi32ELi8ELi32ELi8ELi8ELi32ELc78ELc67EKS2_S3_S2_EEvlllT_PT11_llS6_llS4_PT12_llPT13_lli.uses_flat_scratch, 0
	.set _ZN12_GLOBAL__N_135rocblas_gemm_batched_general_kernelI19rocblas_complex_numIdELi16ELi16ELi32ELi32ELi8ELi32ELi8ELi8ELi32ELc78ELc67EKS2_S3_S2_EEvlllT_PT11_llS6_llS4_PT12_llPT13_lli.has_dyn_sized_stack, 0
	.set _ZN12_GLOBAL__N_135rocblas_gemm_batched_general_kernelI19rocblas_complex_numIdELi16ELi16ELi32ELi32ELi8ELi32ELi8ELi8ELi32ELc78ELc67EKS2_S3_S2_EEvlllT_PT11_llS6_llS4_PT12_llPT13_lli.has_recursion, 0
	.set _ZN12_GLOBAL__N_135rocblas_gemm_batched_general_kernelI19rocblas_complex_numIdELi16ELi16ELi32ELi32ELi8ELi32ELi8ELi8ELi32ELc78ELc67EKS2_S3_S2_EEvlllT_PT11_llS6_llS4_PT12_llPT13_lli.has_indirect_call, 0
	.section	.AMDGPU.csdata,"",@progbits
; Kernel info:
; codeLenInByte = 3832
; TotalNumSgprs: 54
; NumVgprs: 129
; ScratchSize: 0
; MemoryBound: 1
; FloatMode: 240
; IeeeMode: 1
; LDSByteSize: 8192 bytes/workgroup (compile time only)
; SGPRBlocks: 0
; VGPRBlocks: 16
; NumSGPRsForWavesPerEU: 54
; NumVGPRsForWavesPerEU: 129
; Occupancy: 10
; WaveLimiterHint : 0
; COMPUTE_PGM_RSRC2:SCRATCH_EN: 0
; COMPUTE_PGM_RSRC2:USER_SGPR: 2
; COMPUTE_PGM_RSRC2:TRAP_HANDLER: 0
; COMPUTE_PGM_RSRC2:TGID_X_EN: 1
; COMPUTE_PGM_RSRC2:TGID_Y_EN: 1
; COMPUTE_PGM_RSRC2:TGID_Z_EN: 1
; COMPUTE_PGM_RSRC2:TIDIG_COMP_CNT: 1
	.section	.text._ZN12_GLOBAL__N_135rocblas_gemm_batched_general_kernelI19rocblas_complex_numIdELi16ELi16ELi32ELi32ELi8ELi32ELi8ELi8ELi32ELc84ELc67EKS2_S3_S2_EEvlllT_PT11_llS6_llS4_PT12_llPT13_lli,"axG",@progbits,_ZN12_GLOBAL__N_135rocblas_gemm_batched_general_kernelI19rocblas_complex_numIdELi16ELi16ELi32ELi32ELi8ELi32ELi8ELi8ELi32ELc84ELc67EKS2_S3_S2_EEvlllT_PT11_llS6_llS4_PT12_llPT13_lli,comdat
	.globl	_ZN12_GLOBAL__N_135rocblas_gemm_batched_general_kernelI19rocblas_complex_numIdELi16ELi16ELi32ELi32ELi8ELi32ELi8ELi8ELi32ELc84ELc67EKS2_S3_S2_EEvlllT_PT11_llS6_llS4_PT12_llPT13_lli ; -- Begin function _ZN12_GLOBAL__N_135rocblas_gemm_batched_general_kernelI19rocblas_complex_numIdELi16ELi16ELi32ELi32ELi8ELi32ELi8ELi8ELi32ELc84ELc67EKS2_S3_S2_EEvlllT_PT11_llS6_llS4_PT12_llPT13_lli
	.p2align	8
	.type	_ZN12_GLOBAL__N_135rocblas_gemm_batched_general_kernelI19rocblas_complex_numIdELi16ELi16ELi32ELi32ELi8ELi32ELi8ELi8ELi32ELc84ELc67EKS2_S3_S2_EEvlllT_PT11_llS6_llS4_PT12_llPT13_lli,@function
_ZN12_GLOBAL__N_135rocblas_gemm_batched_general_kernelI19rocblas_complex_numIdELi16ELi16ELi32ELi32ELi8ELi32ELi8ELi8ELi32ELc84ELc67EKS2_S3_S2_EEvlllT_PT11_llS6_llS4_PT12_llPT13_lli: ; @_ZN12_GLOBAL__N_135rocblas_gemm_batched_general_kernelI19rocblas_complex_numIdELi16ELi16ELi32ELi32ELi8ELi32ELi8ELi8ELi32ELc84ELc67EKS2_S3_S2_EEvlllT_PT11_llS6_llS4_PT12_llPT13_lli
; %bb.0:
	s_load_b32 s33, s[0:1], 0x98
	s_lshr_b32 s6, ttmp7, 16
	s_wait_kmcnt 0x0
	s_cmp_ge_i32 s6, s33
	s_cbranch_scc1 .LBB144_37
; %bb.1:
	s_clause 0x3
	s_load_b512 s[8:23], s[0:1], 0x40
	s_load_b512 s[36:51], s[0:1], 0x0
	s_load_b64 s[28:29], s[0:1], 0x90
	s_load_b128 s[24:27], s[0:1], 0x80
	v_bfe_u32 v2, v0, 10, 10
	v_dual_mov_b32 v1, 0 :: v_dual_and_b32 v6, 0x3ff, v0
	s_mov_b32 s2, ttmp9
	s_ashr_i32 s3, ttmp9, 31
	s_and_b32 s34, ttmp7, 0xffff
	s_lshl_b64 s[30:31], s[2:3], 5
	v_lshl_add_u32 v8, v2, 4, v6
	s_lshl_b32 s0, s34, 5
	v_dual_mov_b32 v3, s31 :: v_dual_and_b32 v0, 7, v0
	v_add_co_u32 v4, s1, s0, v2
	s_delay_alu instid0(VALU_DEP_3) | instskip(SKIP_1) | instid1(VALU_DEP_4)
	v_lshrrev_b32_e32 v19, 3, v8
	v_lshl_add_u32 v35, v2, 7, 0x1000
	v_lshlrev_b32_e32 v9, 4, v0
	s_wait_kmcnt 0x0
	v_cmp_eq_f64_e64 s2, s[14:15], 0
	v_cmp_eq_f64_e64 s3, s[16:17], 0
	v_add_co_u32 v12, s0, v19, s0
	s_wait_alu 0xf1ff
	v_add_co_ci_u32_e64 v13, null, 0, 0, s0
	v_add_co_ci_u32_e64 v5, null, 0, 0, s1
	v_lshrrev_b32_e32 v36, 5, v8
	s_delay_alu instid0(VALU_DEP_3)
	v_cmp_gt_i64_e64 s0, s[38:39], v[12:13]
	v_mad_co_u64_u32 v[12:13], null, s10, v0, 0
	v_and_b32_e32 v14, 31, v8
	v_lshl_or_b32 v17, v19, 7, v9
	v_mad_co_u64_u32 v[8:9], null, v4, s26, 0
	s_mov_b32 s7, 0
	v_or_b32_e32 v2, s30, v14
	v_lshlrev_b32_e32 v16, 4, v14
	v_mad_co_u64_u32 v[14:15], null, v4, s20, 0
	v_lshlrev_b32_e32 v34, 4, v6
	v_add_co_u32 v6, s1, s30, v6
	s_wait_alu 0xf1ff
	v_add_co_ci_u32_e64 v7, null, s31, 0, s1
	v_lshl_or_b32 v37, v36, 9, v16
	s_delay_alu instid0(VALU_DEP_3) | instskip(NEXT) | instid1(VALU_DEP_1)
	v_add_co_u32 v10, vcc_lo, v6, 16
	v_add_co_ci_u32_e64 v11, null, 0, v7, vcc_lo
	v_cmp_gt_i64_e32 vcc_lo, s[36:37], v[2:3]
	v_dual_mov_b32 v3, v15 :: v_dual_add_nc_u32 v38, 0x1000, v17
	v_cmp_gt_i64_e64 s1, s[38:39], v[4:5]
	s_delay_alu instid0(VALU_DEP_2) | instskip(SKIP_4) | instid1(VALU_DEP_1)
	v_mad_co_u64_u32 v[15:16], null, v4, s21, v[3:4]
	s_and_b32 s30, s2, s3
	v_mad_co_u64_u32 v[16:17], null, v4, s27, v[9:10]
	v_mov_b32_e32 v3, v13
	v_add_co_u32 v4, s2, v4, 16
	v_add_co_ci_u32_e64 v5, null, 0, v5, s2
	v_cmp_gt_i64_e64 s3, s[36:37], v[10:11]
	s_delay_alu instid0(VALU_DEP_3) | instskip(SKIP_1) | instid1(VALU_DEP_4)
	v_mad_co_u64_u32 v[17:18], null, s11, v0, v[3:4]
	v_lshlrev_b64_e32 v[10:11], 4, v[14:15]
	v_cmp_gt_i64_e64 s4, s[38:39], v[4:5]
	v_lshlrev_b32_e32 v5, 4, v19
	v_cmp_gt_i64_e64 s2, s[36:37], v[6:7]
	v_mov_b32_e32 v9, v16
	s_lshl_b64 s[20:21], s[20:21], 4
	v_mov_b32_e32 v13, v17
	v_add_co_u32 v39, s5, s18, v10
	s_delay_alu instid0(VALU_DEP_1) | instskip(NEXT) | instid1(VALU_DEP_3)
	v_add_co_ci_u32_e64 v40, null, s19, v11, s5
	v_lshlrev_b64_e32 v[3:4], 4, v[12:13]
	s_lshl_b32 s5, s34, 9
	v_mul_lo_u32 v12, s49, v2
	v_mad_co_u64_u32 v[10:11], null, s48, v2, 0
	s_mul_i32 s18, s48, s31
	s_wait_alu 0xfffe
	v_add_co_u32 v2, s5, v3, s5
	s_wait_alu 0xf1ff
	v_add_co_ci_u32_e64 v3, null, 0, v4, s5
	s_lshl_b64 s[26:27], s[26:27], 4
	v_add_co_u32 v2, s5, v2, v5
	s_wait_alu 0xf1ff
	v_add_co_ci_u32_e64 v3, null, 0, v3, s5
	v_add3_u32 v11, v11, s18, v12
	s_delay_alu instid0(VALU_DEP_3) | instskip(SKIP_1) | instid1(VALU_DEP_3)
	v_add_co_u32 v4, s5, s8, v2
	s_wait_alu 0xf1ff
	v_add_co_ci_u32_e64 v5, null, s9, v3, s5
	s_delay_alu instid0(VALU_DEP_3) | instskip(SKIP_4) | instid1(VALU_DEP_3)
	v_lshlrev_b64_e32 v[2:3], 4, v[10:11]
	v_lshlrev_b32_e32 v12, 4, v36
	v_add_co_u32 v10, s5, v4, 8
	s_wait_alu 0xf1ff
	v_add_co_ci_u32_e64 v11, null, 0, v5, s5
	v_add_co_u32 v2, s5, v2, v12
	s_wait_alu 0xf1ff
	v_add_co_ci_u32_e64 v3, null, 0, v3, s5
	s_lshl_b64 s[8:9], s[12:13], 4
	v_add_co_u32 v12, s5, s46, v2
	s_wait_alu 0xf1ff
	v_add_co_ci_u32_e64 v13, null, s47, v3, s5
	v_cmp_gt_i64_e64 s5, s[40:41], 0
	s_lshl_b64 s[10:11], s[10:11], 7
	s_lshl_b64 s[12:13], s[50:51], 4
	s_xor_b32 s31, vcc_lo, -1
	s_lshl_b64 s[18:19], s[20:21], 4
	s_branch .LBB144_4
.LBB144_2:                              ;   in Loop: Header=BB144_4 Depth=1
	s_wait_alu 0xfffe
	s_or_b32 exec_lo, exec_lo, s34
.LBB144_3:                              ;   in Loop: Header=BB144_4 Depth=1
	s_add_co_i32 s6, s6, 0x10000
	s_wait_alu 0xfffe
	s_cmp_lt_i32 s6, s33
	s_cbranch_scc0 .LBB144_37
.LBB144_4:                              ; =>This Loop Header: Depth=1
                                        ;     Child Loop BB144_7 Depth 2
	s_and_not1_b32 vcc_lo, exec_lo, s5
	s_wait_alu 0xfffe
	s_cbranch_vccnz .LBB144_13
; %bb.5:                                ;   in Loop: Header=BB144_4 Depth=1
	v_mad_co_u64_u32 v[14:15], null, s8, s6, v[10:11]
	v_mad_co_u64_u32 v[16:17], null, s12, s6, v[12:13]
	v_mov_b32_e32 v20, 0
	v_mov_b32_e32 v18, 0
	;; [unrolled: 1-line block ×4, first 2 shown]
	v_dual_mov_b32 v2, v15 :: v_dual_mov_b32 v21, 0
	v_mov_b32_e32 v3, v17
	v_dual_mov_b32 v19, 0 :: v_dual_mov_b32 v24, 0
	v_dual_mov_b32 v23, 0 :: v_dual_mov_b32 v28, 0
	s_delay_alu instid0(VALU_DEP_3)
	v_mad_co_u64_u32 v[4:5], null, s9, s6, v[2:3]
	v_dual_mov_b32 v27, 0 :: v_dual_mov_b32 v32, 0
	v_dual_mov_b32 v30, 0 :: v_dual_mov_b32 v25, 0
	v_mov_b32_e32 v29, 0
	v_mov_b32_e32 v33, 0
	v_mad_co_u64_u32 v[2:3], null, s13, s6, v[3:4]
	v_mov_b32_e32 v31, 0
	v_mov_b32_e32 v15, v4
	s_mov_b64 s[20:21], 0
	s_delay_alu instid0(VALU_DEP_3)
	v_mov_b32_e32 v17, v2
	s_branch .LBB144_7
.LBB144_6:                              ;   in Loop: Header=BB144_7 Depth=2
	s_wait_alu 0xfffe
	s_or_b32 exec_lo, exec_lo, s34
	ds_store_b128 v38, v[2:5]
	s_wait_dscnt 0x0
	s_barrier_signal -1
	s_barrier_wait -1
	global_inv scope:SCOPE_SE
	ds_load_b128 v[2:5], v35
	ds_load_b128 v[41:44], v34
	ds_load_b128 v[45:48], v34 offset:256
	ds_load_b128 v[49:52], v35 offset:2048
	;; [unrolled: 1-line block ×10, first 2 shown]
	s_add_nc_u64 s[20:21], s[20:21], 8
	v_add_co_u32 v14, vcc_lo, v14, s10
	s_wait_alu 0xfffe
	v_cmp_lt_i64_e64 s34, s[20:21], s[40:41]
	s_wait_alu 0xfffd
	v_add_co_ci_u32_e64 v15, null, s11, v15, vcc_lo
	v_add_co_u32 v16, vcc_lo, 0x80, v16
	s_wait_alu 0xfffd
	v_add_co_ci_u32_e64 v17, null, 0, v17, vcc_lo
	s_and_b32 vcc_lo, exec_lo, s34
	s_wait_dscnt 0xa
	v_mul_f64_e32 v[85:86], v[4:5], v[43:44]
	v_mul_f64_e32 v[87:88], v[2:3], v[43:44]
	s_wait_dscnt 0x9
	v_mul_f64_e32 v[89:90], v[4:5], v[47:48]
	v_mul_f64_e32 v[91:92], v[2:3], v[47:48]
	;; [unrolled: 3-line block ×3, first 2 shown]
	v_mul_f64_e32 v[95:96], v[51:52], v[47:48]
	v_mul_f64_e32 v[47:48], v[49:50], v[47:48]
	s_wait_dscnt 0x5
	v_mul_f64_e32 v[97:98], v[55:56], v[63:64]
	v_mul_f64_e32 v[99:100], v[53:54], v[63:64]
	s_wait_dscnt 0x4
	v_mul_f64_e32 v[101:102], v[55:56], v[67:68]
	v_mul_f64_e32 v[103:104], v[53:54], v[67:68]
	;; [unrolled: 1-line block ×6, first 2 shown]
	s_wait_dscnt 0x2
	v_mul_f64_e32 v[113:114], v[71:72], v[75:76]
	v_mul_f64_e32 v[115:116], v[69:70], v[75:76]
	s_wait_dscnt 0x1
	v_mul_f64_e32 v[117:118], v[71:72], v[79:80]
	v_mul_f64_e32 v[119:120], v[69:70], v[79:80]
	;; [unrolled: 3-line block ×3, first 2 shown]
	v_mul_f64_e32 v[123:124], v[83:84], v[79:80]
	v_mul_f64_e32 v[79:80], v[81:82], v[79:80]
	v_fma_f64 v[85:86], v[2:3], v[41:42], -v[85:86]
	v_fma_f64 v[87:88], v[4:5], v[41:42], v[87:88]
	v_fma_f64 v[89:90], v[2:3], v[45:46], -v[89:90]
	v_fma_f64 v[91:92], v[4:5], v[45:46], v[91:92]
	v_fma_f64 v[93:94], v[49:50], v[41:42], -v[93:94]
	v_fma_f64 v[109:110], v[51:52], v[41:42], v[43:44]
	v_fma_f64 v[95:96], v[49:50], v[45:46], -v[95:96]
	v_fma_f64 v[111:112], v[51:52], v[45:46], v[47:48]
	v_fma_f64 v[97:98], v[53:54], v[61:62], -v[97:98]
	v_fma_f64 v[99:100], v[55:56], v[61:62], v[99:100]
	v_fma_f64 v[53:54], v[53:54], v[65:66], -v[101:102]
	v_fma_f64 v[55:56], v[55:56], v[65:66], v[103:104]
	v_fma_f64 v[101:102], v[57:58], v[61:62], -v[105:106]
	v_fma_f64 v[61:62], v[59:60], v[61:62], v[63:64]
	v_fma_f64 v[57:58], v[57:58], v[65:66], -v[107:108]
	v_fma_f64 v[59:60], v[59:60], v[65:66], v[67:68]
	ds_load_b128 v[2:5], v35 offset:48
	ds_load_b128 v[41:44], v35 offset:2096
	;; [unrolled: 1-line block ×4, first 2 shown]
	v_fma_f64 v[113:114], v[69:70], v[73:74], -v[113:114]
	v_fma_f64 v[115:116], v[71:72], v[73:74], v[115:116]
	v_fma_f64 v[69:70], v[69:70], v[77:78], -v[117:118]
	v_fma_f64 v[71:72], v[71:72], v[77:78], v[119:120]
	;; [unrolled: 2-line block ×4, first 2 shown]
	s_wait_dscnt 0x1
	v_mul_f64_e32 v[103:104], v[2:3], v[47:48]
	s_wait_dscnt 0x0
	v_mul_f64_e32 v[105:106], v[4:5], v[51:52]
	v_mul_f64_e32 v[107:108], v[2:3], v[51:52]
	v_add_f64_e32 v[63:64], v[30:31], v[85:86]
	v_add_f64_e32 v[65:66], v[87:88], v[32:33]
	;; [unrolled: 1-line block ×8, first 2 shown]
	v_mul_f64_e32 v[95:96], v[4:5], v[47:48]
	v_mul_f64_e32 v[109:110], v[43:44], v[47:48]
	;; [unrolled: 1-line block ×5, first 2 shown]
	ds_load_b128 v[18:21], v35 offset:64
	ds_load_b128 v[22:25], v34 offset:2048
	ds_load_b128 v[26:29], v34 offset:2304
	ds_load_b128 v[30:33], v35 offset:2112
	s_wait_dscnt 0x0
	v_mul_f64_e32 v[119:120], v[32:33], v[24:25]
	v_mul_f64_e32 v[121:122], v[32:33], v[28:29]
	v_fma_f64 v[103:104], v[4:5], v[45:46], v[103:104]
	v_fma_f64 v[105:106], v[2:3], v[49:50], -v[105:106]
	v_fma_f64 v[107:108], v[4:5], v[49:50], v[107:108]
	v_add_f64_e32 v[79:80], v[63:64], v[97:98]
	v_add_f64_e32 v[81:82], v[99:100], v[65:66]
	;; [unrolled: 1-line block ×8, first 2 shown]
	v_mul_f64_e32 v[93:94], v[20:21], v[24:25]
	v_mul_f64_e32 v[97:98], v[18:19], v[24:25]
	;; [unrolled: 1-line block ×6, first 2 shown]
	v_fma_f64 v[95:96], v[2:3], v[45:46], -v[95:96]
	v_fma_f64 v[109:110], v[41:42], v[45:46], -v[109:110]
	v_fma_f64 v[123:124], v[43:44], v[45:46], v[47:48]
	v_fma_f64 v[111:112], v[41:42], v[49:50], -v[111:112]
	v_fma_f64 v[49:50], v[43:44], v[49:50], v[125:126]
	ds_load_b128 v[51:54], v35 offset:80
	ds_load_b128 v[55:58], v35 offset:2128
	;; [unrolled: 1-line block ×4, first 2 shown]
	v_fma_f64 v[119:120], v[30:31], v[22:23], -v[119:120]
	v_fma_f64 v[121:122], v[30:31], v[26:27], -v[121:122]
	v_add_f64_e32 v[79:80], v[79:80], v[113:114]
	v_add_f64_e32 v[81:82], v[115:116], v[81:82]
	;; [unrolled: 1-line block ×8, first 2 shown]
	s_wait_dscnt 0x1
	v_mul_f64_e32 v[85:86], v[53:54], v[61:62]
	v_mul_f64_e32 v[87:88], v[51:52], v[61:62]
	s_wait_dscnt 0x0
	v_mul_f64_e32 v[89:90], v[53:54], v[65:66]
	v_mul_f64_e32 v[91:92], v[51:52], v[65:66]
	;; [unrolled: 1-line block ×6, first 2 shown]
	v_fma_f64 v[93:94], v[18:19], v[22:23], -v[93:94]
	v_fma_f64 v[97:98], v[20:21], v[22:23], v[97:98]
	v_fma_f64 v[99:100], v[18:19], v[26:27], -v[99:100]
	v_fma_f64 v[101:102], v[20:21], v[26:27], v[101:102]
	v_fma_f64 v[125:126], v[32:33], v[22:23], v[24:25]
	v_fma_f64 v[127:128], v[32:33], v[26:27], v[28:29]
	ds_load_b128 v[2:5], v35 offset:96
	ds_load_b128 v[41:44], v34 offset:3072
	ds_load_b128 v[45:48], v34 offset:3328
	ds_load_b128 v[67:70], v35 offset:2144
	ds_load_b128 v[18:21], v35 offset:112
	ds_load_b128 v[22:25], v35 offset:2160
	ds_load_b128 v[26:29], v34 offset:3584
	ds_load_b128 v[30:33], v34 offset:3840
	s_wait_loadcnt_dscnt 0x0
	s_barrier_signal -1
	s_barrier_wait -1
	global_inv scope:SCOPE_SE
	v_add_f64_e32 v[79:80], v[79:80], v[95:96]
	v_add_f64_e32 v[81:82], v[103:104], v[81:82]
	;; [unrolled: 1-line block ×8, first 2 shown]
	v_mul_f64_e32 v[77:78], v[4:5], v[43:44]
	v_mul_f64_e32 v[103:104], v[2:3], v[43:44]
	;; [unrolled: 1-line block ×8, first 2 shown]
	v_fma_f64 v[85:86], v[51:52], v[59:60], -v[85:86]
	v_fma_f64 v[87:88], v[53:54], v[59:60], v[87:88]
	v_fma_f64 v[51:52], v[51:52], v[63:64], -v[89:90]
	v_fma_f64 v[53:54], v[53:54], v[63:64], v[91:92]
	;; [unrolled: 2-line block ×4, first 2 shown]
	v_mul_f64_e32 v[91:92], v[20:21], v[32:33]
	v_add_f64_e32 v[61:62], v[79:80], v[93:94]
	v_add_f64_e32 v[63:64], v[97:98], v[81:82]
	;; [unrolled: 1-line block ×8, first 2 shown]
	v_mul_f64_e32 v[81:82], v[20:21], v[28:29]
	v_mul_f64_e32 v[83:84], v[18:19], v[28:29]
	;; [unrolled: 1-line block ×7, first 2 shown]
	v_fma_f64 v[77:78], v[2:3], v[41:42], -v[77:78]
	v_fma_f64 v[99:100], v[4:5], v[41:42], v[103:104]
	v_fma_f64 v[2:3], v[2:3], v[45:46], -v[105:106]
	v_fma_f64 v[4:5], v[4:5], v[45:46], v[107:108]
	v_fma_f64 v[101:102], v[67:68], v[41:42], -v[109:110]
	v_fma_f64 v[41:42], v[69:70], v[41:42], v[43:44]
	v_fma_f64 v[43:44], v[67:68], v[45:46], -v[111:112]
	v_fma_f64 v[45:46], v[69:70], v[45:46], v[47:48]
	v_add_f64_e32 v[47:48], v[61:62], v[85:86]
	v_add_f64_e32 v[61:62], v[87:88], v[63:64]
	;; [unrolled: 1-line block ×8, first 2 shown]
	v_fma_f64 v[57:58], v[18:19], v[26:27], -v[81:82]
	v_fma_f64 v[65:66], v[20:21], v[26:27], v[83:84]
	v_fma_f64 v[18:19], v[18:19], v[30:31], -v[91:92]
	v_fma_f64 v[20:21], v[20:21], v[30:31], v[93:94]
	;; [unrolled: 2-line block ×4, first 2 shown]
	v_add_f64_e32 v[22:23], v[47:48], v[77:78]
	v_add_f64_e32 v[24:25], v[99:100], v[61:62]
	;; [unrolled: 1-line block ×16, first 2 shown]
	s_wait_alu 0xfffe
	s_cbranch_vccz .LBB144_14
.LBB144_7:                              ;   Parent Loop BB144_4 Depth=1
                                        ; =>  This Inner Loop Header: Depth=2
	s_wait_alu 0xfffe
	v_add_co_u32 v2, s34, v36, s20
	s_wait_alu 0xf1ff
	v_add_co_ci_u32_e64 v3, null, 0, s21, s34
	s_delay_alu instid0(VALU_DEP_1)
	v_cmp_le_i64_e32 vcc_lo, s[40:41], v[2:3]
	s_or_b32 s34, s31, vcc_lo
	s_wait_alu 0xfffe
	s_and_saveexec_b32 s35, s34
	s_wait_alu 0xfffe
	s_xor_b32 s34, exec_lo, s35
; %bb.8:                                ;   in Loop: Header=BB144_7 Depth=2
	v_dual_mov_b32 v2, v1 :: v_dual_mov_b32 v3, v1
	v_mov_b32_e32 v4, v1
	ds_store_b128 v37, v[1:4]
; %bb.9:                                ;   in Loop: Header=BB144_7 Depth=2
	s_wait_alu 0xfffe
	s_and_not1_saveexec_b32 s34, s34
	s_cbranch_execz .LBB144_11
; %bb.10:                               ;   in Loop: Header=BB144_7 Depth=2
	global_load_b128 v[2:5], v[16:17], off
	s_wait_loadcnt 0x0
	ds_store_2addr_b64 v37, v[2:3], v[4:5] offset1:1
.LBB144_11:                             ;   in Loop: Header=BB144_7 Depth=2
	s_wait_alu 0xfffe
	s_or_b32 exec_lo, exec_lo, s34
	v_add_co_u32 v2, s34, v0, s20
	s_wait_alu 0xf1ff
	v_add_co_ci_u32_e64 v3, null, 0, s21, s34
	v_mov_b32_e32 v4, 0
	v_mov_b32_e32 v5, 0
	s_delay_alu instid0(VALU_DEP_3)
	v_cmp_gt_i64_e32 vcc_lo, s[40:41], v[2:3]
	v_mov_b32_e32 v2, 0
	v_mov_b32_e32 v3, 0
	s_and_b32 s35, vcc_lo, s0
	s_wait_alu 0xfffe
	s_and_saveexec_b32 s34, s35
	s_cbranch_execz .LBB144_6
; %bb.12:                               ;   in Loop: Header=BB144_7 Depth=2
	global_load_b128 v[2:5], v[14:15], off offset:-8
	s_wait_loadcnt 0x0
	v_xor_b32_e32 v5, 0x80000000, v5
	s_branch .LBB144_6
.LBB144_13:                             ;   in Loop: Header=BB144_4 Depth=1
	v_mov_b32_e32 v30, 0
	v_mov_b32_e32 v26, 0
	;; [unrolled: 1-line block ×3, first 2 shown]
	v_dual_mov_b32 v18, 0 :: v_dual_mov_b32 v31, 0
	v_dual_mov_b32 v32, 0 :: v_dual_mov_b32 v27, 0
	;; [unrolled: 1-line block ×5, first 2 shown]
	v_mov_b32_e32 v29, 0
	v_mov_b32_e32 v25, 0
	;; [unrolled: 1-line block ×3, first 2 shown]
.LBB144_14:                             ;   in Loop: Header=BB144_4 Depth=1
	s_mul_u64 s[20:21], s[28:29], s[6:7]
	s_and_not1_b32 vcc_lo, exec_lo, s30
	s_wait_alu 0xfffe
	s_lshl_b64 s[20:21], s[20:21], 4
	s_mov_b32 s34, -1
	s_wait_alu 0xfffe
	s_add_nc_u64 s[20:21], s[24:25], s[20:21]
	s_cbranch_vccz .LBB144_16
; %bb.15:                               ;   in Loop: Header=BB144_4 Depth=1
	s_and_not1_b32 vcc_lo, exec_lo, s34
	s_wait_alu 0xfffe
	s_cbranch_vccnz .LBB144_3
	s_branch .LBB144_27
.LBB144_16:                             ;   in Loop: Header=BB144_4 Depth=1
	s_and_saveexec_b32 s34, s1
	s_cbranch_execz .LBB144_26
; %bb.17:                               ;   in Loop: Header=BB144_4 Depth=1
	v_lshlrev_b64_e32 v[2:3], 4, v[8:9]
	s_wait_alu 0xfffe
	s_delay_alu instid0(VALU_DEP_1) | instskip(SKIP_1) | instid1(VALU_DEP_2)
	v_add_co_u32 v2, vcc_lo, s20, v2
	s_wait_alu 0xfffd
	v_add_co_ci_u32_e64 v3, null, s21, v3, vcc_lo
	s_and_saveexec_b32 s35, s2
	s_cbranch_execnz .LBB144_20
; %bb.18:                               ;   in Loop: Header=BB144_4 Depth=1
	s_wait_alu 0xfffe
	s_or_b32 exec_lo, exec_lo, s35
	s_and_saveexec_b32 s35, s3
	s_cbranch_execnz .LBB144_21
.LBB144_19:                             ;   in Loop: Header=BB144_4 Depth=1
	s_wait_alu 0xfffe
	s_or_b32 exec_lo, exec_lo, s35
	s_delay_alu instid0(SALU_CYCLE_1)
	s_and_b32 exec_lo, exec_lo, s4
	s_cbranch_execnz .LBB144_22
	s_branch .LBB144_26
.LBB144_20:                             ;   in Loop: Header=BB144_4 Depth=1
	v_mul_f64_e32 v[4:5], s[44:45], v[32:33]
	v_mul_f64_e32 v[16:17], s[42:43], v[32:33]
	s_delay_alu instid0(VALU_DEP_2) | instskip(NEXT) | instid1(VALU_DEP_2)
	v_fma_f64 v[14:15], s[42:43], v[30:31], -v[4:5]
	v_fma_f64 v[16:17], s[44:45], v[30:31], v[16:17]
	v_lshlrev_b64_e32 v[4:5], 4, v[6:7]
	s_delay_alu instid0(VALU_DEP_1) | instskip(SKIP_1) | instid1(VALU_DEP_2)
	v_add_co_u32 v4, vcc_lo, v2, v4
	s_wait_alu 0xfffd
	v_add_co_ci_u32_e64 v5, null, v3, v5, vcc_lo
	global_store_b128 v[4:5], v[14:17], off
	s_wait_alu 0xfffe
	s_or_b32 exec_lo, exec_lo, s35
	s_and_saveexec_b32 s35, s3
	s_cbranch_execz .LBB144_19
.LBB144_21:                             ;   in Loop: Header=BB144_4 Depth=1
	v_mul_f64_e32 v[4:5], s[44:45], v[28:29]
	v_mul_f64_e32 v[16:17], s[42:43], v[28:29]
	s_delay_alu instid0(VALU_DEP_2) | instskip(NEXT) | instid1(VALU_DEP_2)
	v_fma_f64 v[14:15], s[42:43], v[26:27], -v[4:5]
	v_fma_f64 v[16:17], s[44:45], v[26:27], v[16:17]
	v_lshlrev_b64_e32 v[4:5], 4, v[6:7]
	s_delay_alu instid0(VALU_DEP_1) | instskip(SKIP_1) | instid1(VALU_DEP_2)
	v_add_co_u32 v4, vcc_lo, v2, v4
	s_wait_alu 0xfffd
	v_add_co_ci_u32_e64 v5, null, v3, v5, vcc_lo
	global_store_b128 v[4:5], v[14:17], off offset:256
	s_wait_alu 0xfffe
	s_or_b32 exec_lo, exec_lo, s35
	s_delay_alu instid0(SALU_CYCLE_1)
	s_and_b32 exec_lo, exec_lo, s4
	s_cbranch_execz .LBB144_26
.LBB144_22:                             ;   in Loop: Header=BB144_4 Depth=1
	s_lshl_b64 s[36:37], s[26:27], 4
	v_lshlrev_b64_e32 v[4:5], 4, v[6:7]
	s_wait_alu 0xfffe
	v_add_co_u32 v2, vcc_lo, v2, s36
	s_wait_alu 0xfffd
	v_add_co_ci_u32_e64 v3, null, s37, v3, vcc_lo
	s_delay_alu instid0(VALU_DEP_2) | instskip(SKIP_1) | instid1(VALU_DEP_2)
	v_add_co_u32 v2, vcc_lo, v2, v4
	s_wait_alu 0xfffd
	v_add_co_ci_u32_e64 v3, null, v3, v5, vcc_lo
	s_and_saveexec_b32 s35, s2
	s_cbranch_execz .LBB144_24
; %bb.23:                               ;   in Loop: Header=BB144_4 Depth=1
	v_mul_f64_e32 v[4:5], s[44:45], v[24:25]
	v_mul_f64_e32 v[16:17], s[42:43], v[24:25]
	s_delay_alu instid0(VALU_DEP_2) | instskip(NEXT) | instid1(VALU_DEP_2)
	v_fma_f64 v[14:15], s[42:43], v[22:23], -v[4:5]
	v_fma_f64 v[16:17], s[44:45], v[22:23], v[16:17]
	global_store_b128 v[2:3], v[14:17], off
.LBB144_24:                             ;   in Loop: Header=BB144_4 Depth=1
	s_wait_alu 0xfffe
	s_or_b32 exec_lo, exec_lo, s35
	s_delay_alu instid0(SALU_CYCLE_1)
	s_and_b32 exec_lo, exec_lo, s3
	s_cbranch_execz .LBB144_26
; %bb.25:                               ;   in Loop: Header=BB144_4 Depth=1
	v_mul_f64_e32 v[4:5], s[44:45], v[20:21]
	v_mul_f64_e32 v[16:17], s[42:43], v[20:21]
	s_delay_alu instid0(VALU_DEP_2) | instskip(NEXT) | instid1(VALU_DEP_2)
	v_fma_f64 v[14:15], s[42:43], v[18:19], -v[4:5]
	v_fma_f64 v[16:17], s[44:45], v[18:19], v[16:17]
	global_store_b128 v[2:3], v[14:17], off offset:256
.LBB144_26:                             ;   in Loop: Header=BB144_4 Depth=1
	s_wait_alu 0xfffe
	s_or_b32 exec_lo, exec_lo, s34
	s_cbranch_execnz .LBB144_3
.LBB144_27:                             ;   in Loop: Header=BB144_4 Depth=1
	s_and_saveexec_b32 s34, s1
	s_cbranch_execz .LBB144_2
; %bb.28:                               ;   in Loop: Header=BB144_4 Depth=1
	s_mul_u64 s[36:37], s[22:23], s[6:7]
	v_lshlrev_b64_e32 v[14:15], 4, v[8:9]
	s_wait_alu 0xfffe
	s_lshl_b64 s[36:37], s[36:37], 4
	v_lshlrev_b64_e32 v[2:3], 4, v[6:7]
	s_wait_alu 0xfffe
	v_add_co_u32 v4, vcc_lo, v39, s36
	s_wait_alu 0xfffd
	v_add_co_ci_u32_e64 v5, null, s37, v40, vcc_lo
	v_add_co_u32 v14, vcc_lo, s20, v14
	s_wait_alu 0xfffd
	v_add_co_ci_u32_e64 v15, null, s21, v15, vcc_lo
	s_and_saveexec_b32 s20, s2
	s_cbranch_execnz .LBB144_31
; %bb.29:                               ;   in Loop: Header=BB144_4 Depth=1
	s_wait_alu 0xfffe
	s_or_b32 exec_lo, exec_lo, s20
	s_and_saveexec_b32 s20, s3
	s_cbranch_execnz .LBB144_32
.LBB144_30:                             ;   in Loop: Header=BB144_4 Depth=1
	s_wait_alu 0xfffe
	s_or_b32 exec_lo, exec_lo, s20
	s_delay_alu instid0(SALU_CYCLE_1)
	s_and_b32 exec_lo, exec_lo, s4
	s_cbranch_execz .LBB144_2
	s_branch .LBB144_33
.LBB144_31:                             ;   in Loop: Header=BB144_4 Depth=1
	v_add_co_u32 v16, vcc_lo, v4, v2
	s_wait_alu 0xfffd
	v_add_co_ci_u32_e64 v17, null, v5, v3, vcc_lo
	global_load_b128 v[41:44], v[16:17], off
	v_mul_f64_e32 v[16:17], s[44:45], v[32:33]
	v_mul_f64_e32 v[32:33], s[42:43], v[32:33]
	s_delay_alu instid0(VALU_DEP_2) | instskip(NEXT) | instid1(VALU_DEP_2)
	v_fma_f64 v[16:17], s[42:43], v[30:31], -v[16:17]
	v_fma_f64 v[32:33], s[44:45], v[30:31], v[32:33]
	s_wait_loadcnt 0x0
	v_mul_f64_e32 v[45:46], s[16:17], v[43:44]
	v_mul_f64_e32 v[43:44], s[14:15], v[43:44]
	s_delay_alu instid0(VALU_DEP_2) | instskip(NEXT) | instid1(VALU_DEP_2)
	v_fma_f64 v[30:31], s[14:15], v[41:42], -v[45:46]
	v_fma_f64 v[41:42], s[16:17], v[41:42], v[43:44]
	s_delay_alu instid0(VALU_DEP_2) | instskip(NEXT) | instid1(VALU_DEP_2)
	v_add_f64_e32 v[30:31], v[16:17], v[30:31]
	v_add_f64_e32 v[32:33], v[32:33], v[41:42]
	v_add_co_u32 v16, vcc_lo, v14, v2
	s_wait_alu 0xfffd
	v_add_co_ci_u32_e64 v17, null, v15, v3, vcc_lo
	global_store_b128 v[16:17], v[30:33], off
	s_wait_alu 0xfffe
	s_or_b32 exec_lo, exec_lo, s20
	s_and_saveexec_b32 s20, s3
	s_cbranch_execz .LBB144_30
.LBB144_32:                             ;   in Loop: Header=BB144_4 Depth=1
	v_add_co_u32 v16, vcc_lo, v4, v2
	s_wait_alu 0xfffd
	v_add_co_ci_u32_e64 v17, null, v5, v3, vcc_lo
	global_load_b128 v[30:33], v[16:17], off offset:256
	v_mul_f64_e32 v[16:17], s[44:45], v[28:29]
	v_mul_f64_e32 v[28:29], s[42:43], v[28:29]
	s_delay_alu instid0(VALU_DEP_2) | instskip(NEXT) | instid1(VALU_DEP_2)
	v_fma_f64 v[16:17], s[42:43], v[26:27], -v[16:17]
	v_fma_f64 v[28:29], s[44:45], v[26:27], v[28:29]
	s_wait_loadcnt 0x0
	v_mul_f64_e32 v[41:42], s[16:17], v[32:33]
	v_mul_f64_e32 v[32:33], s[14:15], v[32:33]
	s_delay_alu instid0(VALU_DEP_2) | instskip(NEXT) | instid1(VALU_DEP_2)
	v_fma_f64 v[26:27], s[14:15], v[30:31], -v[41:42]
	v_fma_f64 v[30:31], s[16:17], v[30:31], v[32:33]
	s_delay_alu instid0(VALU_DEP_2) | instskip(NEXT) | instid1(VALU_DEP_2)
	v_add_f64_e32 v[26:27], v[16:17], v[26:27]
	v_add_f64_e32 v[28:29], v[28:29], v[30:31]
	v_add_co_u32 v16, vcc_lo, v14, v2
	s_wait_alu 0xfffd
	v_add_co_ci_u32_e64 v17, null, v15, v3, vcc_lo
	global_store_b128 v[16:17], v[26:29], off offset:256
	s_wait_alu 0xfffe
	s_or_b32 exec_lo, exec_lo, s20
	s_delay_alu instid0(SALU_CYCLE_1)
	s_and_b32 exec_lo, exec_lo, s4
	s_cbranch_execz .LBB144_2
.LBB144_33:                             ;   in Loop: Header=BB144_4 Depth=1
	v_add_co_u32 v4, vcc_lo, v4, s18
	s_lshl_b64 s[20:21], s[26:27], 4
	s_wait_alu 0xfffd
	v_add_co_ci_u32_e64 v5, null, s19, v5, vcc_lo
	s_wait_alu 0xfffe
	v_add_co_u32 v14, vcc_lo, v14, s20
	s_wait_alu 0xfffd
	v_add_co_ci_u32_e64 v15, null, s21, v15, vcc_lo
	v_add_co_u32 v4, vcc_lo, v4, v2
	s_wait_alu 0xfffd
	v_add_co_ci_u32_e64 v5, null, v5, v3, vcc_lo
	;; [unrolled: 3-line block ×3, first 2 shown]
	s_and_saveexec_b32 s20, s2
	s_cbranch_execz .LBB144_35
; %bb.34:                               ;   in Loop: Header=BB144_4 Depth=1
	global_load_b128 v[14:17], v[4:5], off
	v_mul_f64_e32 v[26:27], s[44:45], v[24:25]
	v_mul_f64_e32 v[24:25], s[42:43], v[24:25]
	s_delay_alu instid0(VALU_DEP_2) | instskip(NEXT) | instid1(VALU_DEP_2)
	v_fma_f64 v[26:27], s[42:43], v[22:23], -v[26:27]
	v_fma_f64 v[22:23], s[44:45], v[22:23], v[24:25]
	s_wait_loadcnt 0x0
	v_mul_f64_e32 v[28:29], s[16:17], v[16:17]
	v_mul_f64_e32 v[16:17], s[14:15], v[16:17]
	s_delay_alu instid0(VALU_DEP_2) | instskip(NEXT) | instid1(VALU_DEP_2)
	v_fma_f64 v[24:25], s[14:15], v[14:15], -v[28:29]
	v_fma_f64 v[16:17], s[16:17], v[14:15], v[16:17]
	s_delay_alu instid0(VALU_DEP_2) | instskip(NEXT) | instid1(VALU_DEP_2)
	v_add_f64_e32 v[14:15], v[26:27], v[24:25]
	v_add_f64_e32 v[16:17], v[22:23], v[16:17]
	global_store_b128 v[2:3], v[14:17], off
.LBB144_35:                             ;   in Loop: Header=BB144_4 Depth=1
	s_wait_alu 0xfffe
	s_or_b32 exec_lo, exec_lo, s20
	s_delay_alu instid0(SALU_CYCLE_1)
	s_and_b32 exec_lo, exec_lo, s3
	s_cbranch_execz .LBB144_2
; %bb.36:                               ;   in Loop: Header=BB144_4 Depth=1
	global_load_b128 v[14:17], v[4:5], off offset:256
	v_mul_f64_e32 v[4:5], s[44:45], v[20:21]
	v_mul_f64_e32 v[20:21], s[42:43], v[20:21]
	s_delay_alu instid0(VALU_DEP_2) | instskip(NEXT) | instid1(VALU_DEP_2)
	v_fma_f64 v[4:5], s[42:43], v[18:19], -v[4:5]
	v_fma_f64 v[18:19], s[44:45], v[18:19], v[20:21]
	s_wait_loadcnt 0x0
	v_mul_f64_e32 v[22:23], s[16:17], v[16:17]
	v_mul_f64_e32 v[16:17], s[14:15], v[16:17]
	s_delay_alu instid0(VALU_DEP_2) | instskip(NEXT) | instid1(VALU_DEP_2)
	v_fma_f64 v[20:21], s[14:15], v[14:15], -v[22:23]
	v_fma_f64 v[16:17], s[16:17], v[14:15], v[16:17]
	s_delay_alu instid0(VALU_DEP_2) | instskip(NEXT) | instid1(VALU_DEP_2)
	v_add_f64_e32 v[14:15], v[4:5], v[20:21]
	v_add_f64_e32 v[16:17], v[18:19], v[16:17]
	global_store_b128 v[2:3], v[14:17], off offset:256
	s_branch .LBB144_2
.LBB144_37:
	s_nop 0
	s_sendmsg sendmsg(MSG_DEALLOC_VGPRS)
	s_endpgm
	.section	.rodata,"a",@progbits
	.p2align	6, 0x0
	.amdhsa_kernel _ZN12_GLOBAL__N_135rocblas_gemm_batched_general_kernelI19rocblas_complex_numIdELi16ELi16ELi32ELi32ELi8ELi32ELi8ELi8ELi32ELc84ELc67EKS2_S3_S2_EEvlllT_PT11_llS6_llS4_PT12_llPT13_lli
		.amdhsa_group_segment_fixed_size 8192
		.amdhsa_private_segment_fixed_size 0
		.amdhsa_kernarg_size 156
		.amdhsa_user_sgpr_count 2
		.amdhsa_user_sgpr_dispatch_ptr 0
		.amdhsa_user_sgpr_queue_ptr 0
		.amdhsa_user_sgpr_kernarg_segment_ptr 1
		.amdhsa_user_sgpr_dispatch_id 0
		.amdhsa_user_sgpr_private_segment_size 0
		.amdhsa_wavefront_size32 1
		.amdhsa_uses_dynamic_stack 0
		.amdhsa_enable_private_segment 0
		.amdhsa_system_sgpr_workgroup_id_x 1
		.amdhsa_system_sgpr_workgroup_id_y 1
		.amdhsa_system_sgpr_workgroup_id_z 1
		.amdhsa_system_sgpr_workgroup_info 0
		.amdhsa_system_vgpr_workitem_id 1
		.amdhsa_next_free_vgpr 129
		.amdhsa_next_free_sgpr 52
		.amdhsa_reserve_vcc 1
		.amdhsa_float_round_mode_32 0
		.amdhsa_float_round_mode_16_64 0
		.amdhsa_float_denorm_mode_32 3
		.amdhsa_float_denorm_mode_16_64 3
		.amdhsa_fp16_overflow 0
		.amdhsa_workgroup_processor_mode 1
		.amdhsa_memory_ordered 1
		.amdhsa_forward_progress 1
		.amdhsa_inst_pref_size 30
		.amdhsa_round_robin_scheduling 0
		.amdhsa_exception_fp_ieee_invalid_op 0
		.amdhsa_exception_fp_denorm_src 0
		.amdhsa_exception_fp_ieee_div_zero 0
		.amdhsa_exception_fp_ieee_overflow 0
		.amdhsa_exception_fp_ieee_underflow 0
		.amdhsa_exception_fp_ieee_inexact 0
		.amdhsa_exception_int_div_zero 0
	.end_amdhsa_kernel
	.section	.text._ZN12_GLOBAL__N_135rocblas_gemm_batched_general_kernelI19rocblas_complex_numIdELi16ELi16ELi32ELi32ELi8ELi32ELi8ELi8ELi32ELc84ELc67EKS2_S3_S2_EEvlllT_PT11_llS6_llS4_PT12_llPT13_lli,"axG",@progbits,_ZN12_GLOBAL__N_135rocblas_gemm_batched_general_kernelI19rocblas_complex_numIdELi16ELi16ELi32ELi32ELi8ELi32ELi8ELi8ELi32ELc84ELc67EKS2_S3_S2_EEvlllT_PT11_llS6_llS4_PT12_llPT13_lli,comdat
.Lfunc_end144:
	.size	_ZN12_GLOBAL__N_135rocblas_gemm_batched_general_kernelI19rocblas_complex_numIdELi16ELi16ELi32ELi32ELi8ELi32ELi8ELi8ELi32ELc84ELc67EKS2_S3_S2_EEvlllT_PT11_llS6_llS4_PT12_llPT13_lli, .Lfunc_end144-_ZN12_GLOBAL__N_135rocblas_gemm_batched_general_kernelI19rocblas_complex_numIdELi16ELi16ELi32ELi32ELi8ELi32ELi8ELi8ELi32ELc84ELc67EKS2_S3_S2_EEvlllT_PT11_llS6_llS4_PT12_llPT13_lli
                                        ; -- End function
	.set _ZN12_GLOBAL__N_135rocblas_gemm_batched_general_kernelI19rocblas_complex_numIdELi16ELi16ELi32ELi32ELi8ELi32ELi8ELi8ELi32ELc84ELc67EKS2_S3_S2_EEvlllT_PT11_llS6_llS4_PT12_llPT13_lli.num_vgpr, 129
	.set _ZN12_GLOBAL__N_135rocblas_gemm_batched_general_kernelI19rocblas_complex_numIdELi16ELi16ELi32ELi32ELi8ELi32ELi8ELi8ELi32ELc84ELc67EKS2_S3_S2_EEvlllT_PT11_llS6_llS4_PT12_llPT13_lli.num_agpr, 0
	.set _ZN12_GLOBAL__N_135rocblas_gemm_batched_general_kernelI19rocblas_complex_numIdELi16ELi16ELi32ELi32ELi8ELi32ELi8ELi8ELi32ELc84ELc67EKS2_S3_S2_EEvlllT_PT11_llS6_llS4_PT12_llPT13_lli.numbered_sgpr, 52
	.set _ZN12_GLOBAL__N_135rocblas_gemm_batched_general_kernelI19rocblas_complex_numIdELi16ELi16ELi32ELi32ELi8ELi32ELi8ELi8ELi32ELc84ELc67EKS2_S3_S2_EEvlllT_PT11_llS6_llS4_PT12_llPT13_lli.num_named_barrier, 0
	.set _ZN12_GLOBAL__N_135rocblas_gemm_batched_general_kernelI19rocblas_complex_numIdELi16ELi16ELi32ELi32ELi8ELi32ELi8ELi8ELi32ELc84ELc67EKS2_S3_S2_EEvlllT_PT11_llS6_llS4_PT12_llPT13_lli.private_seg_size, 0
	.set _ZN12_GLOBAL__N_135rocblas_gemm_batched_general_kernelI19rocblas_complex_numIdELi16ELi16ELi32ELi32ELi8ELi32ELi8ELi8ELi32ELc84ELc67EKS2_S3_S2_EEvlllT_PT11_llS6_llS4_PT12_llPT13_lli.uses_vcc, 1
	.set _ZN12_GLOBAL__N_135rocblas_gemm_batched_general_kernelI19rocblas_complex_numIdELi16ELi16ELi32ELi32ELi8ELi32ELi8ELi8ELi32ELc84ELc67EKS2_S3_S2_EEvlllT_PT11_llS6_llS4_PT12_llPT13_lli.uses_flat_scratch, 0
	.set _ZN12_GLOBAL__N_135rocblas_gemm_batched_general_kernelI19rocblas_complex_numIdELi16ELi16ELi32ELi32ELi8ELi32ELi8ELi8ELi32ELc84ELc67EKS2_S3_S2_EEvlllT_PT11_llS6_llS4_PT12_llPT13_lli.has_dyn_sized_stack, 0
	.set _ZN12_GLOBAL__N_135rocblas_gemm_batched_general_kernelI19rocblas_complex_numIdELi16ELi16ELi32ELi32ELi8ELi32ELi8ELi8ELi32ELc84ELc67EKS2_S3_S2_EEvlllT_PT11_llS6_llS4_PT12_llPT13_lli.has_recursion, 0
	.set _ZN12_GLOBAL__N_135rocblas_gemm_batched_general_kernelI19rocblas_complex_numIdELi16ELi16ELi32ELi32ELi8ELi32ELi8ELi8ELi32ELc84ELc67EKS2_S3_S2_EEvlllT_PT11_llS6_llS4_PT12_llPT13_lli.has_indirect_call, 0
	.section	.AMDGPU.csdata,"",@progbits
; Kernel info:
; codeLenInByte = 3812
; TotalNumSgprs: 54
; NumVgprs: 129
; ScratchSize: 0
; MemoryBound: 1
; FloatMode: 240
; IeeeMode: 1
; LDSByteSize: 8192 bytes/workgroup (compile time only)
; SGPRBlocks: 0
; VGPRBlocks: 16
; NumSGPRsForWavesPerEU: 54
; NumVGPRsForWavesPerEU: 129
; Occupancy: 10
; WaveLimiterHint : 0
; COMPUTE_PGM_RSRC2:SCRATCH_EN: 0
; COMPUTE_PGM_RSRC2:USER_SGPR: 2
; COMPUTE_PGM_RSRC2:TRAP_HANDLER: 0
; COMPUTE_PGM_RSRC2:TGID_X_EN: 1
; COMPUTE_PGM_RSRC2:TGID_Y_EN: 1
; COMPUTE_PGM_RSRC2:TGID_Z_EN: 1
; COMPUTE_PGM_RSRC2:TIDIG_COMP_CNT: 1
	.section	.text._ZN12_GLOBAL__N_125rocblas_gemm_scale_kernelILi32ELi32EDF16_PKPDF16_EEviiT1_T2_llli,"axG",@progbits,_ZN12_GLOBAL__N_125rocblas_gemm_scale_kernelILi32ELi32EDF16_PKPDF16_EEviiT1_T2_llli,comdat
	.globl	_ZN12_GLOBAL__N_125rocblas_gemm_scale_kernelILi32ELi32EDF16_PKPDF16_EEviiT1_T2_llli ; -- Begin function _ZN12_GLOBAL__N_125rocblas_gemm_scale_kernelILi32ELi32EDF16_PKPDF16_EEviiT1_T2_llli
	.p2align	8
	.type	_ZN12_GLOBAL__N_125rocblas_gemm_scale_kernelILi32ELi32EDF16_PKPDF16_EEviiT1_T2_llli,@function
_ZN12_GLOBAL__N_125rocblas_gemm_scale_kernelILi32ELi32EDF16_PKPDF16_EEviiT1_T2_llli: ; @_ZN12_GLOBAL__N_125rocblas_gemm_scale_kernelILi32ELi32EDF16_PKPDF16_EEviiT1_T2_llli
; %bb.0:
	s_load_b32 s11, s[0:1], 0x30
	s_lshr_b32 s2, ttmp7, 16
	s_wait_kmcnt 0x0
	s_cmp_ge_u32 s2, s11
	s_cbranch_scc1 .LBB145_8
; %bb.1:
	s_load_b64 s[12:13], s[0:1], 0x20
	v_bfe_u32 v1, v0, 10, 10
	s_and_b32 s3, ttmp7, 0xffff
	s_clause 0x1
	s_load_b96 s[8:10], s[0:1], 0x0
	s_load_b128 s[4:7], s[0:1], 0x10
	v_lshl_add_u32 v5, s3, 5, v1
	s_mov_b32 s3, 0
	s_wait_kmcnt 0x0
	s_delay_alu instid0(VALU_DEP_1) | instskip(SKIP_2) | instid1(VALU_DEP_3)
	v_mad_co_u64_u32 v[2:3], null, s12, v5, 0
	v_and_b32_e32 v1, 0x3ff, v0
	v_cmp_gt_u32_e64 s0, s9, v5
	v_mov_b32_e32 v0, v3
	s_delay_alu instid0(VALU_DEP_3) | instskip(NEXT) | instid1(VALU_DEP_2)
	v_lshl_add_u32 v4, ttmp9, 5, v1
	v_mad_co_u64_u32 v[0:1], null, s13, v5, v[0:1]
	s_delay_alu instid0(VALU_DEP_2) | instskip(SKIP_2) | instid1(VALU_DEP_3)
	v_cmp_gt_u32_e32 vcc_lo, s8, v4
	v_mov_b32_e32 v5, 0
	s_and_b32 s8, vcc_lo, s0
	v_mov_b32_e32 v3, v0
	s_cmp_neq_f16 s10, 0
	s_delay_alu instid0(VALU_DEP_2) | instskip(SKIP_1) | instid1(VALU_DEP_2)
	v_lshlrev_b64_e32 v[0:1], 1, v[4:5]
	s_cselect_b32 s9, -1, 0
	v_lshlrev_b64_e32 v[2:3], 1, v[2:3]
	s_lshl_b64 s[0:1], s[6:7], 1
	s_branch .LBB145_5
.LBB145_2:                              ;   in Loop: Header=BB145_5 Depth=1
	s_wait_alu 0xfffe
	v_add_co_u32 v4, vcc_lo, s6, v2
	s_wait_alu 0xfffd
	v_add_co_ci_u32_e64 v5, null, s7, v3, vcc_lo
	s_delay_alu instid0(VALU_DEP_2) | instskip(SKIP_1) | instid1(VALU_DEP_2)
	v_add_co_u32 v4, vcc_lo, v4, v0
	s_wait_alu 0xfffd
	v_add_co_ci_u32_e64 v5, null, v5, v1, vcc_lo
	flat_load_u16 v4, v[4:5]
	s_wait_loadcnt_dscnt 0x0
	v_mul_f16_e32 v4, s10, v4
.LBB145_3:                              ;   in Loop: Header=BB145_5 Depth=1
	s_wait_alu 0xfffe
	v_add_co_u32 v5, vcc_lo, s6, v2
	s_wait_alu 0xfffd
	v_add_co_ci_u32_e64 v6, null, s7, v3, vcc_lo
	s_delay_alu instid0(VALU_DEP_2) | instskip(SKIP_1) | instid1(VALU_DEP_2)
	v_add_co_u32 v5, vcc_lo, v5, v0
	s_wait_alu 0xfffd
	v_add_co_ci_u32_e64 v6, null, v6, v1, vcc_lo
	flat_store_b16 v[5:6], v4
.LBB145_4:                              ;   in Loop: Header=BB145_5 Depth=1
	s_wait_alu 0xfffe
	s_or_b32 exec_lo, exec_lo, s12
	s_add_co_i32 s2, s2, 0x10000
	s_wait_alu 0xfffe
	s_cmp_lt_u32 s2, s11
	s_cbranch_scc0 .LBB145_8
.LBB145_5:                              ; =>This Inner Loop Header: Depth=1
	s_wait_alu 0xfffe
	s_and_saveexec_b32 s12, s8
	s_cbranch_execz .LBB145_4
; %bb.6:                                ;   in Loop: Header=BB145_5 Depth=1
	s_lshl_b64 s[6:7], s[2:3], 3
	s_and_not1_b32 vcc_lo, exec_lo, s9
	s_wait_alu 0xfffe
	s_add_nc_u64 s[6:7], s[4:5], s[6:7]
	s_load_b64 s[6:7], s[6:7], 0x0
	s_wait_kmcnt 0x0
	s_add_nc_u64 s[6:7], s[6:7], s[0:1]
	s_cbranch_vccz .LBB145_2
; %bb.7:                                ;   in Loop: Header=BB145_5 Depth=1
	v_mov_b32_e32 v4, 0
	s_branch .LBB145_3
.LBB145_8:
	s_endpgm
	.section	.rodata,"a",@progbits
	.p2align	6, 0x0
	.amdhsa_kernel _ZN12_GLOBAL__N_125rocblas_gemm_scale_kernelILi32ELi32EDF16_PKPDF16_EEviiT1_T2_llli
		.amdhsa_group_segment_fixed_size 0
		.amdhsa_private_segment_fixed_size 0
		.amdhsa_kernarg_size 52
		.amdhsa_user_sgpr_count 2
		.amdhsa_user_sgpr_dispatch_ptr 0
		.amdhsa_user_sgpr_queue_ptr 0
		.amdhsa_user_sgpr_kernarg_segment_ptr 1
		.amdhsa_user_sgpr_dispatch_id 0
		.amdhsa_user_sgpr_private_segment_size 0
		.amdhsa_wavefront_size32 1
		.amdhsa_uses_dynamic_stack 0
		.amdhsa_enable_private_segment 0
		.amdhsa_system_sgpr_workgroup_id_x 1
		.amdhsa_system_sgpr_workgroup_id_y 1
		.amdhsa_system_sgpr_workgroup_id_z 1
		.amdhsa_system_sgpr_workgroup_info 0
		.amdhsa_system_vgpr_workitem_id 1
		.amdhsa_next_free_vgpr 7
		.amdhsa_next_free_sgpr 14
		.amdhsa_reserve_vcc 1
		.amdhsa_float_round_mode_32 0
		.amdhsa_float_round_mode_16_64 0
		.amdhsa_float_denorm_mode_32 3
		.amdhsa_float_denorm_mode_16_64 3
		.amdhsa_fp16_overflow 0
		.amdhsa_workgroup_processor_mode 1
		.amdhsa_memory_ordered 1
		.amdhsa_forward_progress 1
		.amdhsa_inst_pref_size 4
		.amdhsa_round_robin_scheduling 0
		.amdhsa_exception_fp_ieee_invalid_op 0
		.amdhsa_exception_fp_denorm_src 0
		.amdhsa_exception_fp_ieee_div_zero 0
		.amdhsa_exception_fp_ieee_overflow 0
		.amdhsa_exception_fp_ieee_underflow 0
		.amdhsa_exception_fp_ieee_inexact 0
		.amdhsa_exception_int_div_zero 0
	.end_amdhsa_kernel
	.section	.text._ZN12_GLOBAL__N_125rocblas_gemm_scale_kernelILi32ELi32EDF16_PKPDF16_EEviiT1_T2_llli,"axG",@progbits,_ZN12_GLOBAL__N_125rocblas_gemm_scale_kernelILi32ELi32EDF16_PKPDF16_EEviiT1_T2_llli,comdat
.Lfunc_end145:
	.size	_ZN12_GLOBAL__N_125rocblas_gemm_scale_kernelILi32ELi32EDF16_PKPDF16_EEviiT1_T2_llli, .Lfunc_end145-_ZN12_GLOBAL__N_125rocblas_gemm_scale_kernelILi32ELi32EDF16_PKPDF16_EEviiT1_T2_llli
                                        ; -- End function
	.set _ZN12_GLOBAL__N_125rocblas_gemm_scale_kernelILi32ELi32EDF16_PKPDF16_EEviiT1_T2_llli.num_vgpr, 7
	.set _ZN12_GLOBAL__N_125rocblas_gemm_scale_kernelILi32ELi32EDF16_PKPDF16_EEviiT1_T2_llli.num_agpr, 0
	.set _ZN12_GLOBAL__N_125rocblas_gemm_scale_kernelILi32ELi32EDF16_PKPDF16_EEviiT1_T2_llli.numbered_sgpr, 14
	.set _ZN12_GLOBAL__N_125rocblas_gemm_scale_kernelILi32ELi32EDF16_PKPDF16_EEviiT1_T2_llli.num_named_barrier, 0
	.set _ZN12_GLOBAL__N_125rocblas_gemm_scale_kernelILi32ELi32EDF16_PKPDF16_EEviiT1_T2_llli.private_seg_size, 0
	.set _ZN12_GLOBAL__N_125rocblas_gemm_scale_kernelILi32ELi32EDF16_PKPDF16_EEviiT1_T2_llli.uses_vcc, 1
	.set _ZN12_GLOBAL__N_125rocblas_gemm_scale_kernelILi32ELi32EDF16_PKPDF16_EEviiT1_T2_llli.uses_flat_scratch, 0
	.set _ZN12_GLOBAL__N_125rocblas_gemm_scale_kernelILi32ELi32EDF16_PKPDF16_EEviiT1_T2_llli.has_dyn_sized_stack, 0
	.set _ZN12_GLOBAL__N_125rocblas_gemm_scale_kernelILi32ELi32EDF16_PKPDF16_EEviiT1_T2_llli.has_recursion, 0
	.set _ZN12_GLOBAL__N_125rocblas_gemm_scale_kernelILi32ELi32EDF16_PKPDF16_EEviiT1_T2_llli.has_indirect_call, 0
	.section	.AMDGPU.csdata,"",@progbits
; Kernel info:
; codeLenInByte = 400
; TotalNumSgprs: 16
; NumVgprs: 7
; ScratchSize: 0
; MemoryBound: 0
; FloatMode: 240
; IeeeMode: 1
; LDSByteSize: 0 bytes/workgroup (compile time only)
; SGPRBlocks: 0
; VGPRBlocks: 0
; NumSGPRsForWavesPerEU: 16
; NumVGPRsForWavesPerEU: 7
; Occupancy: 16
; WaveLimiterHint : 1
; COMPUTE_PGM_RSRC2:SCRATCH_EN: 0
; COMPUTE_PGM_RSRC2:USER_SGPR: 2
; COMPUTE_PGM_RSRC2:TRAP_HANDLER: 0
; COMPUTE_PGM_RSRC2:TGID_X_EN: 1
; COMPUTE_PGM_RSRC2:TGID_Y_EN: 1
; COMPUTE_PGM_RSRC2:TGID_Z_EN: 1
; COMPUTE_PGM_RSRC2:TIDIG_COMP_CNT: 1
	.section	.text._ZN12_GLOBAL__N_120gemm_ex_scale_kernelILi32ELi32EDF16_PKPKDF16_PKPDF16_EEviiT1_T2_lllT3_llli,"axG",@progbits,_ZN12_GLOBAL__N_120gemm_ex_scale_kernelILi32ELi32EDF16_PKPKDF16_PKPDF16_EEviiT1_T2_lllT3_llli,comdat
	.globl	_ZN12_GLOBAL__N_120gemm_ex_scale_kernelILi32ELi32EDF16_PKPKDF16_PKPDF16_EEviiT1_T2_lllT3_llli ; -- Begin function _ZN12_GLOBAL__N_120gemm_ex_scale_kernelILi32ELi32EDF16_PKPKDF16_PKPDF16_EEviiT1_T2_lllT3_llli
	.p2align	8
	.type	_ZN12_GLOBAL__N_120gemm_ex_scale_kernelILi32ELi32EDF16_PKPKDF16_PKPDF16_EEviiT1_T2_lllT3_llli,@function
_ZN12_GLOBAL__N_120gemm_ex_scale_kernelILi32ELi32EDF16_PKPKDF16_PKPDF16_EEviiT1_T2_lllT3_llli: ; @_ZN12_GLOBAL__N_120gemm_ex_scale_kernelILi32ELi32EDF16_PKPKDF16_PKPDF16_EEviiT1_T2_lllT3_llli
; %bb.0:
	s_load_b32 s15, s[0:1], 0x50
	s_lshr_b32 s2, ttmp7, 16
	s_wait_kmcnt 0x0
	s_cmp_ge_u32 s2, s15
	s_cbranch_scc1 .LBB146_10
; %bb.1:
	s_clause 0x3
	s_load_b96 s[12:14], s[0:1], 0x0
	s_load_b64 s[18:19], s[0:1], 0x20
	s_load_b64 s[20:21], s[0:1], 0x40
	s_load_b128 s[4:7], s[0:1], 0x10
	v_bfe_u32 v1, v0, 10, 10
	s_load_b128 s[8:11], s[0:1], 0x30
	v_and_b32_e32 v7, 0x3ff, v0
	s_wait_kmcnt 0x0
	s_cmp_neq_f16 s14, 0
	s_cselect_b32 s16, -1, 0
	s_and_b32 s3, ttmp7, 0xffff
	s_delay_alu instid0(SALU_CYCLE_1) | instskip(SKIP_1) | instid1(VALU_DEP_1)
	v_lshl_add_u32 v8, s3, 5, v1
	s_mov_b32 s3, 0
	v_mad_co_u64_u32 v[2:3], null, s18, v8, 0
	v_mad_co_u64_u32 v[4:5], null, s20, v8, 0
	v_cmp_gt_u32_e64 s0, s13, v8
	s_delay_alu instid0(VALU_DEP_3) | instskip(NEXT) | instid1(VALU_DEP_3)
	v_mov_b32_e32 v1, v3
	v_mov_b32_e32 v3, v5
	s_delay_alu instid0(VALU_DEP_2) | instskip(NEXT) | instid1(VALU_DEP_2)
	v_mad_co_u64_u32 v[0:1], null, s19, v8, v[1:2]
	v_mad_co_u64_u32 v[5:6], null, s21, v8, v[3:4]
	v_lshl_add_u32 v6, ttmp9, 5, v7
	v_mov_b32_e32 v7, 0
	s_delay_alu instid0(VALU_DEP_4) | instskip(NEXT) | instid1(VALU_DEP_3)
	v_mov_b32_e32 v3, v0
	v_cmp_gt_u32_e32 vcc_lo, s12, v6
	s_delay_alu instid0(VALU_DEP_3) | instskip(SKIP_1) | instid1(VALU_DEP_4)
	v_lshlrev_b64_e32 v[0:1], 1, v[6:7]
	v_lshlrev_b64_e32 v[4:5], 1, v[4:5]
	v_lshlrev_b64_e32 v[2:3], 1, v[2:3]
	s_and_b32 s12, vcc_lo, s0
	s_lshl_b64 s[0:1], s[6:7], 1
	s_lshl_b64 s[6:7], s[10:11], 1
	s_branch .LBB146_5
.LBB146_2:                              ;   in Loop: Header=BB146_5 Depth=1
	v_add_co_u32 v6, vcc_lo, s10, v2
	s_wait_alu 0xfffd
	v_add_co_ci_u32_e64 v7, null, s11, v3, vcc_lo
	s_delay_alu instid0(VALU_DEP_2) | instskip(SKIP_1) | instid1(VALU_DEP_2)
	v_add_co_u32 v6, vcc_lo, v6, v0
	s_wait_alu 0xfffd
	v_add_co_ci_u32_e64 v7, null, v7, v1, vcc_lo
	flat_load_u16 v6, v[6:7]
	s_wait_loadcnt_dscnt 0x0
	v_mul_f16_e32 v6, s14, v6
.LBB146_3:                              ;   in Loop: Header=BB146_5 Depth=1
	s_lshl_b64 s[10:11], s[2:3], 3
	s_wait_alu 0xfffe
	s_add_nc_u64 s[10:11], s[8:9], s[10:11]
	s_load_b64 s[10:11], s[10:11], 0x0
	s_wait_kmcnt 0x0
	s_add_nc_u64 s[10:11], s[10:11], s[6:7]
	s_wait_alu 0xfffe
	v_add_co_u32 v7, vcc_lo, s10, v4
	s_wait_alu 0xfffd
	v_add_co_ci_u32_e64 v8, null, s11, v5, vcc_lo
	s_delay_alu instid0(VALU_DEP_2) | instskip(SKIP_1) | instid1(VALU_DEP_2)
	v_add_co_u32 v7, vcc_lo, v7, v0
	s_wait_alu 0xfffd
	v_add_co_ci_u32_e64 v8, null, v8, v1, vcc_lo
	flat_store_b16 v[7:8], v6
.LBB146_4:                              ;   in Loop: Header=BB146_5 Depth=1
	s_wait_alu 0xfffe
	s_or_b32 exec_lo, exec_lo, s13
	s_add_co_i32 s2, s2, 0x10000
	s_wait_alu 0xfffe
	s_cmp_lt_u32 s2, s15
	s_cbranch_scc0 .LBB146_10
.LBB146_5:                              ; =>This Inner Loop Header: Depth=1
	s_and_not1_b32 vcc_lo, exec_lo, s16
	s_wait_alu 0xfffe
	s_cbranch_vccnz .LBB146_7
; %bb.6:                                ;   in Loop: Header=BB146_5 Depth=1
	s_lshl_b64 s[10:11], s[2:3], 3
	s_wait_alu 0xfffe
	s_add_nc_u64 s[10:11], s[4:5], s[10:11]
	s_load_b64 s[10:11], s[10:11], 0x0
	s_wait_kmcnt 0x0
	s_add_nc_u64 s[10:11], s[10:11], s[0:1]
	s_and_saveexec_b32 s13, s12
	s_cbranch_execz .LBB146_4
	s_branch .LBB146_8
.LBB146_7:                              ;   in Loop: Header=BB146_5 Depth=1
	s_mov_b64 s[10:11], 0
	s_and_saveexec_b32 s13, s12
	s_cbranch_execz .LBB146_4
.LBB146_8:                              ;   in Loop: Header=BB146_5 Depth=1
	s_and_not1_b32 vcc_lo, exec_lo, s16
	s_wait_alu 0xfffe
	s_cbranch_vccz .LBB146_2
; %bb.9:                                ;   in Loop: Header=BB146_5 Depth=1
	v_mov_b32_e32 v6, 0
	s_branch .LBB146_3
.LBB146_10:
	s_endpgm
	.section	.rodata,"a",@progbits
	.p2align	6, 0x0
	.amdhsa_kernel _ZN12_GLOBAL__N_120gemm_ex_scale_kernelILi32ELi32EDF16_PKPKDF16_PKPDF16_EEviiT1_T2_lllT3_llli
		.amdhsa_group_segment_fixed_size 0
		.amdhsa_private_segment_fixed_size 0
		.amdhsa_kernarg_size 84
		.amdhsa_user_sgpr_count 2
		.amdhsa_user_sgpr_dispatch_ptr 0
		.amdhsa_user_sgpr_queue_ptr 0
		.amdhsa_user_sgpr_kernarg_segment_ptr 1
		.amdhsa_user_sgpr_dispatch_id 0
		.amdhsa_user_sgpr_private_segment_size 0
		.amdhsa_wavefront_size32 1
		.amdhsa_uses_dynamic_stack 0
		.amdhsa_enable_private_segment 0
		.amdhsa_system_sgpr_workgroup_id_x 1
		.amdhsa_system_sgpr_workgroup_id_y 1
		.amdhsa_system_sgpr_workgroup_id_z 1
		.amdhsa_system_sgpr_workgroup_info 0
		.amdhsa_system_vgpr_workitem_id 1
		.amdhsa_next_free_vgpr 9
		.amdhsa_next_free_sgpr 22
		.amdhsa_reserve_vcc 1
		.amdhsa_float_round_mode_32 0
		.amdhsa_float_round_mode_16_64 0
		.amdhsa_float_denorm_mode_32 3
		.amdhsa_float_denorm_mode_16_64 3
		.amdhsa_fp16_overflow 0
		.amdhsa_workgroup_processor_mode 1
		.amdhsa_memory_ordered 1
		.amdhsa_forward_progress 1
		.amdhsa_inst_pref_size 4
		.amdhsa_round_robin_scheduling 0
		.amdhsa_exception_fp_ieee_invalid_op 0
		.amdhsa_exception_fp_denorm_src 0
		.amdhsa_exception_fp_ieee_div_zero 0
		.amdhsa_exception_fp_ieee_overflow 0
		.amdhsa_exception_fp_ieee_underflow 0
		.amdhsa_exception_fp_ieee_inexact 0
		.amdhsa_exception_int_div_zero 0
	.end_amdhsa_kernel
	.section	.text._ZN12_GLOBAL__N_120gemm_ex_scale_kernelILi32ELi32EDF16_PKPKDF16_PKPDF16_EEviiT1_T2_lllT3_llli,"axG",@progbits,_ZN12_GLOBAL__N_120gemm_ex_scale_kernelILi32ELi32EDF16_PKPKDF16_PKPDF16_EEviiT1_T2_lllT3_llli,comdat
.Lfunc_end146:
	.size	_ZN12_GLOBAL__N_120gemm_ex_scale_kernelILi32ELi32EDF16_PKPKDF16_PKPDF16_EEviiT1_T2_lllT3_llli, .Lfunc_end146-_ZN12_GLOBAL__N_120gemm_ex_scale_kernelILi32ELi32EDF16_PKPKDF16_PKPDF16_EEviiT1_T2_lllT3_llli
                                        ; -- End function
	.set _ZN12_GLOBAL__N_120gemm_ex_scale_kernelILi32ELi32EDF16_PKPKDF16_PKPDF16_EEviiT1_T2_lllT3_llli.num_vgpr, 9
	.set _ZN12_GLOBAL__N_120gemm_ex_scale_kernelILi32ELi32EDF16_PKPKDF16_PKPDF16_EEviiT1_T2_lllT3_llli.num_agpr, 0
	.set _ZN12_GLOBAL__N_120gemm_ex_scale_kernelILi32ELi32EDF16_PKPKDF16_PKPDF16_EEviiT1_T2_lllT3_llli.numbered_sgpr, 22
	.set _ZN12_GLOBAL__N_120gemm_ex_scale_kernelILi32ELi32EDF16_PKPKDF16_PKPDF16_EEviiT1_T2_lllT3_llli.num_named_barrier, 0
	.set _ZN12_GLOBAL__N_120gemm_ex_scale_kernelILi32ELi32EDF16_PKPKDF16_PKPDF16_EEviiT1_T2_lllT3_llli.private_seg_size, 0
	.set _ZN12_GLOBAL__N_120gemm_ex_scale_kernelILi32ELi32EDF16_PKPKDF16_PKPDF16_EEviiT1_T2_lllT3_llli.uses_vcc, 1
	.set _ZN12_GLOBAL__N_120gemm_ex_scale_kernelILi32ELi32EDF16_PKPKDF16_PKPDF16_EEviiT1_T2_lllT3_llli.uses_flat_scratch, 0
	.set _ZN12_GLOBAL__N_120gemm_ex_scale_kernelILi32ELi32EDF16_PKPKDF16_PKPDF16_EEviiT1_T2_lllT3_llli.has_dyn_sized_stack, 0
	.set _ZN12_GLOBAL__N_120gemm_ex_scale_kernelILi32ELi32EDF16_PKPKDF16_PKPDF16_EEviiT1_T2_lllT3_llli.has_recursion, 0
	.set _ZN12_GLOBAL__N_120gemm_ex_scale_kernelILi32ELi32EDF16_PKPKDF16_PKPDF16_EEviiT1_T2_lllT3_llli.has_indirect_call, 0
	.section	.AMDGPU.csdata,"",@progbits
; Kernel info:
; codeLenInByte = 500
; TotalNumSgprs: 24
; NumVgprs: 9
; ScratchSize: 0
; MemoryBound: 0
; FloatMode: 240
; IeeeMode: 1
; LDSByteSize: 0 bytes/workgroup (compile time only)
; SGPRBlocks: 0
; VGPRBlocks: 1
; NumSGPRsForWavesPerEU: 24
; NumVGPRsForWavesPerEU: 9
; Occupancy: 16
; WaveLimiterHint : 1
; COMPUTE_PGM_RSRC2:SCRATCH_EN: 0
; COMPUTE_PGM_RSRC2:USER_SGPR: 2
; COMPUTE_PGM_RSRC2:TRAP_HANDLER: 0
; COMPUTE_PGM_RSRC2:TGID_X_EN: 1
; COMPUTE_PGM_RSRC2:TGID_Y_EN: 1
; COMPUTE_PGM_RSRC2:TGID_Z_EN: 1
; COMPUTE_PGM_RSRC2:TIDIG_COMP_CNT: 1
	.section	.text._ZN12_GLOBAL__N_127rocblas_gemm_batched_kernelIDF16_Li16ELi16ELi64ELi64ELi4ELi64ELi4ELi4ELi64ELc78ELc78EKPKDF16_S3_KPDF16_EEvlllT_PT11_llS8_llS6_PT12_llPT13_lli,"axG",@progbits,_ZN12_GLOBAL__N_127rocblas_gemm_batched_kernelIDF16_Li16ELi16ELi64ELi64ELi4ELi64ELi4ELi4ELi64ELc78ELc78EKPKDF16_S3_KPDF16_EEvlllT_PT11_llS8_llS6_PT12_llPT13_lli,comdat
	.globl	_ZN12_GLOBAL__N_127rocblas_gemm_batched_kernelIDF16_Li16ELi16ELi64ELi64ELi4ELi64ELi4ELi4ELi64ELc78ELc78EKPKDF16_S3_KPDF16_EEvlllT_PT11_llS8_llS6_PT12_llPT13_lli ; -- Begin function _ZN12_GLOBAL__N_127rocblas_gemm_batched_kernelIDF16_Li16ELi16ELi64ELi64ELi4ELi64ELi4ELi4ELi64ELc78ELc78EKPKDF16_S3_KPDF16_EEvlllT_PT11_llS8_llS6_PT12_llPT13_lli
	.p2align	8
	.type	_ZN12_GLOBAL__N_127rocblas_gemm_batched_kernelIDF16_Li16ELi16ELi64ELi64ELi4ELi64ELi4ELi4ELi64ELc78ELc78EKPKDF16_S3_KPDF16_EEvlllT_PT11_llS8_llS6_PT12_llPT13_lli,@function
_ZN12_GLOBAL__N_127rocblas_gemm_batched_kernelIDF16_Li16ELi16ELi64ELi64ELi4ELi64ELi4ELi4ELi64ELc78ELc78EKPKDF16_S3_KPDF16_EEvlllT_PT11_llS8_llS6_PT12_llPT13_lli: ; @_ZN12_GLOBAL__N_127rocblas_gemm_batched_kernelIDF16_Li16ELi16ELi64ELi64ELi4ELi64ELi4ELi4ELi64ELc78ELc78EKPKDF16_S3_KPDF16_EEvlllT_PT11_llS8_llS6_PT12_llPT13_lli
; %bb.0:
	s_load_b32 s31, s[0:1], 0x88
	s_lshr_b32 s2, ttmp7, 16
	s_wait_kmcnt 0x0
	s_cmp_ge_i32 s2, s31
	s_cbranch_scc1 .LBB147_11
; %bb.1:
	v_and_b32_e32 v12, 0x3ff, v0
	v_bfe_u32 v6, v0, 10, 10
	s_clause 0x5
	s_load_b96 s[28:30], s[0:1], 0x10
	s_load_b256 s[4:11], s[0:1], 0x20
	s_load_b128 s[20:23], s[0:1], 0x78
	s_load_b128 s[24:27], s[0:1], 0x40
	s_load_b32 s33, s[0:1], 0x50
	s_load_b256 s[12:19], s[0:1], 0x58
	v_lshlrev_b32_e32 v0, 1, v0
	s_lshl_b32 s0, ttmp7, 6
	v_lshl_add_u32 v1, v6, 4, v12
	v_mov_b32_e32 v14, 0
	s_and_b32 s3, s0, 0x3fffc0
	v_and_b32_e32 v21, 6, v0
	v_add_nc_u32_e32 v9, s3, v6
	v_and_b32_e32 v13, 63, v1
	v_lshrrev_b32_e32 v19, 6, v1
	v_lshrrev_b32_e32 v1, 2, v1
	v_lshl_add_u32 v18, v6, 3, 0x200
	s_mov_b32 s34, ttmp9
	s_ashr_i32 s35, ttmp9, 31
	s_delay_alu instid0(VALU_DEP_2)
	v_lshl_or_b32 v4, v1, 3, v21
	v_add_nc_u32_e32 v11, s3, v1
	s_lshl_b64 s[0:1], s[34:35], 6
	s_mov_b32 s3, 0
	s_wait_kmcnt 0x0
	v_mad_co_u64_u32 v[2:3], null, v9, s20, 0
	v_add_nc_u32_e32 v16, 0x200, v4
	v_mad_co_u64_u32 v[4:5], null, s24, v11, 0
	s_cmp_eq_f16 s33, 0
	s_cselect_b32 s24, -1, 0
	s_lshl_b64 s[34:35], s[14:15], 4
	v_mad_co_u64_u32 v[6:7], null, v9, s21, v[3:4]
	v_dual_mov_b32 v3, v5 :: v_dual_lshlrev_b32 v0, 1, v13
	v_mad_co_u64_u32 v[7:8], null, s6, v19, s[0:1]
	v_lshlrev_b32_e32 v17, 1, v12
	s_delay_alu instid0(VALU_DEP_3)
	v_lshl_or_b32 v15, v19, 7, v0
	v_mad_co_u64_u32 v[0:1], null, v9, s14, 0
	s_lshl_b64 s[20:21], s[20:21], 4
	s_wait_alu 0xfffe
	s_lshl_b64 s[20:21], s[20:21], 1
	v_mad_co_u64_u32 v[9:10], null, v9, s15, v[1:2]
	v_mad_co_u64_u32 v[10:11], null, s25, v11, v[3:4]
	v_mov_b32_e32 v1, v8
	v_add_co_u32 v11, s0, s0, v12
	v_mov_b32_e32 v3, v6
	v_add_co_u32 v6, vcc_lo, v7, v13
	v_mov_b32_e32 v5, v10
	v_mad_co_u64_u32 v[19:20], null, s7, v19, v[1:2]
	s_wait_alu 0xf1ff
	v_add_co_ci_u32_e64 v12, null, s1, 0, s0
	s_delay_alu instid0(VALU_DEP_3)
	v_lshlrev_b64_e32 v[4:5], 1, v[4:5]
	s_lshl_b64 s[0:1], s[26:27], 1
	v_mov_b32_e32 v1, v9
	v_lshlrev_b64_e32 v[2:3], 1, v[2:3]
	v_add_co_ci_u32_e64 v7, null, 0, v19, vcc_lo
	s_wait_alu 0xfffe
	v_add_co_u32 v8, vcc_lo, v4, s0
	s_wait_alu 0xfffd
	v_add_co_ci_u32_e64 v9, null, s1, v5, vcc_lo
	s_lshl_b64 s[0:1], s[8:9], 1
	v_cmp_gt_i64_e64 s8, s[28:29], 0
	v_lshlrev_b64_e32 v[4:5], 1, v[6:7]
	v_add_co_u32 v19, vcc_lo, v8, v21
	s_wait_alu 0xfffd
	v_add_co_ci_u32_e64 v20, null, 0, v9, vcc_lo
	s_delay_alu instid0(VALU_DEP_4)
	v_cndmask_b32_e64 v6, 0, 1, s8
	s_wait_alu 0xfffe
	v_add_co_u32 v21, vcc_lo, s0, v4
	s_wait_alu 0xfffd
	v_add_co_ci_u32_e64 v22, null, s1, v5, vcc_lo
	v_lshlrev_b64_e32 v[0:1], 1, v[0:1]
	v_lshlrev_b64_e32 v[4:5], 1, v[11:12]
	v_cmp_ne_u32_e64 s0, 1, v6
	s_lshl_b64 s[6:7], s[6:7], 3
	s_lshl_b64 s[8:9], s[22:23], 1
	;; [unrolled: 1-line block ×4, first 2 shown]
	s_branch .LBB147_3
.LBB147_2:                              ;   in Loop: Header=BB147_3 Depth=1
	s_add_co_i32 s2, s2, 0x10000
	s_wait_alu 0xfffe
	s_cmp_lt_i32 s2, s31
	s_cbranch_scc0 .LBB147_11
.LBB147_3:                              ; =>This Loop Header: Depth=1
                                        ;     Child Loop BB147_5 Depth 2
	s_lshl_b64 s[22:23], s[2:3], 3
	s_and_b32 vcc_lo, exec_lo, s0
	s_wait_alu 0xfffe
	s_add_nc_u64 s[26:27], s[12:13], s[22:23]
	s_add_nc_u64 s[34:35], s[18:19], s[22:23]
	s_clause 0x1
	global_load_b64 v[6:7], v14, s[26:27]
	global_load_b64 v[8:9], v14, s[34:35]
	s_cbranch_vccnz .LBB147_6
; %bb.4:                                ;   in Loop: Header=BB147_3 Depth=1
	s_add_nc_u64 s[26:27], s[10:11], s[22:23]
	s_add_nc_u64 s[22:23], s[4:5], s[22:23]
	s_clause 0x1
	global_load_b64 v[10:11], v14, s[26:27]
	global_load_b64 v[12:13], v14, s[22:23]
	v_dual_mov_b32 v23, 0 :: v_dual_mov_b32 v24, 0
	v_dual_mov_b32 v25, 0 :: v_dual_mov_b32 v26, 0
	;; [unrolled: 1-line block ×4, first 2 shown]
	s_mov_b64 s[22:23], 0
	s_wait_loadcnt 0x1
	v_add_co_u32 v10, vcc_lo, v10, v19
	s_wait_alu 0xfffd
	v_add_co_ci_u32_e64 v11, null, v11, v20, vcc_lo
	s_wait_loadcnt 0x0
	v_add_co_u32 v12, vcc_lo, v12, v21
	s_wait_alu 0xfffd
	v_add_co_ci_u32_e64 v13, null, v13, v22, vcc_lo
.LBB147_5:                              ;   Parent Loop BB147_3 Depth=1
                                        ; =>  This Inner Loop Header: Depth=2
	flat_load_u16 v31, v[12:13]
	s_wait_alu 0xfffe
	s_add_nc_u64 s[22:23], s[22:23], 4
	v_add_co_u32 v12, vcc_lo, v12, s6
	s_wait_alu 0xfffe
	v_cmp_lt_i64_e64 s1, s[22:23], s[28:29]
	s_wait_alu 0xfffd
	v_add_co_ci_u32_e64 v13, null, s7, v13, vcc_lo
	s_and_b32 vcc_lo, exec_lo, s1
	s_wait_loadcnt_dscnt 0x0
	ds_store_b16 v15, v31
	flat_load_u16 v31, v[10:11]
	v_add_co_u32 v10, s1, v10, 8
	s_wait_alu 0xf1ff
	v_add_co_ci_u32_e64 v11, null, 0, v11, s1
	s_wait_loadcnt_dscnt 0x0
	ds_store_b16 v16, v31
	s_wait_dscnt 0x0
	s_barrier_signal -1
	s_barrier_wait -1
	global_inv scope:SCOPE_SE
	ds_load_u16 v39, v17 offset:32
	ds_load_u16 v40, v17 offset:96
	ds_load_u16 v41, v17 offset:160
	ds_load_u16 v42, v17 offset:224
	ds_load_u16 v43, v17 offset:288
	ds_load_u16 v44, v17 offset:352
	ds_load_u16 v45, v17 offset:416
	ds_load_u16 v46, v17 offset:480
	ds_load_2addr_b64 v[31:34], v18 offset1:16
	ds_load_2addr_b64 v[35:38], v18 offset0:32 offset1:48
	s_wait_dscnt 0x9
	ds_load_u16_d16_hi v39, v17
	s_wait_dscnt 0x9
	ds_load_u16_d16_hi v40, v17 offset:64
	s_wait_dscnt 0x9
	ds_load_u16_d16_hi v41, v17 offset:128
	;; [unrolled: 2-line block ×7, first 2 shown]
	s_wait_loadcnt_dscnt 0x0
	s_barrier_signal -1
	s_barrier_wait -1
	global_inv scope:SCOPE_SE
	v_pk_fma_f16 v30, v39, v31, v30 op_sel_hi:[1,0,1]
	v_pk_fma_f16 v29, v40, v31, v29 op_sel_hi:[1,0,1]
	;; [unrolled: 1-line block ×8, first 2 shown]
	v_pk_fma_f16 v30, v41, v31, v30 op_sel:[0,1,0]
	v_pk_fma_f16 v29, v42, v31, v29 op_sel:[0,1,0]
	;; [unrolled: 1-line block ×8, first 2 shown]
	v_pk_fma_f16 v30, v43, v32, v30 op_sel_hi:[1,0,1]
	v_pk_fma_f16 v29, v44, v32, v29 op_sel_hi:[1,0,1]
	;; [unrolled: 1-line block ×8, first 2 shown]
	v_pk_fma_f16 v30, v45, v32, v30 op_sel:[0,1,0]
	v_pk_fma_f16 v29, v46, v32, v29 op_sel:[0,1,0]
	;; [unrolled: 1-line block ×8, first 2 shown]
	s_wait_alu 0xfffe
	s_cbranch_vccnz .LBB147_5
	s_branch .LBB147_7
.LBB147_6:                              ;   in Loop: Header=BB147_3 Depth=1
	v_dual_mov_b32 v30, 0 :: v_dual_mov_b32 v29, 0
	v_dual_mov_b32 v28, 0 :: v_dual_mov_b32 v27, 0
	;; [unrolled: 1-line block ×4, first 2 shown]
.LBB147_7:                              ;   in Loop: Header=BB147_3 Depth=1
	s_wait_loadcnt 0x0
	v_add_co_u32 v33, vcc_lo, v8, s8
	s_wait_alu 0xfffd
	v_add_co_ci_u32_e64 v34, null, s9, v9, vcc_lo
	v_lshrrev_b32_e32 v32, 16, v30
	v_lshrrev_b32_e32 v31, 16, v29
	;; [unrolled: 1-line block ×8, first 2 shown]
	s_and_not1_b32 vcc_lo, exec_lo, s24
	s_wait_alu 0xfffe
	s_cbranch_vccnz .LBB147_9
; %bb.8:                                ;   in Loop: Header=BB147_3 Depth=1
	v_add_co_u32 v37, vcc_lo, v33, v2
	s_wait_alu 0xfffd
	v_add_co_ci_u32_e64 v38, null, v34, v3, vcc_lo
	v_mul_f16_e32 v39, s30, v32
	s_delay_alu instid0(VALU_DEP_3) | instskip(SKIP_1) | instid1(VALU_DEP_3)
	v_add_co_u32 v35, vcc_lo, v37, v4
	s_wait_alu 0xfffd
	v_add_co_ci_u32_e64 v36, null, v38, v5, vcc_lo
	v_add_co_u32 v37, vcc_lo, v37, s20
	v_mul_f16_e32 v40, s30, v30
	v_mul_f16_e32 v41, s30, v31
	s_wait_alu 0xfffd
	v_add_co_ci_u32_e64 v38, null, s21, v38, vcc_lo
	v_mul_f16_e32 v42, s30, v29
	s_clause 0x3
	flat_store_b16 v[35:36], v39
	flat_store_b16 v[35:36], v40 offset:32
	flat_store_b16 v[35:36], v41 offset:64
	;; [unrolled: 1-line block ×3, first 2 shown]
	v_add_co_u32 v35, vcc_lo, v37, v4
	s_wait_alu 0xfffd
	v_add_co_ci_u32_e64 v36, null, v38, v5, vcc_lo
	v_add_co_u32 v43, vcc_lo, v37, s20
	s_wait_alu 0xfffd
	v_add_co_ci_u32_e64 v44, null, s21, v38, vcc_lo
	v_mul_f16_e32 v39, s30, v13
	v_mul_f16_e32 v40, s30, v28
	;; [unrolled: 1-line block ×3, first 2 shown]
	v_add_co_u32 v37, vcc_lo, v43, v4
	v_mul_f16_e32 v42, s30, v27
	v_mul_f16_e32 v45, s30, v11
	s_wait_alu 0xfffd
	v_add_co_ci_u32_e64 v38, null, v44, v5, vcc_lo
	v_mul_f16_e32 v46, s30, v26
	v_mul_f16_e32 v47, s30, v10
	;; [unrolled: 1-line block ×3, first 2 shown]
	s_clause 0x7
	flat_store_b16 v[35:36], v39
	flat_store_b16 v[35:36], v40 offset:32
	flat_store_b16 v[35:36], v41 offset:64
	;; [unrolled: 1-line block ×3, first 2 shown]
	flat_store_b16 v[37:38], v45
	flat_store_b16 v[37:38], v46 offset:32
	flat_store_b16 v[37:38], v47 offset:64
	;; [unrolled: 1-line block ×3, first 2 shown]
	v_add_co_u32 v35, vcc_lo, v43, s20
	s_wait_alu 0xfffd
	v_add_co_ci_u32_e64 v36, null, s21, v44, vcc_lo
	v_mul_f16_e32 v37, s30, v9
	s_delay_alu instid0(VALU_DEP_3) | instskip(SKIP_1) | instid1(VALU_DEP_3)
	v_add_co_u32 v35, vcc_lo, v35, v4
	s_wait_alu 0xfffd
	v_add_co_ci_u32_e64 v36, null, v36, v5, vcc_lo
	v_mul_f16_e32 v38, s30, v24
	v_mul_f16_e32 v39, s30, v8
	;; [unrolled: 1-line block ×3, first 2 shown]
	s_clause 0x3
	flat_store_b16 v[35:36], v37
	flat_store_b16 v[35:36], v38 offset:32
	flat_store_b16 v[35:36], v39 offset:64
	;; [unrolled: 1-line block ×3, first 2 shown]
	s_cbranch_execnz .LBB147_2
	s_branch .LBB147_10
.LBB147_9:                              ;   in Loop: Header=BB147_3 Depth=1
.LBB147_10:                             ;   in Loop: Header=BB147_3 Depth=1
	v_add_co_u32 v6, vcc_lo, v6, s14
	s_wait_alu 0xfffd
	v_add_co_ci_u32_e64 v7, null, s15, v7, vcc_lo
	s_delay_alu instid0(VALU_DEP_2) | instskip(SKIP_1) | instid1(VALU_DEP_2)
	v_add_co_u32 v35, vcc_lo, v6, v0
	s_wait_alu 0xfffd
	v_add_co_ci_u32_e64 v36, null, v7, v1, vcc_lo
	s_delay_alu instid0(VALU_DEP_2) | instskip(SKIP_1) | instid1(VALU_DEP_2)
	v_add_co_u32 v6, vcc_lo, v35, v4
	s_wait_alu 0xfffd
	v_add_co_ci_u32_e64 v7, null, v36, v5, vcc_lo
	v_add_co_u32 v38, vcc_lo, v33, v2
	s_wait_alu 0xfffd
	v_add_co_ci_u32_e64 v39, null, v34, v3, vcc_lo
	flat_load_u16 v37, v[6:7]
	v_add_co_u32 v33, vcc_lo, v38, v4
	s_wait_alu 0xfffd
	v_add_co_ci_u32_e64 v34, null, v39, v5, vcc_lo
	s_wait_loadcnt_dscnt 0x0
	v_mul_f16_e32 v37, s33, v37
	s_delay_alu instid0(VALU_DEP_1) | instskip(SKIP_4) | instid1(VALU_DEP_1)
	v_fmac_f16_e32 v37, s30, v32
	flat_store_b16 v[33:34], v37
	flat_load_u16 v32, v[6:7] offset:32
	s_wait_loadcnt_dscnt 0x0
	v_mul_f16_e32 v32, s33, v32
	v_fmac_f16_e32 v32, s30, v30
	flat_store_b16 v[33:34], v32 offset:32
	flat_load_u16 v30, v[6:7] offset:64
	s_wait_loadcnt_dscnt 0x0
	v_mul_f16_e32 v30, s33, v30
	s_delay_alu instid0(VALU_DEP_1)
	v_fmac_f16_e32 v30, s30, v31
	v_add_co_u32 v31, vcc_lo, v35, s16
	s_wait_alu 0xfffd
	v_add_co_ci_u32_e64 v32, null, s17, v36, vcc_lo
	flat_store_b16 v[33:34], v30 offset:64
	flat_load_u16 v6, v[6:7] offset:96
	s_wait_loadcnt_dscnt 0x0
	v_mul_f16_e32 v30, s33, v6
	v_add_co_u32 v6, vcc_lo, v31, v4
	s_wait_alu 0xfffd
	v_add_co_ci_u32_e64 v7, null, v32, v5, vcc_lo
	s_delay_alu instid0(VALU_DEP_3)
	v_fmac_f16_e32 v30, s30, v29
	flat_store_b16 v[33:34], v30 offset:96
	flat_load_u16 v29, v[6:7]
	v_add_co_u32 v33, vcc_lo, v38, s20
	s_wait_alu 0xfffd
	v_add_co_ci_u32_e64 v34, null, s21, v39, vcc_lo
	s_wait_loadcnt_dscnt 0x0
	v_mul_f16_e32 v35, s33, v29
	v_add_co_u32 v29, vcc_lo, v33, v4
	s_wait_alu 0xfffd
	v_add_co_ci_u32_e64 v30, null, v34, v5, vcc_lo
	s_delay_alu instid0(VALU_DEP_3) | instskip(SKIP_4) | instid1(VALU_DEP_1)
	v_fmac_f16_e32 v35, s30, v13
	flat_store_b16 v[29:30], v35
	flat_load_u16 v13, v[6:7] offset:32
	s_wait_loadcnt_dscnt 0x0
	v_mul_f16_e32 v13, s33, v13
	v_fmac_f16_e32 v13, s30, v28
	v_add_co_u32 v28, vcc_lo, v31, s16
	s_wait_alu 0xfffd
	v_add_co_ci_u32_e64 v31, null, s17, v32, vcc_lo
	flat_store_b16 v[29:30], v13 offset:32
	flat_load_u16 v13, v[6:7] offset:64
	s_wait_loadcnt_dscnt 0x0
	v_mul_f16_e32 v13, s33, v13
	s_delay_alu instid0(VALU_DEP_1)
	v_fmac_f16_e32 v13, s30, v12
	flat_store_b16 v[29:30], v13 offset:64
	flat_load_u16 v6, v[6:7] offset:96
	s_wait_loadcnt_dscnt 0x0
	v_mul_f16_e32 v12, s33, v6
	v_add_co_u32 v6, vcc_lo, v28, v4
	s_wait_alu 0xfffd
	v_add_co_ci_u32_e64 v7, null, v31, v5, vcc_lo
	s_delay_alu instid0(VALU_DEP_3)
	v_fmac_f16_e32 v12, s30, v27
	v_add_co_u32 v27, vcc_lo, v33, s20
	flat_store_b16 v[29:30], v12 offset:96
	flat_load_u16 v12, v[6:7]
	s_wait_alu 0xfffd
	v_add_co_ci_u32_e64 v29, null, s21, v34, vcc_lo
	s_wait_loadcnt_dscnt 0x0
	v_mul_f16_e32 v30, s33, v12
	v_add_co_u32 v12, vcc_lo, v27, v4
	s_wait_alu 0xfffd
	v_add_co_ci_u32_e64 v13, null, v29, v5, vcc_lo
	s_delay_alu instid0(VALU_DEP_3) | instskip(SKIP_4) | instid1(VALU_DEP_1)
	v_fmac_f16_e32 v30, s30, v11
	flat_store_b16 v[12:13], v30
	flat_load_u16 v11, v[6:7] offset:32
	s_wait_loadcnt_dscnt 0x0
	v_mul_f16_e32 v11, s33, v11
	v_fmac_f16_e32 v11, s30, v26
	flat_store_b16 v[12:13], v11 offset:32
	flat_load_u16 v11, v[6:7] offset:64
	s_wait_loadcnt_dscnt 0x0
	v_mul_f16_e32 v11, s33, v11
	s_delay_alu instid0(VALU_DEP_1)
	v_fmac_f16_e32 v11, s30, v10
	flat_store_b16 v[12:13], v11 offset:64
	flat_load_u16 v6, v[6:7] offset:96
	s_wait_loadcnt_dscnt 0x0
	v_mul_f16_e32 v10, s33, v6
	v_add_co_u32 v6, vcc_lo, v28, s16
	s_wait_alu 0xfffd
	v_add_co_ci_u32_e64 v7, null, s17, v31, vcc_lo
	s_delay_alu instid0(VALU_DEP_3) | instskip(NEXT) | instid1(VALU_DEP_3)
	v_fmac_f16_e32 v10, s30, v25
	v_add_co_u32 v6, vcc_lo, v6, v4
	s_wait_alu 0xfffd
	s_delay_alu instid0(VALU_DEP_3)
	v_add_co_ci_u32_e64 v7, null, v7, v5, vcc_lo
	flat_store_b16 v[12:13], v10 offset:96
	flat_load_u16 v10, v[6:7]
	s_wait_loadcnt_dscnt 0x0
	v_mul_f16_e32 v11, s33, v10
	v_add_co_u32 v10, vcc_lo, v27, s20
	s_wait_alu 0xfffd
	v_add_co_ci_u32_e64 v12, null, s21, v29, vcc_lo
	s_delay_alu instid0(VALU_DEP_3) | instskip(NEXT) | instid1(VALU_DEP_3)
	v_fmac_f16_e32 v11, s30, v9
	v_add_co_u32 v9, vcc_lo, v10, v4
	s_wait_alu 0xfffd
	s_delay_alu instid0(VALU_DEP_3) | instskip(SKIP_4) | instid1(VALU_DEP_1)
	v_add_co_ci_u32_e64 v10, null, v12, v5, vcc_lo
	flat_store_b16 v[9:10], v11
	flat_load_u16 v11, v[6:7] offset:32
	s_wait_loadcnt_dscnt 0x0
	v_mul_f16_e32 v11, s33, v11
	v_fmac_f16_e32 v11, s30, v24
	flat_store_b16 v[9:10], v11 offset:32
	flat_load_u16 v11, v[6:7] offset:64
	s_wait_loadcnt_dscnt 0x0
	v_mul_f16_e32 v11, s33, v11
	s_delay_alu instid0(VALU_DEP_1) | instskip(SKIP_4) | instid1(VALU_DEP_1)
	v_fmac_f16_e32 v11, s30, v8
	flat_store_b16 v[9:10], v11 offset:64
	flat_load_u16 v6, v[6:7] offset:96
	s_wait_loadcnt_dscnt 0x0
	v_mul_f16_e32 v6, s33, v6
	v_fmac_f16_e32 v6, s30, v23
	flat_store_b16 v[9:10], v6 offset:96
	s_branch .LBB147_2
.LBB147_11:
	s_endpgm
	.section	.rodata,"a",@progbits
	.p2align	6, 0x0
	.amdhsa_kernel _ZN12_GLOBAL__N_127rocblas_gemm_batched_kernelIDF16_Li16ELi16ELi64ELi64ELi4ELi64ELi4ELi4ELi64ELc78ELc78EKPKDF16_S3_KPDF16_EEvlllT_PT11_llS8_llS6_PT12_llPT13_lli
		.amdhsa_group_segment_fixed_size 1024
		.amdhsa_private_segment_fixed_size 0
		.amdhsa_kernarg_size 140
		.amdhsa_user_sgpr_count 2
		.amdhsa_user_sgpr_dispatch_ptr 0
		.amdhsa_user_sgpr_queue_ptr 0
		.amdhsa_user_sgpr_kernarg_segment_ptr 1
		.amdhsa_user_sgpr_dispatch_id 0
		.amdhsa_user_sgpr_private_segment_size 0
		.amdhsa_wavefront_size32 1
		.amdhsa_uses_dynamic_stack 0
		.amdhsa_enable_private_segment 0
		.amdhsa_system_sgpr_workgroup_id_x 1
		.amdhsa_system_sgpr_workgroup_id_y 1
		.amdhsa_system_sgpr_workgroup_id_z 1
		.amdhsa_system_sgpr_workgroup_info 0
		.amdhsa_system_vgpr_workitem_id 1
		.amdhsa_next_free_vgpr 49
		.amdhsa_next_free_sgpr 36
		.amdhsa_reserve_vcc 1
		.amdhsa_float_round_mode_32 0
		.amdhsa_float_round_mode_16_64 0
		.amdhsa_float_denorm_mode_32 3
		.amdhsa_float_denorm_mode_16_64 3
		.amdhsa_fp16_overflow 0
		.amdhsa_workgroup_processor_mode 1
		.amdhsa_memory_ordered 1
		.amdhsa_forward_progress 1
		.amdhsa_inst_pref_size 23
		.amdhsa_round_robin_scheduling 0
		.amdhsa_exception_fp_ieee_invalid_op 0
		.amdhsa_exception_fp_denorm_src 0
		.amdhsa_exception_fp_ieee_div_zero 0
		.amdhsa_exception_fp_ieee_overflow 0
		.amdhsa_exception_fp_ieee_underflow 0
		.amdhsa_exception_fp_ieee_inexact 0
		.amdhsa_exception_int_div_zero 0
	.end_amdhsa_kernel
	.section	.text._ZN12_GLOBAL__N_127rocblas_gemm_batched_kernelIDF16_Li16ELi16ELi64ELi64ELi4ELi64ELi4ELi4ELi64ELc78ELc78EKPKDF16_S3_KPDF16_EEvlllT_PT11_llS8_llS6_PT12_llPT13_lli,"axG",@progbits,_ZN12_GLOBAL__N_127rocblas_gemm_batched_kernelIDF16_Li16ELi16ELi64ELi64ELi4ELi64ELi4ELi4ELi64ELc78ELc78EKPKDF16_S3_KPDF16_EEvlllT_PT11_llS8_llS6_PT12_llPT13_lli,comdat
.Lfunc_end147:
	.size	_ZN12_GLOBAL__N_127rocblas_gemm_batched_kernelIDF16_Li16ELi16ELi64ELi64ELi4ELi64ELi4ELi4ELi64ELc78ELc78EKPKDF16_S3_KPDF16_EEvlllT_PT11_llS8_llS6_PT12_llPT13_lli, .Lfunc_end147-_ZN12_GLOBAL__N_127rocblas_gemm_batched_kernelIDF16_Li16ELi16ELi64ELi64ELi4ELi64ELi4ELi4ELi64ELc78ELc78EKPKDF16_S3_KPDF16_EEvlllT_PT11_llS8_llS6_PT12_llPT13_lli
                                        ; -- End function
	.set _ZN12_GLOBAL__N_127rocblas_gemm_batched_kernelIDF16_Li16ELi16ELi64ELi64ELi4ELi64ELi4ELi4ELi64ELc78ELc78EKPKDF16_S3_KPDF16_EEvlllT_PT11_llS8_llS6_PT12_llPT13_lli.num_vgpr, 49
	.set _ZN12_GLOBAL__N_127rocblas_gemm_batched_kernelIDF16_Li16ELi16ELi64ELi64ELi4ELi64ELi4ELi4ELi64ELc78ELc78EKPKDF16_S3_KPDF16_EEvlllT_PT11_llS8_llS6_PT12_llPT13_lli.num_agpr, 0
	.set _ZN12_GLOBAL__N_127rocblas_gemm_batched_kernelIDF16_Li16ELi16ELi64ELi64ELi4ELi64ELi4ELi4ELi64ELc78ELc78EKPKDF16_S3_KPDF16_EEvlllT_PT11_llS8_llS6_PT12_llPT13_lli.numbered_sgpr, 36
	.set _ZN12_GLOBAL__N_127rocblas_gemm_batched_kernelIDF16_Li16ELi16ELi64ELi64ELi4ELi64ELi4ELi4ELi64ELc78ELc78EKPKDF16_S3_KPDF16_EEvlllT_PT11_llS8_llS6_PT12_llPT13_lli.num_named_barrier, 0
	.set _ZN12_GLOBAL__N_127rocblas_gemm_batched_kernelIDF16_Li16ELi16ELi64ELi64ELi4ELi64ELi4ELi4ELi64ELc78ELc78EKPKDF16_S3_KPDF16_EEvlllT_PT11_llS8_llS6_PT12_llPT13_lli.private_seg_size, 0
	.set _ZN12_GLOBAL__N_127rocblas_gemm_batched_kernelIDF16_Li16ELi16ELi64ELi64ELi4ELi64ELi4ELi4ELi64ELc78ELc78EKPKDF16_S3_KPDF16_EEvlllT_PT11_llS8_llS6_PT12_llPT13_lli.uses_vcc, 1
	.set _ZN12_GLOBAL__N_127rocblas_gemm_batched_kernelIDF16_Li16ELi16ELi64ELi64ELi4ELi64ELi4ELi4ELi64ELc78ELc78EKPKDF16_S3_KPDF16_EEvlllT_PT11_llS8_llS6_PT12_llPT13_lli.uses_flat_scratch, 1
	.set _ZN12_GLOBAL__N_127rocblas_gemm_batched_kernelIDF16_Li16ELi16ELi64ELi64ELi4ELi64ELi4ELi4ELi64ELc78ELc78EKPKDF16_S3_KPDF16_EEvlllT_PT11_llS8_llS6_PT12_llPT13_lli.has_dyn_sized_stack, 0
	.set _ZN12_GLOBAL__N_127rocblas_gemm_batched_kernelIDF16_Li16ELi16ELi64ELi64ELi4ELi64ELi4ELi4ELi64ELc78ELc78EKPKDF16_S3_KPDF16_EEvlllT_PT11_llS8_llS6_PT12_llPT13_lli.has_recursion, 0
	.set _ZN12_GLOBAL__N_127rocblas_gemm_batched_kernelIDF16_Li16ELi16ELi64ELi64ELi4ELi64ELi4ELi4ELi64ELc78ELc78EKPKDF16_S3_KPDF16_EEvlllT_PT11_llS8_llS6_PT12_llPT13_lli.has_indirect_call, 0
	.section	.AMDGPU.csdata,"",@progbits
; Kernel info:
; codeLenInByte = 2832
; TotalNumSgprs: 38
; NumVgprs: 49
; ScratchSize: 0
; MemoryBound: 0
; FloatMode: 240
; IeeeMode: 1
; LDSByteSize: 1024 bytes/workgroup (compile time only)
; SGPRBlocks: 0
; VGPRBlocks: 6
; NumSGPRsForWavesPerEU: 38
; NumVGPRsForWavesPerEU: 49
; Occupancy: 16
; WaveLimiterHint : 1
; COMPUTE_PGM_RSRC2:SCRATCH_EN: 0
; COMPUTE_PGM_RSRC2:USER_SGPR: 2
; COMPUTE_PGM_RSRC2:TRAP_HANDLER: 0
; COMPUTE_PGM_RSRC2:TGID_X_EN: 1
; COMPUTE_PGM_RSRC2:TGID_Y_EN: 1
; COMPUTE_PGM_RSRC2:TGID_Z_EN: 1
; COMPUTE_PGM_RSRC2:TIDIG_COMP_CNT: 1
	.section	.text._ZN12_GLOBAL__N_127rocblas_gemm_batched_kernelIDF16_Li16ELi16ELi64ELi64ELi4ELi64ELi4ELi4ELi64ELc84ELc78EKPKDF16_S3_KPDF16_EEvlllT_PT11_llS8_llS6_PT12_llPT13_lli,"axG",@progbits,_ZN12_GLOBAL__N_127rocblas_gemm_batched_kernelIDF16_Li16ELi16ELi64ELi64ELi4ELi64ELi4ELi4ELi64ELc84ELc78EKPKDF16_S3_KPDF16_EEvlllT_PT11_llS8_llS6_PT12_llPT13_lli,comdat
	.globl	_ZN12_GLOBAL__N_127rocblas_gemm_batched_kernelIDF16_Li16ELi16ELi64ELi64ELi4ELi64ELi4ELi4ELi64ELc84ELc78EKPKDF16_S3_KPDF16_EEvlllT_PT11_llS8_llS6_PT12_llPT13_lli ; -- Begin function _ZN12_GLOBAL__N_127rocblas_gemm_batched_kernelIDF16_Li16ELi16ELi64ELi64ELi4ELi64ELi4ELi4ELi64ELc84ELc78EKPKDF16_S3_KPDF16_EEvlllT_PT11_llS8_llS6_PT12_llPT13_lli
	.p2align	8
	.type	_ZN12_GLOBAL__N_127rocblas_gemm_batched_kernelIDF16_Li16ELi16ELi64ELi64ELi4ELi64ELi4ELi4ELi64ELc84ELc78EKPKDF16_S3_KPDF16_EEvlllT_PT11_llS8_llS6_PT12_llPT13_lli,@function
_ZN12_GLOBAL__N_127rocblas_gemm_batched_kernelIDF16_Li16ELi16ELi64ELi64ELi4ELi64ELi4ELi4ELi64ELc84ELc78EKPKDF16_S3_KPDF16_EEvlllT_PT11_llS8_llS6_PT12_llPT13_lli: ; @_ZN12_GLOBAL__N_127rocblas_gemm_batched_kernelIDF16_Li16ELi16ELi64ELi64ELi4ELi64ELi4ELi4ELi64ELc84ELc78EKPKDF16_S3_KPDF16_EEvlllT_PT11_llS8_llS6_PT12_llPT13_lli
; %bb.0:
	s_load_b32 s31, s[0:1], 0x88
	s_lshr_b32 s2, ttmp7, 16
	s_wait_kmcnt 0x0
	s_cmp_ge_i32 s2, s31
	s_cbranch_scc1 .LBB148_11
; %bb.1:
	v_and_b32_e32 v10, 0x3ff, v0
	v_bfe_u32 v6, v0, 10, 10
	s_clause 0x5
	s_load_b96 s[28:30], s[0:1], 0x10
	s_load_b256 s[4:11], s[0:1], 0x20
	s_load_b128 s[20:23], s[0:1], 0x78
	s_load_b128 s[24:27], s[0:1], 0x40
	s_load_b32 s33, s[0:1], 0x50
	s_load_b256 s[12:19], s[0:1], 0x58
	v_lshlrev_b32_e32 v0, 1, v0
	s_lshl_b32 s0, ttmp7, 6
	v_lshl_add_u32 v1, v6, 4, v10
	v_mov_b32_e32 v14, 0
	s_and_b32 s3, s0, 0x3fffc0
	v_and_b32_e32 v19, 6, v0
	v_add_nc_u32_e32 v9, s3, v6
	v_and_b32_e32 v11, 63, v1
	v_lshrrev_b32_e32 v13, 6, v1
	v_lshrrev_b32_e32 v1, 2, v1
	s_mov_b32 s34, ttmp9
	s_ashr_i32 s35, ttmp9, 31
	v_lshlrev_b32_e32 v0, 1, v11
	v_lshl_add_u32 v18, v6, 3, 0x200
	v_lshl_or_b32 v2, v1, 3, v19
	v_add_nc_u32_e32 v8, s3, v1
	s_lshl_b64 s[0:1], s[34:35], 6
	v_lshl_or_b32 v15, v13, 7, v0
	s_wait_kmcnt 0x0
	s_cmp_eq_f16 s33, 0
	v_add_nc_u32_e32 v16, 0x200, v2
	v_mad_co_u64_u32 v[2:3], null, v9, s20, 0
	v_mad_co_u64_u32 v[4:5], null, v9, s14, 0
	;; [unrolled: 1-line block ×3, first 2 shown]
	s_cselect_b32 s24, -1, 0
	s_mov_b32 s3, 0
	v_mad_co_u64_u32 v[6:7], null, v9, s21, v[3:4]
	v_mad_co_u64_u32 v[7:8], null, s25, v8, v[1:2]
	v_or_b32_e32 v3, s0, v11
	s_lshl_b64 s[20:21], s[20:21], 4
	s_delay_alu instid0(VALU_DEP_3) | instskip(NEXT) | instid1(VALU_DEP_3)
	v_mad_co_u64_u32 v[8:9], null, v9, s15, v[5:6]
	v_mov_b32_e32 v1, v7
	s_delay_alu instid0(VALU_DEP_3)
	v_mul_lo_u32 v7, s7, v3
	v_mad_co_u64_u32 v[11:12], null, s6, v3, 0
	s_mul_i32 s6, s6, s1
	v_lshlrev_b64_e32 v[0:1], 1, v[0:1]
	v_add_co_u32 v9, s0, s0, v10
	v_lshlrev_b32_e32 v17, 1, v10
	s_wait_alu 0xf1ff
	v_add_co_ci_u32_e64 v10, null, s1, 0, s0
	s_wait_alu 0xfffe
	v_add3_u32 v12, v12, s6, v7
	s_lshl_b64 s[0:1], s[26:27], 1
	v_mov_b32_e32 v3, v6
	s_wait_alu 0xfffe
	v_add_co_u32 v6, vcc_lo, v0, s0
	s_delay_alu instid0(VALU_DEP_1) | instskip(SKIP_1) | instid1(VALU_DEP_3)
	v_add_co_ci_u32_e64 v7, null, s1, v1, vcc_lo
	v_lshlrev_b64_e32 v[0:1], 1, v[11:12]
	v_add_co_u32 v19, vcc_lo, v6, v19
	s_lshl_b64 s[0:1], s[8:9], 1
	s_wait_alu 0xfffd
	v_add_co_ci_u32_e64 v20, null, 0, v7, vcc_lo
	s_wait_alu 0xfffe
	v_add_co_u32 v0, vcc_lo, v0, s0
	v_cmp_gt_i64_e64 s0, s[28:29], 0
	v_dual_mov_b32 v5, v8 :: v_dual_lshlrev_b32 v6, 1, v13
	s_wait_alu 0xfffd
	v_add_co_ci_u32_e64 v1, null, s1, v1, vcc_lo
	v_lshlrev_b64_e32 v[2:3], 1, v[2:3]
	s_wait_alu 0xf1ff
	v_cndmask_b32_e64 v7, 0, 1, s0
	v_add_co_u32 v21, vcc_lo, v0, v6
	s_wait_alu 0xfffd
	v_add_co_ci_u32_e64 v22, null, 0, v1, vcc_lo
	v_lshlrev_b64_e32 v[0:1], 1, v[4:5]
	v_lshlrev_b64_e32 v[4:5], 1, v[9:10]
	v_cmp_ne_u32_e64 s0, 1, v7
	s_lshl_b64 s[14:15], s[14:15], 4
	s_lshl_b64 s[6:7], s[22:23], 1
	;; [unrolled: 1-line block ×3, first 2 shown]
	s_wait_alu 0xfffe
	s_lshl_b64 s[14:15], s[14:15], 1
	s_lshl_b64 s[16:17], s[20:21], 1
	s_branch .LBB148_3
.LBB148_2:                              ;   in Loop: Header=BB148_3 Depth=1
	s_add_co_i32 s2, s2, 0x10000
	s_wait_alu 0xfffe
	s_cmp_lt_i32 s2, s31
	s_cbranch_scc0 .LBB148_11
.LBB148_3:                              ; =>This Loop Header: Depth=1
                                        ;     Child Loop BB148_5 Depth 2
	s_lshl_b64 s[20:21], s[2:3], 3
	s_and_b32 vcc_lo, exec_lo, s0
	s_wait_alu 0xfffe
	s_add_nc_u64 s[22:23], s[12:13], s[20:21]
	s_add_nc_u64 s[26:27], s[18:19], s[20:21]
	s_clause 0x1
	global_load_b64 v[6:7], v14, s[22:23]
	global_load_b64 v[8:9], v14, s[26:27]
	s_cbranch_vccnz .LBB148_6
; %bb.4:                                ;   in Loop: Header=BB148_3 Depth=1
	s_add_nc_u64 s[22:23], s[10:11], s[20:21]
	s_add_nc_u64 s[20:21], s[4:5], s[20:21]
	s_clause 0x1
	global_load_b64 v[10:11], v14, s[22:23]
	global_load_b64 v[12:13], v14, s[20:21]
	v_dual_mov_b32 v23, 0 :: v_dual_mov_b32 v24, 0
	v_dual_mov_b32 v25, 0 :: v_dual_mov_b32 v26, 0
	;; [unrolled: 1-line block ×4, first 2 shown]
	s_mov_b64 s[20:21], 0
	s_wait_loadcnt 0x1
	v_add_co_u32 v10, vcc_lo, v10, v19
	s_wait_alu 0xfffd
	v_add_co_ci_u32_e64 v11, null, v11, v20, vcc_lo
	s_wait_loadcnt 0x0
	v_add_co_u32 v12, vcc_lo, v12, v21
	s_wait_alu 0xfffd
	v_add_co_ci_u32_e64 v13, null, v13, v22, vcc_lo
.LBB148_5:                              ;   Parent Loop BB148_3 Depth=1
                                        ; =>  This Inner Loop Header: Depth=2
	flat_load_u16 v31, v[12:13]
	s_wait_alu 0xfffe
	s_add_nc_u64 s[20:21], s[20:21], 4
	v_add_co_u32 v12, vcc_lo, v12, 8
	s_wait_alu 0xfffe
	v_cmp_lt_i64_e64 s1, s[20:21], s[28:29]
	s_wait_alu 0xfffd
	v_add_co_ci_u32_e64 v13, null, 0, v13, vcc_lo
	s_and_b32 vcc_lo, exec_lo, s1
	s_wait_loadcnt_dscnt 0x0
	ds_store_b16 v15, v31
	flat_load_u16 v31, v[10:11]
	v_add_co_u32 v10, s1, v10, 8
	s_wait_alu 0xf1ff
	v_add_co_ci_u32_e64 v11, null, 0, v11, s1
	s_wait_loadcnt_dscnt 0x0
	ds_store_b16 v16, v31
	s_wait_dscnt 0x0
	s_barrier_signal -1
	s_barrier_wait -1
	global_inv scope:SCOPE_SE
	ds_load_u16 v39, v17 offset:32
	ds_load_u16 v40, v17 offset:96
	;; [unrolled: 1-line block ×8, first 2 shown]
	ds_load_2addr_b64 v[31:34], v18 offset1:16
	ds_load_2addr_b64 v[35:38], v18 offset0:32 offset1:48
	s_wait_dscnt 0x9
	ds_load_u16_d16_hi v39, v17
	s_wait_dscnt 0x9
	ds_load_u16_d16_hi v40, v17 offset:64
	s_wait_dscnt 0x9
	ds_load_u16_d16_hi v41, v17 offset:128
	;; [unrolled: 2-line block ×7, first 2 shown]
	s_wait_loadcnt_dscnt 0x0
	s_barrier_signal -1
	s_barrier_wait -1
	global_inv scope:SCOPE_SE
	v_pk_fma_f16 v30, v39, v31, v30 op_sel_hi:[1,0,1]
	v_pk_fma_f16 v29, v40, v31, v29 op_sel_hi:[1,0,1]
	;; [unrolled: 1-line block ×8, first 2 shown]
	v_pk_fma_f16 v30, v41, v31, v30 op_sel:[0,1,0]
	v_pk_fma_f16 v29, v42, v31, v29 op_sel:[0,1,0]
	;; [unrolled: 1-line block ×8, first 2 shown]
	v_pk_fma_f16 v30, v43, v32, v30 op_sel_hi:[1,0,1]
	v_pk_fma_f16 v29, v44, v32, v29 op_sel_hi:[1,0,1]
	;; [unrolled: 1-line block ×8, first 2 shown]
	v_pk_fma_f16 v30, v45, v32, v30 op_sel:[0,1,0]
	v_pk_fma_f16 v29, v46, v32, v29 op_sel:[0,1,0]
	;; [unrolled: 1-line block ×8, first 2 shown]
	s_wait_alu 0xfffe
	s_cbranch_vccnz .LBB148_5
	s_branch .LBB148_7
.LBB148_6:                              ;   in Loop: Header=BB148_3 Depth=1
	v_dual_mov_b32 v30, 0 :: v_dual_mov_b32 v29, 0
	v_dual_mov_b32 v28, 0 :: v_dual_mov_b32 v27, 0
	;; [unrolled: 1-line block ×4, first 2 shown]
.LBB148_7:                              ;   in Loop: Header=BB148_3 Depth=1
	s_wait_loadcnt 0x0
	v_add_co_u32 v33, vcc_lo, v8, s6
	s_wait_alu 0xfffd
	v_add_co_ci_u32_e64 v34, null, s7, v9, vcc_lo
	v_lshrrev_b32_e32 v32, 16, v30
	v_lshrrev_b32_e32 v31, 16, v29
	;; [unrolled: 1-line block ×8, first 2 shown]
	s_and_not1_b32 vcc_lo, exec_lo, s24
	s_wait_alu 0xfffe
	s_cbranch_vccnz .LBB148_9
; %bb.8:                                ;   in Loop: Header=BB148_3 Depth=1
	v_add_co_u32 v37, vcc_lo, v33, v2
	s_wait_alu 0xfffd
	v_add_co_ci_u32_e64 v38, null, v34, v3, vcc_lo
	v_mul_f16_e32 v39, s30, v32
	s_delay_alu instid0(VALU_DEP_3) | instskip(SKIP_1) | instid1(VALU_DEP_3)
	v_add_co_u32 v35, vcc_lo, v37, v4
	s_wait_alu 0xfffd
	v_add_co_ci_u32_e64 v36, null, v38, v5, vcc_lo
	v_add_co_u32 v37, vcc_lo, v37, s16
	v_mul_f16_e32 v40, s30, v30
	v_mul_f16_e32 v41, s30, v31
	s_wait_alu 0xfffd
	v_add_co_ci_u32_e64 v38, null, s17, v38, vcc_lo
	v_mul_f16_e32 v42, s30, v29
	s_clause 0x3
	flat_store_b16 v[35:36], v39
	flat_store_b16 v[35:36], v40 offset:32
	flat_store_b16 v[35:36], v41 offset:64
	;; [unrolled: 1-line block ×3, first 2 shown]
	v_add_co_u32 v35, vcc_lo, v37, v4
	s_wait_alu 0xfffd
	v_add_co_ci_u32_e64 v36, null, v38, v5, vcc_lo
	v_add_co_u32 v43, vcc_lo, v37, s16
	s_wait_alu 0xfffd
	v_add_co_ci_u32_e64 v44, null, s17, v38, vcc_lo
	v_mul_f16_e32 v39, s30, v13
	v_mul_f16_e32 v40, s30, v28
	;; [unrolled: 1-line block ×3, first 2 shown]
	v_add_co_u32 v37, vcc_lo, v43, v4
	v_mul_f16_e32 v42, s30, v27
	v_mul_f16_e32 v45, s30, v11
	s_wait_alu 0xfffd
	v_add_co_ci_u32_e64 v38, null, v44, v5, vcc_lo
	v_mul_f16_e32 v46, s30, v26
	v_mul_f16_e32 v47, s30, v10
	v_mul_f16_e32 v48, s30, v25
	s_clause 0x7
	flat_store_b16 v[35:36], v39
	flat_store_b16 v[35:36], v40 offset:32
	flat_store_b16 v[35:36], v41 offset:64
	;; [unrolled: 1-line block ×3, first 2 shown]
	flat_store_b16 v[37:38], v45
	flat_store_b16 v[37:38], v46 offset:32
	flat_store_b16 v[37:38], v47 offset:64
	;; [unrolled: 1-line block ×3, first 2 shown]
	v_add_co_u32 v35, vcc_lo, v43, s16
	s_wait_alu 0xfffd
	v_add_co_ci_u32_e64 v36, null, s17, v44, vcc_lo
	v_mul_f16_e32 v37, s30, v9
	s_delay_alu instid0(VALU_DEP_3) | instskip(SKIP_1) | instid1(VALU_DEP_3)
	v_add_co_u32 v35, vcc_lo, v35, v4
	s_wait_alu 0xfffd
	v_add_co_ci_u32_e64 v36, null, v36, v5, vcc_lo
	v_mul_f16_e32 v38, s30, v24
	v_mul_f16_e32 v39, s30, v8
	v_mul_f16_e32 v40, s30, v23
	s_clause 0x3
	flat_store_b16 v[35:36], v37
	flat_store_b16 v[35:36], v38 offset:32
	flat_store_b16 v[35:36], v39 offset:64
	;; [unrolled: 1-line block ×3, first 2 shown]
	s_cbranch_execnz .LBB148_2
	s_branch .LBB148_10
.LBB148_9:                              ;   in Loop: Header=BB148_3 Depth=1
.LBB148_10:                             ;   in Loop: Header=BB148_3 Depth=1
	v_add_co_u32 v6, vcc_lo, v6, s8
	s_wait_alu 0xfffd
	v_add_co_ci_u32_e64 v7, null, s9, v7, vcc_lo
	s_delay_alu instid0(VALU_DEP_2) | instskip(SKIP_1) | instid1(VALU_DEP_2)
	v_add_co_u32 v35, vcc_lo, v6, v0
	s_wait_alu 0xfffd
	v_add_co_ci_u32_e64 v36, null, v7, v1, vcc_lo
	s_delay_alu instid0(VALU_DEP_2) | instskip(SKIP_1) | instid1(VALU_DEP_2)
	v_add_co_u32 v6, vcc_lo, v35, v4
	s_wait_alu 0xfffd
	v_add_co_ci_u32_e64 v7, null, v36, v5, vcc_lo
	v_add_co_u32 v38, vcc_lo, v33, v2
	s_wait_alu 0xfffd
	v_add_co_ci_u32_e64 v39, null, v34, v3, vcc_lo
	flat_load_u16 v37, v[6:7]
	v_add_co_u32 v33, vcc_lo, v38, v4
	s_wait_alu 0xfffd
	v_add_co_ci_u32_e64 v34, null, v39, v5, vcc_lo
	s_wait_loadcnt_dscnt 0x0
	v_mul_f16_e32 v37, s33, v37
	s_delay_alu instid0(VALU_DEP_1) | instskip(SKIP_4) | instid1(VALU_DEP_1)
	v_fmac_f16_e32 v37, s30, v32
	flat_store_b16 v[33:34], v37
	flat_load_u16 v32, v[6:7] offset:32
	s_wait_loadcnt_dscnt 0x0
	v_mul_f16_e32 v32, s33, v32
	v_fmac_f16_e32 v32, s30, v30
	flat_store_b16 v[33:34], v32 offset:32
	flat_load_u16 v30, v[6:7] offset:64
	s_wait_loadcnt_dscnt 0x0
	v_mul_f16_e32 v30, s33, v30
	s_delay_alu instid0(VALU_DEP_1)
	v_fmac_f16_e32 v30, s30, v31
	v_add_co_u32 v31, vcc_lo, v35, s14
	s_wait_alu 0xfffd
	v_add_co_ci_u32_e64 v32, null, s15, v36, vcc_lo
	flat_store_b16 v[33:34], v30 offset:64
	flat_load_u16 v6, v[6:7] offset:96
	s_wait_loadcnt_dscnt 0x0
	v_mul_f16_e32 v30, s33, v6
	v_add_co_u32 v6, vcc_lo, v31, v4
	s_wait_alu 0xfffd
	v_add_co_ci_u32_e64 v7, null, v32, v5, vcc_lo
	s_delay_alu instid0(VALU_DEP_3)
	v_fmac_f16_e32 v30, s30, v29
	flat_store_b16 v[33:34], v30 offset:96
	flat_load_u16 v29, v[6:7]
	v_add_co_u32 v33, vcc_lo, v38, s16
	s_wait_alu 0xfffd
	v_add_co_ci_u32_e64 v34, null, s17, v39, vcc_lo
	s_wait_loadcnt_dscnt 0x0
	v_mul_f16_e32 v35, s33, v29
	v_add_co_u32 v29, vcc_lo, v33, v4
	s_wait_alu 0xfffd
	v_add_co_ci_u32_e64 v30, null, v34, v5, vcc_lo
	s_delay_alu instid0(VALU_DEP_3) | instskip(SKIP_4) | instid1(VALU_DEP_1)
	v_fmac_f16_e32 v35, s30, v13
	flat_store_b16 v[29:30], v35
	flat_load_u16 v13, v[6:7] offset:32
	s_wait_loadcnt_dscnt 0x0
	v_mul_f16_e32 v13, s33, v13
	v_fmac_f16_e32 v13, s30, v28
	v_add_co_u32 v28, vcc_lo, v31, s14
	s_wait_alu 0xfffd
	v_add_co_ci_u32_e64 v31, null, s15, v32, vcc_lo
	flat_store_b16 v[29:30], v13 offset:32
	flat_load_u16 v13, v[6:7] offset:64
	s_wait_loadcnt_dscnt 0x0
	v_mul_f16_e32 v13, s33, v13
	s_delay_alu instid0(VALU_DEP_1)
	v_fmac_f16_e32 v13, s30, v12
	flat_store_b16 v[29:30], v13 offset:64
	flat_load_u16 v6, v[6:7] offset:96
	s_wait_loadcnt_dscnt 0x0
	v_mul_f16_e32 v12, s33, v6
	v_add_co_u32 v6, vcc_lo, v28, v4
	s_wait_alu 0xfffd
	v_add_co_ci_u32_e64 v7, null, v31, v5, vcc_lo
	s_delay_alu instid0(VALU_DEP_3)
	v_fmac_f16_e32 v12, s30, v27
	v_add_co_u32 v27, vcc_lo, v33, s16
	flat_store_b16 v[29:30], v12 offset:96
	flat_load_u16 v12, v[6:7]
	s_wait_alu 0xfffd
	v_add_co_ci_u32_e64 v29, null, s17, v34, vcc_lo
	s_wait_loadcnt_dscnt 0x0
	v_mul_f16_e32 v30, s33, v12
	v_add_co_u32 v12, vcc_lo, v27, v4
	s_wait_alu 0xfffd
	v_add_co_ci_u32_e64 v13, null, v29, v5, vcc_lo
	s_delay_alu instid0(VALU_DEP_3) | instskip(SKIP_4) | instid1(VALU_DEP_1)
	v_fmac_f16_e32 v30, s30, v11
	flat_store_b16 v[12:13], v30
	flat_load_u16 v11, v[6:7] offset:32
	s_wait_loadcnt_dscnt 0x0
	v_mul_f16_e32 v11, s33, v11
	v_fmac_f16_e32 v11, s30, v26
	flat_store_b16 v[12:13], v11 offset:32
	flat_load_u16 v11, v[6:7] offset:64
	s_wait_loadcnt_dscnt 0x0
	v_mul_f16_e32 v11, s33, v11
	s_delay_alu instid0(VALU_DEP_1)
	v_fmac_f16_e32 v11, s30, v10
	flat_store_b16 v[12:13], v11 offset:64
	flat_load_u16 v6, v[6:7] offset:96
	s_wait_loadcnt_dscnt 0x0
	v_mul_f16_e32 v10, s33, v6
	v_add_co_u32 v6, vcc_lo, v28, s14
	s_wait_alu 0xfffd
	v_add_co_ci_u32_e64 v7, null, s15, v31, vcc_lo
	s_delay_alu instid0(VALU_DEP_3) | instskip(NEXT) | instid1(VALU_DEP_3)
	v_fmac_f16_e32 v10, s30, v25
	v_add_co_u32 v6, vcc_lo, v6, v4
	s_wait_alu 0xfffd
	s_delay_alu instid0(VALU_DEP_3)
	v_add_co_ci_u32_e64 v7, null, v7, v5, vcc_lo
	flat_store_b16 v[12:13], v10 offset:96
	flat_load_u16 v10, v[6:7]
	s_wait_loadcnt_dscnt 0x0
	v_mul_f16_e32 v11, s33, v10
	v_add_co_u32 v10, vcc_lo, v27, s16
	s_wait_alu 0xfffd
	v_add_co_ci_u32_e64 v12, null, s17, v29, vcc_lo
	s_delay_alu instid0(VALU_DEP_3) | instskip(NEXT) | instid1(VALU_DEP_3)
	v_fmac_f16_e32 v11, s30, v9
	v_add_co_u32 v9, vcc_lo, v10, v4
	s_wait_alu 0xfffd
	s_delay_alu instid0(VALU_DEP_3) | instskip(SKIP_4) | instid1(VALU_DEP_1)
	v_add_co_ci_u32_e64 v10, null, v12, v5, vcc_lo
	flat_store_b16 v[9:10], v11
	flat_load_u16 v11, v[6:7] offset:32
	s_wait_loadcnt_dscnt 0x0
	v_mul_f16_e32 v11, s33, v11
	v_fmac_f16_e32 v11, s30, v24
	flat_store_b16 v[9:10], v11 offset:32
	flat_load_u16 v11, v[6:7] offset:64
	s_wait_loadcnt_dscnt 0x0
	v_mul_f16_e32 v11, s33, v11
	s_delay_alu instid0(VALU_DEP_1) | instskip(SKIP_4) | instid1(VALU_DEP_1)
	v_fmac_f16_e32 v11, s30, v8
	flat_store_b16 v[9:10], v11 offset:64
	flat_load_u16 v6, v[6:7] offset:96
	s_wait_loadcnt_dscnt 0x0
	v_mul_f16_e32 v6, s33, v6
	v_fmac_f16_e32 v6, s30, v23
	flat_store_b16 v[9:10], v6 offset:96
	s_branch .LBB148_2
.LBB148_11:
	s_endpgm
	.section	.rodata,"a",@progbits
	.p2align	6, 0x0
	.amdhsa_kernel _ZN12_GLOBAL__N_127rocblas_gemm_batched_kernelIDF16_Li16ELi16ELi64ELi64ELi4ELi64ELi4ELi4ELi64ELc84ELc78EKPKDF16_S3_KPDF16_EEvlllT_PT11_llS8_llS6_PT12_llPT13_lli
		.amdhsa_group_segment_fixed_size 1024
		.amdhsa_private_segment_fixed_size 0
		.amdhsa_kernarg_size 140
		.amdhsa_user_sgpr_count 2
		.amdhsa_user_sgpr_dispatch_ptr 0
		.amdhsa_user_sgpr_queue_ptr 0
		.amdhsa_user_sgpr_kernarg_segment_ptr 1
		.amdhsa_user_sgpr_dispatch_id 0
		.amdhsa_user_sgpr_private_segment_size 0
		.amdhsa_wavefront_size32 1
		.amdhsa_uses_dynamic_stack 0
		.amdhsa_enable_private_segment 0
		.amdhsa_system_sgpr_workgroup_id_x 1
		.amdhsa_system_sgpr_workgroup_id_y 1
		.amdhsa_system_sgpr_workgroup_id_z 1
		.amdhsa_system_sgpr_workgroup_info 0
		.amdhsa_system_vgpr_workitem_id 1
		.amdhsa_next_free_vgpr 49
		.amdhsa_next_free_sgpr 36
		.amdhsa_reserve_vcc 1
		.amdhsa_float_round_mode_32 0
		.amdhsa_float_round_mode_16_64 0
		.amdhsa_float_denorm_mode_32 3
		.amdhsa_float_denorm_mode_16_64 3
		.amdhsa_fp16_overflow 0
		.amdhsa_workgroup_processor_mode 1
		.amdhsa_memory_ordered 1
		.amdhsa_forward_progress 1
		.amdhsa_inst_pref_size 23
		.amdhsa_round_robin_scheduling 0
		.amdhsa_exception_fp_ieee_invalid_op 0
		.amdhsa_exception_fp_denorm_src 0
		.amdhsa_exception_fp_ieee_div_zero 0
		.amdhsa_exception_fp_ieee_overflow 0
		.amdhsa_exception_fp_ieee_underflow 0
		.amdhsa_exception_fp_ieee_inexact 0
		.amdhsa_exception_int_div_zero 0
	.end_amdhsa_kernel
	.section	.text._ZN12_GLOBAL__N_127rocblas_gemm_batched_kernelIDF16_Li16ELi16ELi64ELi64ELi4ELi64ELi4ELi4ELi64ELc84ELc78EKPKDF16_S3_KPDF16_EEvlllT_PT11_llS8_llS6_PT12_llPT13_lli,"axG",@progbits,_ZN12_GLOBAL__N_127rocblas_gemm_batched_kernelIDF16_Li16ELi16ELi64ELi64ELi4ELi64ELi4ELi4ELi64ELc84ELc78EKPKDF16_S3_KPDF16_EEvlllT_PT11_llS8_llS6_PT12_llPT13_lli,comdat
.Lfunc_end148:
	.size	_ZN12_GLOBAL__N_127rocblas_gemm_batched_kernelIDF16_Li16ELi16ELi64ELi64ELi4ELi64ELi4ELi4ELi64ELc84ELc78EKPKDF16_S3_KPDF16_EEvlllT_PT11_llS8_llS6_PT12_llPT13_lli, .Lfunc_end148-_ZN12_GLOBAL__N_127rocblas_gemm_batched_kernelIDF16_Li16ELi16ELi64ELi64ELi4ELi64ELi4ELi4ELi64ELc84ELc78EKPKDF16_S3_KPDF16_EEvlllT_PT11_llS8_llS6_PT12_llPT13_lli
                                        ; -- End function
	.set _ZN12_GLOBAL__N_127rocblas_gemm_batched_kernelIDF16_Li16ELi16ELi64ELi64ELi4ELi64ELi4ELi4ELi64ELc84ELc78EKPKDF16_S3_KPDF16_EEvlllT_PT11_llS8_llS6_PT12_llPT13_lli.num_vgpr, 49
	.set _ZN12_GLOBAL__N_127rocblas_gemm_batched_kernelIDF16_Li16ELi16ELi64ELi64ELi4ELi64ELi4ELi4ELi64ELc84ELc78EKPKDF16_S3_KPDF16_EEvlllT_PT11_llS8_llS6_PT12_llPT13_lli.num_agpr, 0
	.set _ZN12_GLOBAL__N_127rocblas_gemm_batched_kernelIDF16_Li16ELi16ELi64ELi64ELi4ELi64ELi4ELi4ELi64ELc84ELc78EKPKDF16_S3_KPDF16_EEvlllT_PT11_llS8_llS6_PT12_llPT13_lli.numbered_sgpr, 36
	.set _ZN12_GLOBAL__N_127rocblas_gemm_batched_kernelIDF16_Li16ELi16ELi64ELi64ELi4ELi64ELi4ELi4ELi64ELc84ELc78EKPKDF16_S3_KPDF16_EEvlllT_PT11_llS8_llS6_PT12_llPT13_lli.num_named_barrier, 0
	.set _ZN12_GLOBAL__N_127rocblas_gemm_batched_kernelIDF16_Li16ELi16ELi64ELi64ELi4ELi64ELi4ELi4ELi64ELc84ELc78EKPKDF16_S3_KPDF16_EEvlllT_PT11_llS8_llS6_PT12_llPT13_lli.private_seg_size, 0
	.set _ZN12_GLOBAL__N_127rocblas_gemm_batched_kernelIDF16_Li16ELi16ELi64ELi64ELi4ELi64ELi4ELi4ELi64ELc84ELc78EKPKDF16_S3_KPDF16_EEvlllT_PT11_llS8_llS6_PT12_llPT13_lli.uses_vcc, 1
	.set _ZN12_GLOBAL__N_127rocblas_gemm_batched_kernelIDF16_Li16ELi16ELi64ELi64ELi4ELi64ELi4ELi4ELi64ELc84ELc78EKPKDF16_S3_KPDF16_EEvlllT_PT11_llS8_llS6_PT12_llPT13_lli.uses_flat_scratch, 1
	.set _ZN12_GLOBAL__N_127rocblas_gemm_batched_kernelIDF16_Li16ELi16ELi64ELi64ELi4ELi64ELi4ELi4ELi64ELc84ELc78EKPKDF16_S3_KPDF16_EEvlllT_PT11_llS8_llS6_PT12_llPT13_lli.has_dyn_sized_stack, 0
	.set _ZN12_GLOBAL__N_127rocblas_gemm_batched_kernelIDF16_Li16ELi16ELi64ELi64ELi4ELi64ELi4ELi4ELi64ELc84ELc78EKPKDF16_S3_KPDF16_EEvlllT_PT11_llS8_llS6_PT12_llPT13_lli.has_recursion, 0
	.set _ZN12_GLOBAL__N_127rocblas_gemm_batched_kernelIDF16_Li16ELi16ELi64ELi64ELi4ELi64ELi4ELi4ELi64ELc84ELc78EKPKDF16_S3_KPDF16_EEvlllT_PT11_llS8_llS6_PT12_llPT13_lli.has_indirect_call, 0
	.section	.AMDGPU.csdata,"",@progbits
; Kernel info:
; codeLenInByte = 2844
; TotalNumSgprs: 38
; NumVgprs: 49
; ScratchSize: 0
; MemoryBound: 0
; FloatMode: 240
; IeeeMode: 1
; LDSByteSize: 1024 bytes/workgroup (compile time only)
; SGPRBlocks: 0
; VGPRBlocks: 6
; NumSGPRsForWavesPerEU: 38
; NumVGPRsForWavesPerEU: 49
; Occupancy: 16
; WaveLimiterHint : 1
; COMPUTE_PGM_RSRC2:SCRATCH_EN: 0
; COMPUTE_PGM_RSRC2:USER_SGPR: 2
; COMPUTE_PGM_RSRC2:TRAP_HANDLER: 0
; COMPUTE_PGM_RSRC2:TGID_X_EN: 1
; COMPUTE_PGM_RSRC2:TGID_Y_EN: 1
; COMPUTE_PGM_RSRC2:TGID_Z_EN: 1
; COMPUTE_PGM_RSRC2:TIDIG_COMP_CNT: 1
	.section	.text._ZN12_GLOBAL__N_127rocblas_gemm_batched_kernelIDF16_Li16ELi16ELi64ELi64ELi4ELi64ELi4ELi4ELi64ELc78ELc84EKPKDF16_S3_KPDF16_EEvlllT_PT11_llS8_llS6_PT12_llPT13_lli,"axG",@progbits,_ZN12_GLOBAL__N_127rocblas_gemm_batched_kernelIDF16_Li16ELi16ELi64ELi64ELi4ELi64ELi4ELi4ELi64ELc78ELc84EKPKDF16_S3_KPDF16_EEvlllT_PT11_llS8_llS6_PT12_llPT13_lli,comdat
	.globl	_ZN12_GLOBAL__N_127rocblas_gemm_batched_kernelIDF16_Li16ELi16ELi64ELi64ELi4ELi64ELi4ELi4ELi64ELc78ELc84EKPKDF16_S3_KPDF16_EEvlllT_PT11_llS8_llS6_PT12_llPT13_lli ; -- Begin function _ZN12_GLOBAL__N_127rocblas_gemm_batched_kernelIDF16_Li16ELi16ELi64ELi64ELi4ELi64ELi4ELi4ELi64ELc78ELc84EKPKDF16_S3_KPDF16_EEvlllT_PT11_llS8_llS6_PT12_llPT13_lli
	.p2align	8
	.type	_ZN12_GLOBAL__N_127rocblas_gemm_batched_kernelIDF16_Li16ELi16ELi64ELi64ELi4ELi64ELi4ELi4ELi64ELc78ELc84EKPKDF16_S3_KPDF16_EEvlllT_PT11_llS8_llS6_PT12_llPT13_lli,@function
_ZN12_GLOBAL__N_127rocblas_gemm_batched_kernelIDF16_Li16ELi16ELi64ELi64ELi4ELi64ELi4ELi4ELi64ELc78ELc84EKPKDF16_S3_KPDF16_EEvlllT_PT11_llS8_llS6_PT12_llPT13_lli: ; @_ZN12_GLOBAL__N_127rocblas_gemm_batched_kernelIDF16_Li16ELi16ELi64ELi64ELi4ELi64ELi4ELi4ELi64ELc78ELc84EKPKDF16_S3_KPDF16_EEvlllT_PT11_llS8_llS6_PT12_llPT13_lli
; %bb.0:
	s_load_b32 s31, s[0:1], 0x88
	s_lshr_b32 s2, ttmp7, 16
	s_wait_kmcnt 0x0
	s_cmp_ge_i32 s2, s31
	s_cbranch_scc1 .LBB149_11
; %bb.1:
	s_load_b128 s[20:23], s[0:1], 0x78
	v_and_b32_e32 v12, 0x3ff, v0
	v_bfe_u32 v3, v0, 10, 10
	s_clause 0x4
	s_load_b96 s[28:30], s[0:1], 0x10
	s_load_b256 s[4:11], s[0:1], 0x20
	s_load_b128 s[24:27], s[0:1], 0x40
	s_load_b32 s33, s[0:1], 0x50
	s_load_b256 s[12:19], s[0:1], 0x58
	s_lshl_b32 s0, ttmp7, 6
	v_and_b32_e32 v14, 3, v0
	v_lshl_add_u32 v1, v3, 4, v12
	s_and_b32 s38, s0, 0x3fffc0
	s_mov_b32 s34, ttmp9
	v_add_nc_u32_e32 v20, s38, v3
	v_lshlrev_b32_e32 v2, 1, v14
	v_lshrrev_b32_e32 v0, 2, v1
	v_lshrrev_b32_e32 v23, 6, v1
	s_ashr_i32 s35, ttmp9, 31
	v_lshl_add_u32 v19, v3, 3, 0x200
	s_lshl_b64 s[0:1], s[34:35], 6
	v_lshl_or_b32 v2, v0, 3, v2
	s_mov_b32 s3, 0
	s_wait_kmcnt 0x0
	v_mad_co_u64_u32 v[4:5], null, v20, s20, 0
	s_delay_alu instid0(VALU_DEP_2) | instskip(SKIP_3) | instid1(VALU_DEP_4)
	v_add_nc_u32_e32 v17, 0x200, v2
	v_mad_co_u64_u32 v[10:11], null, s6, v23, s[0:1]
	v_dual_mov_b32 v1, 0 :: v_dual_and_b32 v22, 63, v1
	s_cmp_eq_f16 s33, 0
	v_mov_b32_e32 v2, v5
	v_lshlrev_b32_e32 v18, 1, v12
	v_add_co_u32 v12, s0, s0, v12
	s_cselect_b32 s34, -1, 0
	v_mad_co_u64_u32 v[2:3], null, v20, s21, v[2:3]
	v_dual_mov_b32 v3, v11 :: v_dual_lshlrev_b32 v6, 1, v22
	s_wait_alu 0xf1ff
	v_add_co_ci_u32_e64 v13, null, s1, 0, s0
	s_lshl_b64 s[0:1], s[26:27], 1
	s_lshl_b64 s[36:37], s[20:21], 4
	v_mov_b32_e32 v5, v2
	v_mad_co_u64_u32 v[8:9], null, s24, v14, v[0:1]
	v_lshl_or_b32 v16, v23, 7, v6
	v_mad_co_u64_u32 v[6:7], null, v20, s14, 0
	s_lshl_b64 s[20:21], s[14:15], 4
	s_lshl_b64 s[16:17], s[16:17], 1
	s_wait_alu 0xfffe
	s_lshl_b64 s[20:21], s[20:21], 1
	v_mov_b32_e32 v0, v9
	v_mov_b32_e32 v2, v7
	v_add_co_u32 v7, vcc_lo, v8, s38
	s_delay_alu instid0(VALU_DEP_3) | instskip(NEXT) | instid1(VALU_DEP_3)
	v_mad_co_u64_u32 v[14:15], null, s25, v14, v[0:1]
	v_mad_co_u64_u32 v[20:21], null, v20, s15, v[2:3]
	;; [unrolled: 1-line block ×3, first 2 shown]
	v_lshlrev_b64_e32 v[4:5], 1, v[4:5]
	s_lshl_b64 s[14:15], s[24:25], 3
	s_delay_alu instid0(VALU_DEP_4) | instskip(SKIP_2) | instid1(VALU_DEP_4)
	v_add_co_ci_u32_e64 v8, null, 0, v14, vcc_lo
	v_add_co_u32 v9, vcc_lo, v10, v22
	s_wait_alu 0xfffd
	v_add_co_ci_u32_e64 v10, null, 0, v2, vcc_lo
	s_delay_alu instid0(VALU_DEP_3) | instskip(SKIP_2) | instid1(VALU_DEP_3)
	v_lshlrev_b64_e32 v[2:3], 1, v[7:8]
	v_mov_b32_e32 v7, v20
	s_lshl_b64 s[6:7], s[6:7], 3
	v_lshlrev_b64_e32 v[8:9], 1, v[9:10]
	s_delay_alu instid0(VALU_DEP_3)
	v_add_co_u32 v0, vcc_lo, s0, v2
	s_wait_alu 0xfffd
	v_add_co_ci_u32_e64 v20, null, s1, v3, vcc_lo
	s_lshl_b64 s[0:1], s[8:9], 1
	v_lshlrev_b64_e32 v[2:3], 1, v[6:7]
	s_wait_alu 0xfffe
	v_add_co_u32 v21, vcc_lo, s0, v8
	v_cmp_gt_i64_e64 s0, s[28:29], 0
	v_lshlrev_b64_e32 v[6:7], 1, v[12:13]
	s_wait_alu 0xfffd
	v_add_co_ci_u32_e64 v22, null, s1, v9, vcc_lo
	s_lshl_b64 s[8:9], s[22:23], 1
	s_lshl_b64 s[22:23], s[36:37], 1
	s_wait_alu 0xf1ff
	v_cndmask_b32_e64 v8, 0, 1, s0
	s_delay_alu instid0(VALU_DEP_1)
	v_cmp_ne_u32_e64 s0, 1, v8
	s_branch .LBB149_3
.LBB149_2:                              ;   in Loop: Header=BB149_3 Depth=1
	s_add_co_i32 s2, s2, 0x10000
	s_delay_alu instid0(SALU_CYCLE_1)
	s_cmp_lt_i32 s2, s31
	s_cbranch_scc0 .LBB149_11
.LBB149_3:                              ; =>This Loop Header: Depth=1
                                        ;     Child Loop BB149_5 Depth 2
	s_lshl_b64 s[24:25], s[2:3], 3
	s_delay_alu instid0(VALU_DEP_1)
	s_and_b32 vcc_lo, exec_lo, s0
	s_wait_alu 0xfffe
	s_add_nc_u64 s[26:27], s[12:13], s[24:25]
	s_add_nc_u64 s[36:37], s[18:19], s[24:25]
	s_clause 0x1
	global_load_b64 v[8:9], v1, s[26:27]
	global_load_b64 v[10:11], v1, s[36:37]
	s_cbranch_vccnz .LBB149_6
; %bb.4:                                ;   in Loop: Header=BB149_3 Depth=1
	s_add_nc_u64 s[26:27], s[10:11], s[24:25]
	s_add_nc_u64 s[24:25], s[4:5], s[24:25]
	s_clause 0x1
	global_load_b64 v[12:13], v1, s[26:27]
	global_load_b64 v[14:15], v1, s[24:25]
	v_dual_mov_b32 v23, 0 :: v_dual_mov_b32 v24, 0
	v_dual_mov_b32 v25, 0 :: v_dual_mov_b32 v26, 0
	;; [unrolled: 1-line block ×4, first 2 shown]
	s_mov_b64 s[24:25], 0
	s_wait_loadcnt 0x1
	v_add_co_u32 v12, vcc_lo, v12, v0
	s_wait_alu 0xfffd
	v_add_co_ci_u32_e64 v13, null, v13, v20, vcc_lo
	s_wait_loadcnt 0x0
	v_add_co_u32 v14, vcc_lo, v14, v21
	s_wait_alu 0xfffd
	v_add_co_ci_u32_e64 v15, null, v15, v22, vcc_lo
.LBB149_5:                              ;   Parent Loop BB149_3 Depth=1
                                        ; =>  This Inner Loop Header: Depth=2
	flat_load_u16 v31, v[14:15]
	s_wait_alu 0xfffe
	s_add_nc_u64 s[24:25], s[24:25], 4
	v_add_co_u32 v14, vcc_lo, v14, s6
	s_wait_alu 0xfffe
	v_cmp_lt_i64_e64 s1, s[24:25], s[28:29]
	s_wait_alu 0xfffd
	v_add_co_ci_u32_e64 v15, null, s7, v15, vcc_lo
	s_and_b32 vcc_lo, exec_lo, s1
	s_wait_loadcnt_dscnt 0x0
	ds_store_b16 v16, v31
	flat_load_u16 v31, v[12:13]
	v_add_co_u32 v12, s1, v12, s14
	s_wait_alu 0xf1ff
	v_add_co_ci_u32_e64 v13, null, s15, v13, s1
	s_wait_loadcnt_dscnt 0x0
	ds_store_b16 v17, v31
	s_wait_dscnt 0x0
	s_barrier_signal -1
	s_barrier_wait -1
	global_inv scope:SCOPE_SE
	ds_load_u16 v39, v18 offset:32
	ds_load_u16 v40, v18 offset:96
	;; [unrolled: 1-line block ×8, first 2 shown]
	ds_load_2addr_b64 v[31:34], v19 offset1:16
	ds_load_2addr_b64 v[35:38], v19 offset0:32 offset1:48
	s_wait_dscnt 0x9
	ds_load_u16_d16_hi v39, v18
	s_wait_dscnt 0x9
	ds_load_u16_d16_hi v40, v18 offset:64
	s_wait_dscnt 0x9
	ds_load_u16_d16_hi v41, v18 offset:128
	;; [unrolled: 2-line block ×7, first 2 shown]
	s_wait_loadcnt_dscnt 0x0
	s_barrier_signal -1
	s_barrier_wait -1
	global_inv scope:SCOPE_SE
	v_pk_fma_f16 v30, v39, v31, v30 op_sel_hi:[1,0,1]
	v_pk_fma_f16 v29, v40, v31, v29 op_sel_hi:[1,0,1]
	;; [unrolled: 1-line block ×8, first 2 shown]
	v_pk_fma_f16 v30, v41, v31, v30 op_sel:[0,1,0]
	v_pk_fma_f16 v29, v42, v31, v29 op_sel:[0,1,0]
	;; [unrolled: 1-line block ×8, first 2 shown]
	v_pk_fma_f16 v30, v43, v32, v30 op_sel_hi:[1,0,1]
	v_pk_fma_f16 v29, v44, v32, v29 op_sel_hi:[1,0,1]
	;; [unrolled: 1-line block ×8, first 2 shown]
	v_pk_fma_f16 v30, v45, v32, v30 op_sel:[0,1,0]
	v_pk_fma_f16 v29, v46, v32, v29 op_sel:[0,1,0]
	;; [unrolled: 1-line block ×8, first 2 shown]
	s_wait_alu 0xfffe
	s_cbranch_vccnz .LBB149_5
	s_branch .LBB149_7
.LBB149_6:                              ;   in Loop: Header=BB149_3 Depth=1
	v_dual_mov_b32 v30, 0 :: v_dual_mov_b32 v29, 0
	v_dual_mov_b32 v28, 0 :: v_dual_mov_b32 v27, 0
	v_dual_mov_b32 v26, 0 :: v_dual_mov_b32 v25, 0
	v_dual_mov_b32 v24, 0 :: v_dual_mov_b32 v23, 0
.LBB149_7:                              ;   in Loop: Header=BB149_3 Depth=1
	s_wait_loadcnt 0x0
	v_add_co_u32 v33, vcc_lo, v10, s8
	s_wait_alu 0xfffd
	v_add_co_ci_u32_e64 v34, null, s9, v11, vcc_lo
	v_lshrrev_b32_e32 v32, 16, v30
	v_lshrrev_b32_e32 v31, 16, v29
	;; [unrolled: 1-line block ×8, first 2 shown]
	s_and_not1_b32 vcc_lo, exec_lo, s34
	s_wait_alu 0xfffe
	s_cbranch_vccnz .LBB149_9
; %bb.8:                                ;   in Loop: Header=BB149_3 Depth=1
	v_add_co_u32 v37, vcc_lo, v33, v4
	s_wait_alu 0xfffd
	v_add_co_ci_u32_e64 v38, null, v34, v5, vcc_lo
	v_mul_f16_e32 v39, s30, v32
	s_delay_alu instid0(VALU_DEP_3) | instskip(SKIP_1) | instid1(VALU_DEP_3)
	v_add_co_u32 v35, vcc_lo, v37, v6
	s_wait_alu 0xfffd
	v_add_co_ci_u32_e64 v36, null, v38, v7, vcc_lo
	v_add_co_u32 v37, vcc_lo, v37, s22
	v_mul_f16_e32 v40, s30, v30
	v_mul_f16_e32 v41, s30, v31
	s_wait_alu 0xfffd
	v_add_co_ci_u32_e64 v38, null, s23, v38, vcc_lo
	v_mul_f16_e32 v42, s30, v29
	s_clause 0x3
	flat_store_b16 v[35:36], v39
	flat_store_b16 v[35:36], v40 offset:32
	flat_store_b16 v[35:36], v41 offset:64
	;; [unrolled: 1-line block ×3, first 2 shown]
	v_add_co_u32 v35, vcc_lo, v37, v6
	s_wait_alu 0xfffd
	v_add_co_ci_u32_e64 v36, null, v38, v7, vcc_lo
	v_add_co_u32 v43, vcc_lo, v37, s22
	s_wait_alu 0xfffd
	v_add_co_ci_u32_e64 v44, null, s23, v38, vcc_lo
	v_mul_f16_e32 v39, s30, v15
	v_mul_f16_e32 v40, s30, v28
	;; [unrolled: 1-line block ×3, first 2 shown]
	v_add_co_u32 v37, vcc_lo, v43, v6
	v_mul_f16_e32 v42, s30, v27
	v_mul_f16_e32 v45, s30, v13
	s_wait_alu 0xfffd
	v_add_co_ci_u32_e64 v38, null, v44, v7, vcc_lo
	v_mul_f16_e32 v46, s30, v26
	v_mul_f16_e32 v47, s30, v12
	;; [unrolled: 1-line block ×3, first 2 shown]
	s_clause 0x7
	flat_store_b16 v[35:36], v39
	flat_store_b16 v[35:36], v40 offset:32
	flat_store_b16 v[35:36], v41 offset:64
	;; [unrolled: 1-line block ×3, first 2 shown]
	flat_store_b16 v[37:38], v45
	flat_store_b16 v[37:38], v46 offset:32
	flat_store_b16 v[37:38], v47 offset:64
	flat_store_b16 v[37:38], v48 offset:96
	v_add_co_u32 v35, vcc_lo, v43, s22
	s_wait_alu 0xfffd
	v_add_co_ci_u32_e64 v36, null, s23, v44, vcc_lo
	v_mul_f16_e32 v37, s30, v11
	s_delay_alu instid0(VALU_DEP_3) | instskip(SKIP_1) | instid1(VALU_DEP_3)
	v_add_co_u32 v35, vcc_lo, v35, v6
	s_wait_alu 0xfffd
	v_add_co_ci_u32_e64 v36, null, v36, v7, vcc_lo
	v_mul_f16_e32 v38, s30, v24
	v_mul_f16_e32 v39, s30, v10
	v_mul_f16_e32 v40, s30, v23
	s_clause 0x3
	flat_store_b16 v[35:36], v37
	flat_store_b16 v[35:36], v38 offset:32
	flat_store_b16 v[35:36], v39 offset:64
	;; [unrolled: 1-line block ×3, first 2 shown]
	s_cbranch_execnz .LBB149_2
	s_branch .LBB149_10
.LBB149_9:                              ;   in Loop: Header=BB149_3 Depth=1
.LBB149_10:                             ;   in Loop: Header=BB149_3 Depth=1
	v_add_co_u32 v8, vcc_lo, v8, s16
	s_wait_alu 0xfffd
	v_add_co_ci_u32_e64 v9, null, s17, v9, vcc_lo
	s_delay_alu instid0(VALU_DEP_2) | instskip(SKIP_1) | instid1(VALU_DEP_2)
	v_add_co_u32 v35, vcc_lo, v8, v2
	s_wait_alu 0xfffd
	v_add_co_ci_u32_e64 v36, null, v9, v3, vcc_lo
	s_delay_alu instid0(VALU_DEP_2) | instskip(SKIP_1) | instid1(VALU_DEP_2)
	v_add_co_u32 v8, vcc_lo, v35, v6
	s_wait_alu 0xfffd
	v_add_co_ci_u32_e64 v9, null, v36, v7, vcc_lo
	v_add_co_u32 v38, vcc_lo, v33, v4
	s_wait_alu 0xfffd
	v_add_co_ci_u32_e64 v39, null, v34, v5, vcc_lo
	flat_load_u16 v37, v[8:9]
	v_add_co_u32 v33, vcc_lo, v38, v6
	s_wait_alu 0xfffd
	v_add_co_ci_u32_e64 v34, null, v39, v7, vcc_lo
	s_wait_loadcnt_dscnt 0x0
	v_mul_f16_e32 v37, s33, v37
	s_delay_alu instid0(VALU_DEP_1) | instskip(SKIP_4) | instid1(VALU_DEP_1)
	v_fmac_f16_e32 v37, s30, v32
	flat_store_b16 v[33:34], v37
	flat_load_u16 v32, v[8:9] offset:32
	s_wait_loadcnt_dscnt 0x0
	v_mul_f16_e32 v32, s33, v32
	v_fmac_f16_e32 v32, s30, v30
	flat_store_b16 v[33:34], v32 offset:32
	flat_load_u16 v30, v[8:9] offset:64
	s_wait_loadcnt_dscnt 0x0
	v_mul_f16_e32 v30, s33, v30
	s_delay_alu instid0(VALU_DEP_1)
	v_fmac_f16_e32 v30, s30, v31
	v_add_co_u32 v31, vcc_lo, v35, s20
	s_wait_alu 0xfffd
	v_add_co_ci_u32_e64 v32, null, s21, v36, vcc_lo
	flat_store_b16 v[33:34], v30 offset:64
	flat_load_u16 v8, v[8:9] offset:96
	s_wait_loadcnt_dscnt 0x0
	v_mul_f16_e32 v30, s33, v8
	v_add_co_u32 v8, vcc_lo, v31, v6
	s_wait_alu 0xfffd
	v_add_co_ci_u32_e64 v9, null, v32, v7, vcc_lo
	s_delay_alu instid0(VALU_DEP_3)
	v_fmac_f16_e32 v30, s30, v29
	flat_store_b16 v[33:34], v30 offset:96
	flat_load_u16 v29, v[8:9]
	v_add_co_u32 v33, vcc_lo, v38, s22
	s_wait_alu 0xfffd
	v_add_co_ci_u32_e64 v34, null, s23, v39, vcc_lo
	s_wait_loadcnt_dscnt 0x0
	v_mul_f16_e32 v35, s33, v29
	v_add_co_u32 v29, vcc_lo, v33, v6
	s_wait_alu 0xfffd
	v_add_co_ci_u32_e64 v30, null, v34, v7, vcc_lo
	s_delay_alu instid0(VALU_DEP_3) | instskip(SKIP_4) | instid1(VALU_DEP_1)
	v_fmac_f16_e32 v35, s30, v15
	flat_store_b16 v[29:30], v35
	flat_load_u16 v15, v[8:9] offset:32
	s_wait_loadcnt_dscnt 0x0
	v_mul_f16_e32 v15, s33, v15
	v_fmac_f16_e32 v15, s30, v28
	v_add_co_u32 v28, vcc_lo, v31, s20
	s_wait_alu 0xfffd
	v_add_co_ci_u32_e64 v31, null, s21, v32, vcc_lo
	flat_store_b16 v[29:30], v15 offset:32
	flat_load_u16 v15, v[8:9] offset:64
	s_wait_loadcnt_dscnt 0x0
	v_mul_f16_e32 v15, s33, v15
	s_delay_alu instid0(VALU_DEP_1)
	v_fmac_f16_e32 v15, s30, v14
	flat_store_b16 v[29:30], v15 offset:64
	flat_load_u16 v8, v[8:9] offset:96
	s_wait_loadcnt_dscnt 0x0
	v_mul_f16_e32 v14, s33, v8
	v_add_co_u32 v8, vcc_lo, v28, v6
	s_wait_alu 0xfffd
	v_add_co_ci_u32_e64 v9, null, v31, v7, vcc_lo
	s_delay_alu instid0(VALU_DEP_3)
	v_fmac_f16_e32 v14, s30, v27
	v_add_co_u32 v27, vcc_lo, v33, s22
	flat_store_b16 v[29:30], v14 offset:96
	flat_load_u16 v14, v[8:9]
	s_wait_alu 0xfffd
	v_add_co_ci_u32_e64 v29, null, s23, v34, vcc_lo
	s_wait_loadcnt_dscnt 0x0
	v_mul_f16_e32 v30, s33, v14
	v_add_co_u32 v14, vcc_lo, v27, v6
	s_wait_alu 0xfffd
	v_add_co_ci_u32_e64 v15, null, v29, v7, vcc_lo
	s_delay_alu instid0(VALU_DEP_3) | instskip(SKIP_4) | instid1(VALU_DEP_1)
	v_fmac_f16_e32 v30, s30, v13
	flat_store_b16 v[14:15], v30
	flat_load_u16 v13, v[8:9] offset:32
	s_wait_loadcnt_dscnt 0x0
	v_mul_f16_e32 v13, s33, v13
	v_fmac_f16_e32 v13, s30, v26
	flat_store_b16 v[14:15], v13 offset:32
	flat_load_u16 v13, v[8:9] offset:64
	s_wait_loadcnt_dscnt 0x0
	v_mul_f16_e32 v13, s33, v13
	s_delay_alu instid0(VALU_DEP_1)
	v_fmac_f16_e32 v13, s30, v12
	flat_store_b16 v[14:15], v13 offset:64
	flat_load_u16 v8, v[8:9] offset:96
	s_wait_loadcnt_dscnt 0x0
	v_mul_f16_e32 v12, s33, v8
	v_add_co_u32 v8, vcc_lo, v28, s20
	s_wait_alu 0xfffd
	v_add_co_ci_u32_e64 v9, null, s21, v31, vcc_lo
	s_delay_alu instid0(VALU_DEP_3) | instskip(NEXT) | instid1(VALU_DEP_3)
	v_fmac_f16_e32 v12, s30, v25
	v_add_co_u32 v8, vcc_lo, v8, v6
	s_wait_alu 0xfffd
	s_delay_alu instid0(VALU_DEP_3)
	v_add_co_ci_u32_e64 v9, null, v9, v7, vcc_lo
	flat_store_b16 v[14:15], v12 offset:96
	flat_load_u16 v12, v[8:9]
	s_wait_loadcnt_dscnt 0x0
	v_mul_f16_e32 v13, s33, v12
	v_add_co_u32 v12, vcc_lo, v27, s22
	s_wait_alu 0xfffd
	v_add_co_ci_u32_e64 v14, null, s23, v29, vcc_lo
	s_delay_alu instid0(VALU_DEP_3) | instskip(NEXT) | instid1(VALU_DEP_3)
	v_fmac_f16_e32 v13, s30, v11
	v_add_co_u32 v11, vcc_lo, v12, v6
	s_wait_alu 0xfffd
	s_delay_alu instid0(VALU_DEP_3) | instskip(SKIP_4) | instid1(VALU_DEP_1)
	v_add_co_ci_u32_e64 v12, null, v14, v7, vcc_lo
	flat_store_b16 v[11:12], v13
	flat_load_u16 v13, v[8:9] offset:32
	s_wait_loadcnt_dscnt 0x0
	v_mul_f16_e32 v13, s33, v13
	v_fmac_f16_e32 v13, s30, v24
	flat_store_b16 v[11:12], v13 offset:32
	flat_load_u16 v13, v[8:9] offset:64
	s_wait_loadcnt_dscnt 0x0
	v_mul_f16_e32 v13, s33, v13
	s_delay_alu instid0(VALU_DEP_1) | instskip(SKIP_4) | instid1(VALU_DEP_1)
	v_fmac_f16_e32 v13, s30, v10
	flat_store_b16 v[11:12], v13 offset:64
	flat_load_u16 v8, v[8:9] offset:96
	s_wait_loadcnt_dscnt 0x0
	v_mul_f16_e32 v8, s33, v8
	v_fmac_f16_e32 v8, s30, v23
	flat_store_b16 v[11:12], v8 offset:96
	s_branch .LBB149_2
.LBB149_11:
	s_endpgm
	.section	.rodata,"a",@progbits
	.p2align	6, 0x0
	.amdhsa_kernel _ZN12_GLOBAL__N_127rocblas_gemm_batched_kernelIDF16_Li16ELi16ELi64ELi64ELi4ELi64ELi4ELi4ELi64ELc78ELc84EKPKDF16_S3_KPDF16_EEvlllT_PT11_llS8_llS6_PT12_llPT13_lli
		.amdhsa_group_segment_fixed_size 1024
		.amdhsa_private_segment_fixed_size 0
		.amdhsa_kernarg_size 140
		.amdhsa_user_sgpr_count 2
		.amdhsa_user_sgpr_dispatch_ptr 0
		.amdhsa_user_sgpr_queue_ptr 0
		.amdhsa_user_sgpr_kernarg_segment_ptr 1
		.amdhsa_user_sgpr_dispatch_id 0
		.amdhsa_user_sgpr_private_segment_size 0
		.amdhsa_wavefront_size32 1
		.amdhsa_uses_dynamic_stack 0
		.amdhsa_enable_private_segment 0
		.amdhsa_system_sgpr_workgroup_id_x 1
		.amdhsa_system_sgpr_workgroup_id_y 1
		.amdhsa_system_sgpr_workgroup_id_z 1
		.amdhsa_system_sgpr_workgroup_info 0
		.amdhsa_system_vgpr_workitem_id 1
		.amdhsa_next_free_vgpr 49
		.amdhsa_next_free_sgpr 39
		.amdhsa_reserve_vcc 1
		.amdhsa_float_round_mode_32 0
		.amdhsa_float_round_mode_16_64 0
		.amdhsa_float_denorm_mode_32 3
		.amdhsa_float_denorm_mode_16_64 3
		.amdhsa_fp16_overflow 0
		.amdhsa_workgroup_processor_mode 1
		.amdhsa_memory_ordered 1
		.amdhsa_forward_progress 1
		.amdhsa_inst_pref_size 23
		.amdhsa_round_robin_scheduling 0
		.amdhsa_exception_fp_ieee_invalid_op 0
		.amdhsa_exception_fp_denorm_src 0
		.amdhsa_exception_fp_ieee_div_zero 0
		.amdhsa_exception_fp_ieee_overflow 0
		.amdhsa_exception_fp_ieee_underflow 0
		.amdhsa_exception_fp_ieee_inexact 0
		.amdhsa_exception_int_div_zero 0
	.end_amdhsa_kernel
	.section	.text._ZN12_GLOBAL__N_127rocblas_gemm_batched_kernelIDF16_Li16ELi16ELi64ELi64ELi4ELi64ELi4ELi4ELi64ELc78ELc84EKPKDF16_S3_KPDF16_EEvlllT_PT11_llS8_llS6_PT12_llPT13_lli,"axG",@progbits,_ZN12_GLOBAL__N_127rocblas_gemm_batched_kernelIDF16_Li16ELi16ELi64ELi64ELi4ELi64ELi4ELi4ELi64ELc78ELc84EKPKDF16_S3_KPDF16_EEvlllT_PT11_llS8_llS6_PT12_llPT13_lli,comdat
.Lfunc_end149:
	.size	_ZN12_GLOBAL__N_127rocblas_gemm_batched_kernelIDF16_Li16ELi16ELi64ELi64ELi4ELi64ELi4ELi4ELi64ELc78ELc84EKPKDF16_S3_KPDF16_EEvlllT_PT11_llS8_llS6_PT12_llPT13_lli, .Lfunc_end149-_ZN12_GLOBAL__N_127rocblas_gemm_batched_kernelIDF16_Li16ELi16ELi64ELi64ELi4ELi64ELi4ELi4ELi64ELc78ELc84EKPKDF16_S3_KPDF16_EEvlllT_PT11_llS8_llS6_PT12_llPT13_lli
                                        ; -- End function
	.set _ZN12_GLOBAL__N_127rocblas_gemm_batched_kernelIDF16_Li16ELi16ELi64ELi64ELi4ELi64ELi4ELi4ELi64ELc78ELc84EKPKDF16_S3_KPDF16_EEvlllT_PT11_llS8_llS6_PT12_llPT13_lli.num_vgpr, 49
	.set _ZN12_GLOBAL__N_127rocblas_gemm_batched_kernelIDF16_Li16ELi16ELi64ELi64ELi4ELi64ELi4ELi4ELi64ELc78ELc84EKPKDF16_S3_KPDF16_EEvlllT_PT11_llS8_llS6_PT12_llPT13_lli.num_agpr, 0
	.set _ZN12_GLOBAL__N_127rocblas_gemm_batched_kernelIDF16_Li16ELi16ELi64ELi64ELi4ELi64ELi4ELi4ELi64ELc78ELc84EKPKDF16_S3_KPDF16_EEvlllT_PT11_llS8_llS6_PT12_llPT13_lli.numbered_sgpr, 39
	.set _ZN12_GLOBAL__N_127rocblas_gemm_batched_kernelIDF16_Li16ELi16ELi64ELi64ELi4ELi64ELi4ELi4ELi64ELc78ELc84EKPKDF16_S3_KPDF16_EEvlllT_PT11_llS8_llS6_PT12_llPT13_lli.num_named_barrier, 0
	.set _ZN12_GLOBAL__N_127rocblas_gemm_batched_kernelIDF16_Li16ELi16ELi64ELi64ELi4ELi64ELi4ELi4ELi64ELc78ELc84EKPKDF16_S3_KPDF16_EEvlllT_PT11_llS8_llS6_PT12_llPT13_lli.private_seg_size, 0
	.set _ZN12_GLOBAL__N_127rocblas_gemm_batched_kernelIDF16_Li16ELi16ELi64ELi64ELi4ELi64ELi4ELi4ELi64ELc78ELc84EKPKDF16_S3_KPDF16_EEvlllT_PT11_llS8_llS6_PT12_llPT13_lli.uses_vcc, 1
	.set _ZN12_GLOBAL__N_127rocblas_gemm_batched_kernelIDF16_Li16ELi16ELi64ELi64ELi4ELi64ELi4ELi4ELi64ELc78ELc84EKPKDF16_S3_KPDF16_EEvlllT_PT11_llS8_llS6_PT12_llPT13_lli.uses_flat_scratch, 1
	.set _ZN12_GLOBAL__N_127rocblas_gemm_batched_kernelIDF16_Li16ELi16ELi64ELi64ELi4ELi64ELi4ELi4ELi64ELc78ELc84EKPKDF16_S3_KPDF16_EEvlllT_PT11_llS8_llS6_PT12_llPT13_lli.has_dyn_sized_stack, 0
	.set _ZN12_GLOBAL__N_127rocblas_gemm_batched_kernelIDF16_Li16ELi16ELi64ELi64ELi4ELi64ELi4ELi4ELi64ELc78ELc84EKPKDF16_S3_KPDF16_EEvlllT_PT11_llS8_llS6_PT12_llPT13_lli.has_recursion, 0
	.set _ZN12_GLOBAL__N_127rocblas_gemm_batched_kernelIDF16_Li16ELi16ELi64ELi64ELi4ELi64ELi4ELi4ELi64ELc78ELc84EKPKDF16_S3_KPDF16_EEvlllT_PT11_llS8_llS6_PT12_llPT13_lli.has_indirect_call, 0
	.section	.AMDGPU.csdata,"",@progbits
; Kernel info:
; codeLenInByte = 2848
; TotalNumSgprs: 41
; NumVgprs: 49
; ScratchSize: 0
; MemoryBound: 0
; FloatMode: 240
; IeeeMode: 1
; LDSByteSize: 1024 bytes/workgroup (compile time only)
; SGPRBlocks: 0
; VGPRBlocks: 6
; NumSGPRsForWavesPerEU: 41
; NumVGPRsForWavesPerEU: 49
; Occupancy: 16
; WaveLimiterHint : 1
; COMPUTE_PGM_RSRC2:SCRATCH_EN: 0
; COMPUTE_PGM_RSRC2:USER_SGPR: 2
; COMPUTE_PGM_RSRC2:TRAP_HANDLER: 0
; COMPUTE_PGM_RSRC2:TGID_X_EN: 1
; COMPUTE_PGM_RSRC2:TGID_Y_EN: 1
; COMPUTE_PGM_RSRC2:TGID_Z_EN: 1
; COMPUTE_PGM_RSRC2:TIDIG_COMP_CNT: 1
	.section	.text._ZN12_GLOBAL__N_127rocblas_gemm_batched_kernelIDF16_Li16ELi16ELi64ELi64ELi4ELi64ELi4ELi4ELi64ELc84ELc84EKPKDF16_S3_KPDF16_EEvlllT_PT11_llS8_llS6_PT12_llPT13_lli,"axG",@progbits,_ZN12_GLOBAL__N_127rocblas_gemm_batched_kernelIDF16_Li16ELi16ELi64ELi64ELi4ELi64ELi4ELi4ELi64ELc84ELc84EKPKDF16_S3_KPDF16_EEvlllT_PT11_llS8_llS6_PT12_llPT13_lli,comdat
	.globl	_ZN12_GLOBAL__N_127rocblas_gemm_batched_kernelIDF16_Li16ELi16ELi64ELi64ELi4ELi64ELi4ELi4ELi64ELc84ELc84EKPKDF16_S3_KPDF16_EEvlllT_PT11_llS8_llS6_PT12_llPT13_lli ; -- Begin function _ZN12_GLOBAL__N_127rocblas_gemm_batched_kernelIDF16_Li16ELi16ELi64ELi64ELi4ELi64ELi4ELi4ELi64ELc84ELc84EKPKDF16_S3_KPDF16_EEvlllT_PT11_llS8_llS6_PT12_llPT13_lli
	.p2align	8
	.type	_ZN12_GLOBAL__N_127rocblas_gemm_batched_kernelIDF16_Li16ELi16ELi64ELi64ELi4ELi64ELi4ELi4ELi64ELc84ELc84EKPKDF16_S3_KPDF16_EEvlllT_PT11_llS8_llS6_PT12_llPT13_lli,@function
_ZN12_GLOBAL__N_127rocblas_gemm_batched_kernelIDF16_Li16ELi16ELi64ELi64ELi4ELi64ELi4ELi4ELi64ELc84ELc84EKPKDF16_S3_KPDF16_EEvlllT_PT11_llS8_llS6_PT12_llPT13_lli: ; @_ZN12_GLOBAL__N_127rocblas_gemm_batched_kernelIDF16_Li16ELi16ELi64ELi64ELi4ELi64ELi4ELi4ELi64ELc84ELc84EKPKDF16_S3_KPDF16_EEvlllT_PT11_llS8_llS6_PT12_llPT13_lli
; %bb.0:
	s_load_b32 s31, s[0:1], 0x88
	s_lshr_b32 s2, ttmp7, 16
	s_wait_kmcnt 0x0
	s_cmp_ge_i32 s2, s31
	s_cbranch_scc1 .LBB150_11
; %bb.1:
	v_dual_mov_b32 v1, 0 :: v_dual_and_b32 v8, 0x3ff, v0
	v_bfe_u32 v2, v0, 10, 10
	s_clause 0x5
	s_load_b96 s[28:30], s[0:1], 0x10
	s_load_b128 s[24:27], s[0:1], 0x40
	s_load_b32 s33, s[0:1], 0x50
	s_load_b128 s[20:23], s[0:1], 0x78
	s_load_b256 s[4:11], s[0:1], 0x20
	s_load_b256 s[12:19], s[0:1], 0x58
	s_lshl_b32 s0, ttmp7, 6
	s_mov_b32 s34, ttmp9
	v_lshl_add_u32 v3, v2, 4, v8
	s_and_b32 s36, s0, 0x3fffc0
	v_lshl_add_u32 v19, v2, 3, 0x200
	v_add_nc_u32_e32 v14, s36, v2
	s_ashr_i32 s35, ttmp9, 31
	v_and_b32_e32 v12, 63, v3
	v_lshrrev_b32_e32 v15, 6, v3
	s_lshl_b64 s[0:1], s[34:35], 6
	v_lshlrev_b32_e32 v18, 1, v8
	v_add_co_u32 v8, s35, s0, v8
	v_lshlrev_b32_e32 v4, 1, v12
	v_add_co_ci_u32_e64 v9, null, s1, 0, s35
	s_mov_b32 s3, 0
	s_wait_kmcnt 0x0
	s_cmp_eq_f16 s33, 0
	v_lshl_or_b32 v16, v15, 7, v4
	v_mad_co_u64_u32 v[4:5], null, v14, s20, 0
	v_and_b32_e32 v13, 3, v0
	v_lshrrev_b32_e32 v0, 2, v3
	v_mad_co_u64_u32 v[6:7], null, v14, s14, 0
	s_cselect_b32 s34, -1, 0
	v_lshlrev_b32_e32 v3, 1, v13
	s_delay_alu instid0(VALU_DEP_1) | instskip(NEXT) | instid1(VALU_DEP_1)
	v_lshl_or_b32 v3, v0, 3, v3
	v_add_nc_u32_e32 v17, 0x200, v3
	v_mad_co_u64_u32 v[2:3], null, s24, v13, v[0:1]
	v_mov_b32_e32 v0, v5
	v_or_b32_e32 v5, s0, v12
	s_mul_i32 s0, s6, s1
	s_delay_alu instid0(VALU_DEP_2) | instskip(SKIP_3) | instid1(VALU_DEP_3)
	v_mad_co_u64_u32 v[10:11], null, v14, s21, v[0:1]
	v_mov_b32_e32 v0, v7
	v_mad_co_u64_u32 v[11:12], null, s25, v13, v[3:4]
	v_add_co_u32 v2, vcc_lo, v2, s36
	v_mad_co_u64_u32 v[12:13], null, v14, s15, v[0:1]
	v_mul_lo_u32 v0, s7, v5
	v_mad_co_u64_u32 v[13:14], null, s6, v5, 0
	v_add_co_ci_u32_e64 v3, null, 0, v11, vcc_lo
	v_mov_b32_e32 v5, v10
	v_mov_b32_e32 v7, v12
	s_lshl_b64 s[20:21], s[20:21], 4
	s_delay_alu instid0(VALU_DEP_3)
	v_lshlrev_b64_e32 v[2:3], 1, v[2:3]
	s_wait_alu 0xfffe
	v_add3_u32 v14, v14, s0, v0
	s_lshl_b64 s[0:1], s[26:27], 1
	v_lshlrev_b64_e32 v[4:5], 1, v[4:5]
	s_lshl_b64 s[36:37], s[14:15], 4
	s_lshl_b64 s[6:7], s[24:25], 3
	v_lshlrev_b64_e32 v[10:11], 1, v[13:14]
	s_wait_alu 0xfffe
	v_add_co_u32 v0, vcc_lo, s0, v2
	s_wait_alu 0xfffd
	v_add_co_ci_u32_e64 v20, null, s1, v3, vcc_lo
	s_lshl_b64 s[0:1], s[8:9], 1
	v_lshlrev_b32_e32 v2, 1, v15
	s_wait_alu 0xfffe
	v_add_co_u32 v3, vcc_lo, v10, s0
	v_cmp_gt_i64_e64 s0, s[28:29], 0
	s_wait_alu 0xfffd
	v_add_co_ci_u32_e64 v10, null, s1, v11, vcc_lo
	s_delay_alu instid0(VALU_DEP_3)
	v_add_co_u32 v21, vcc_lo, v3, v2
	v_lshlrev_b64_e32 v[2:3], 1, v[6:7]
	s_wait_alu 0xf1ff
	v_cndmask_b32_e64 v11, 0, 1, s0
	v_lshlrev_b64_e32 v[6:7], 1, v[8:9]
	s_wait_alu 0xfffd
	v_add_co_ci_u32_e64 v22, null, 0, v10, vcc_lo
	s_lshl_b64 s[8:9], s[22:23], 1
	v_cmp_ne_u32_e64 s0, 1, v11
	s_lshl_b64 s[14:15], s[16:17], 1
	s_lshl_b64 s[16:17], s[36:37], 1
	;; [unrolled: 1-line block ×3, first 2 shown]
	s_branch .LBB150_3
.LBB150_2:                              ;   in Loop: Header=BB150_3 Depth=1
	s_add_co_i32 s2, s2, 0x10000
	s_delay_alu instid0(SALU_CYCLE_1)
	s_cmp_lt_i32 s2, s31
	s_cbranch_scc0 .LBB150_11
.LBB150_3:                              ; =>This Loop Header: Depth=1
                                        ;     Child Loop BB150_5 Depth 2
	s_lshl_b64 s[22:23], s[2:3], 3
	s_and_b32 vcc_lo, exec_lo, s0
	s_wait_alu 0xfffe
	s_add_nc_u64 s[24:25], s[12:13], s[22:23]
	s_add_nc_u64 s[26:27], s[18:19], s[22:23]
	s_clause 0x1
	global_load_b64 v[8:9], v1, s[24:25]
	global_load_b64 v[10:11], v1, s[26:27]
	s_cbranch_vccnz .LBB150_6
; %bb.4:                                ;   in Loop: Header=BB150_3 Depth=1
	s_add_nc_u64 s[24:25], s[10:11], s[22:23]
	s_add_nc_u64 s[22:23], s[4:5], s[22:23]
	s_clause 0x1
	global_load_b64 v[12:13], v1, s[24:25]
	global_load_b64 v[14:15], v1, s[22:23]
	v_dual_mov_b32 v23, 0 :: v_dual_mov_b32 v24, 0
	v_dual_mov_b32 v25, 0 :: v_dual_mov_b32 v26, 0
	;; [unrolled: 1-line block ×4, first 2 shown]
	s_mov_b64 s[22:23], 0
	s_wait_loadcnt 0x1
	v_add_co_u32 v12, vcc_lo, v12, v0
	s_wait_alu 0xfffd
	v_add_co_ci_u32_e64 v13, null, v13, v20, vcc_lo
	s_wait_loadcnt 0x0
	v_add_co_u32 v14, vcc_lo, v14, v21
	s_wait_alu 0xfffd
	v_add_co_ci_u32_e64 v15, null, v15, v22, vcc_lo
.LBB150_5:                              ;   Parent Loop BB150_3 Depth=1
                                        ; =>  This Inner Loop Header: Depth=2
	flat_load_u16 v31, v[14:15]
	s_wait_alu 0xfffe
	s_add_nc_u64 s[22:23], s[22:23], 4
	v_add_co_u32 v14, vcc_lo, v14, 8
	s_wait_alu 0xfffe
	v_cmp_lt_i64_e64 s1, s[22:23], s[28:29]
	s_wait_alu 0xfffd
	v_add_co_ci_u32_e64 v15, null, 0, v15, vcc_lo
	s_and_b32 vcc_lo, exec_lo, s1
	s_wait_loadcnt_dscnt 0x0
	ds_store_b16 v16, v31
	flat_load_u16 v31, v[12:13]
	v_add_co_u32 v12, s1, v12, s6
	s_wait_alu 0xf1ff
	v_add_co_ci_u32_e64 v13, null, s7, v13, s1
	s_wait_loadcnt_dscnt 0x0
	ds_store_b16 v17, v31
	s_wait_dscnt 0x0
	s_barrier_signal -1
	s_barrier_wait -1
	global_inv scope:SCOPE_SE
	ds_load_u16 v39, v18 offset:32
	ds_load_u16 v40, v18 offset:96
	;; [unrolled: 1-line block ×8, first 2 shown]
	ds_load_2addr_b64 v[31:34], v19 offset1:16
	ds_load_2addr_b64 v[35:38], v19 offset0:32 offset1:48
	s_wait_dscnt 0x9
	ds_load_u16_d16_hi v39, v18
	s_wait_dscnt 0x9
	ds_load_u16_d16_hi v40, v18 offset:64
	s_wait_dscnt 0x9
	ds_load_u16_d16_hi v41, v18 offset:128
	;; [unrolled: 2-line block ×7, first 2 shown]
	s_wait_loadcnt_dscnt 0x0
	s_barrier_signal -1
	s_barrier_wait -1
	global_inv scope:SCOPE_SE
	v_pk_fma_f16 v30, v39, v31, v30 op_sel_hi:[1,0,1]
	v_pk_fma_f16 v29, v40, v31, v29 op_sel_hi:[1,0,1]
	;; [unrolled: 1-line block ×8, first 2 shown]
	v_pk_fma_f16 v30, v41, v31, v30 op_sel:[0,1,0]
	v_pk_fma_f16 v29, v42, v31, v29 op_sel:[0,1,0]
	;; [unrolled: 1-line block ×8, first 2 shown]
	v_pk_fma_f16 v30, v43, v32, v30 op_sel_hi:[1,0,1]
	v_pk_fma_f16 v29, v44, v32, v29 op_sel_hi:[1,0,1]
	;; [unrolled: 1-line block ×8, first 2 shown]
	v_pk_fma_f16 v30, v45, v32, v30 op_sel:[0,1,0]
	v_pk_fma_f16 v29, v46, v32, v29 op_sel:[0,1,0]
	;; [unrolled: 1-line block ×8, first 2 shown]
	s_wait_alu 0xfffe
	s_cbranch_vccnz .LBB150_5
	s_branch .LBB150_7
.LBB150_6:                              ;   in Loop: Header=BB150_3 Depth=1
	v_dual_mov_b32 v30, 0 :: v_dual_mov_b32 v29, 0
	v_dual_mov_b32 v28, 0 :: v_dual_mov_b32 v27, 0
	;; [unrolled: 1-line block ×4, first 2 shown]
.LBB150_7:                              ;   in Loop: Header=BB150_3 Depth=1
	s_wait_loadcnt 0x0
	v_add_co_u32 v33, vcc_lo, v10, s8
	s_wait_alu 0xfffd
	v_add_co_ci_u32_e64 v34, null, s9, v11, vcc_lo
	v_lshrrev_b32_e32 v32, 16, v30
	v_lshrrev_b32_e32 v31, 16, v29
	;; [unrolled: 1-line block ×8, first 2 shown]
	s_and_not1_b32 vcc_lo, exec_lo, s34
	s_wait_alu 0xfffe
	s_cbranch_vccnz .LBB150_9
; %bb.8:                                ;   in Loop: Header=BB150_3 Depth=1
	v_add_co_u32 v37, vcc_lo, v33, v4
	s_wait_alu 0xfffd
	v_add_co_ci_u32_e64 v38, null, v34, v5, vcc_lo
	v_mul_f16_e32 v39, s30, v32
	s_delay_alu instid0(VALU_DEP_3) | instskip(SKIP_1) | instid1(VALU_DEP_3)
	v_add_co_u32 v35, vcc_lo, v37, v6
	s_wait_alu 0xfffd
	v_add_co_ci_u32_e64 v36, null, v38, v7, vcc_lo
	v_add_co_u32 v37, vcc_lo, v37, s20
	v_mul_f16_e32 v40, s30, v30
	v_mul_f16_e32 v41, s30, v31
	s_wait_alu 0xfffd
	v_add_co_ci_u32_e64 v38, null, s21, v38, vcc_lo
	v_mul_f16_e32 v42, s30, v29
	s_clause 0x3
	flat_store_b16 v[35:36], v39
	flat_store_b16 v[35:36], v40 offset:32
	flat_store_b16 v[35:36], v41 offset:64
	;; [unrolled: 1-line block ×3, first 2 shown]
	v_add_co_u32 v35, vcc_lo, v37, v6
	s_wait_alu 0xfffd
	v_add_co_ci_u32_e64 v36, null, v38, v7, vcc_lo
	v_add_co_u32 v43, vcc_lo, v37, s20
	s_wait_alu 0xfffd
	v_add_co_ci_u32_e64 v44, null, s21, v38, vcc_lo
	v_mul_f16_e32 v39, s30, v15
	v_mul_f16_e32 v40, s30, v28
	;; [unrolled: 1-line block ×3, first 2 shown]
	v_add_co_u32 v37, vcc_lo, v43, v6
	v_mul_f16_e32 v42, s30, v27
	v_mul_f16_e32 v45, s30, v13
	s_wait_alu 0xfffd
	v_add_co_ci_u32_e64 v38, null, v44, v7, vcc_lo
	v_mul_f16_e32 v46, s30, v26
	v_mul_f16_e32 v47, s30, v12
	v_mul_f16_e32 v48, s30, v25
	s_clause 0x7
	flat_store_b16 v[35:36], v39
	flat_store_b16 v[35:36], v40 offset:32
	flat_store_b16 v[35:36], v41 offset:64
	;; [unrolled: 1-line block ×3, first 2 shown]
	flat_store_b16 v[37:38], v45
	flat_store_b16 v[37:38], v46 offset:32
	flat_store_b16 v[37:38], v47 offset:64
	;; [unrolled: 1-line block ×3, first 2 shown]
	v_add_co_u32 v35, vcc_lo, v43, s20
	s_wait_alu 0xfffd
	v_add_co_ci_u32_e64 v36, null, s21, v44, vcc_lo
	v_mul_f16_e32 v37, s30, v11
	s_delay_alu instid0(VALU_DEP_3) | instskip(SKIP_1) | instid1(VALU_DEP_3)
	v_add_co_u32 v35, vcc_lo, v35, v6
	s_wait_alu 0xfffd
	v_add_co_ci_u32_e64 v36, null, v36, v7, vcc_lo
	v_mul_f16_e32 v38, s30, v24
	v_mul_f16_e32 v39, s30, v10
	;; [unrolled: 1-line block ×3, first 2 shown]
	s_clause 0x3
	flat_store_b16 v[35:36], v37
	flat_store_b16 v[35:36], v38 offset:32
	flat_store_b16 v[35:36], v39 offset:64
	;; [unrolled: 1-line block ×3, first 2 shown]
	s_cbranch_execnz .LBB150_2
	s_branch .LBB150_10
.LBB150_9:                              ;   in Loop: Header=BB150_3 Depth=1
.LBB150_10:                             ;   in Loop: Header=BB150_3 Depth=1
	v_add_co_u32 v8, vcc_lo, v8, s14
	s_wait_alu 0xfffd
	v_add_co_ci_u32_e64 v9, null, s15, v9, vcc_lo
	s_delay_alu instid0(VALU_DEP_2) | instskip(SKIP_1) | instid1(VALU_DEP_2)
	v_add_co_u32 v35, vcc_lo, v8, v2
	s_wait_alu 0xfffd
	v_add_co_ci_u32_e64 v36, null, v9, v3, vcc_lo
	s_delay_alu instid0(VALU_DEP_2) | instskip(SKIP_1) | instid1(VALU_DEP_2)
	v_add_co_u32 v8, vcc_lo, v35, v6
	s_wait_alu 0xfffd
	v_add_co_ci_u32_e64 v9, null, v36, v7, vcc_lo
	v_add_co_u32 v38, vcc_lo, v33, v4
	s_wait_alu 0xfffd
	v_add_co_ci_u32_e64 v39, null, v34, v5, vcc_lo
	flat_load_u16 v37, v[8:9]
	v_add_co_u32 v33, vcc_lo, v38, v6
	s_wait_alu 0xfffd
	v_add_co_ci_u32_e64 v34, null, v39, v7, vcc_lo
	s_wait_loadcnt_dscnt 0x0
	v_mul_f16_e32 v37, s33, v37
	s_delay_alu instid0(VALU_DEP_1) | instskip(SKIP_4) | instid1(VALU_DEP_1)
	v_fmac_f16_e32 v37, s30, v32
	flat_store_b16 v[33:34], v37
	flat_load_u16 v32, v[8:9] offset:32
	s_wait_loadcnt_dscnt 0x0
	v_mul_f16_e32 v32, s33, v32
	v_fmac_f16_e32 v32, s30, v30
	flat_store_b16 v[33:34], v32 offset:32
	flat_load_u16 v30, v[8:9] offset:64
	s_wait_loadcnt_dscnt 0x0
	v_mul_f16_e32 v30, s33, v30
	s_delay_alu instid0(VALU_DEP_1)
	v_fmac_f16_e32 v30, s30, v31
	v_add_co_u32 v31, vcc_lo, v35, s16
	s_wait_alu 0xfffd
	v_add_co_ci_u32_e64 v32, null, s17, v36, vcc_lo
	flat_store_b16 v[33:34], v30 offset:64
	flat_load_u16 v8, v[8:9] offset:96
	s_wait_loadcnt_dscnt 0x0
	v_mul_f16_e32 v30, s33, v8
	v_add_co_u32 v8, vcc_lo, v31, v6
	s_wait_alu 0xfffd
	v_add_co_ci_u32_e64 v9, null, v32, v7, vcc_lo
	s_delay_alu instid0(VALU_DEP_3)
	v_fmac_f16_e32 v30, s30, v29
	flat_store_b16 v[33:34], v30 offset:96
	flat_load_u16 v29, v[8:9]
	v_add_co_u32 v33, vcc_lo, v38, s20
	s_wait_alu 0xfffd
	v_add_co_ci_u32_e64 v34, null, s21, v39, vcc_lo
	s_wait_loadcnt_dscnt 0x0
	v_mul_f16_e32 v35, s33, v29
	v_add_co_u32 v29, vcc_lo, v33, v6
	s_wait_alu 0xfffd
	v_add_co_ci_u32_e64 v30, null, v34, v7, vcc_lo
	s_delay_alu instid0(VALU_DEP_3) | instskip(SKIP_4) | instid1(VALU_DEP_1)
	v_fmac_f16_e32 v35, s30, v15
	flat_store_b16 v[29:30], v35
	flat_load_u16 v15, v[8:9] offset:32
	s_wait_loadcnt_dscnt 0x0
	v_mul_f16_e32 v15, s33, v15
	v_fmac_f16_e32 v15, s30, v28
	v_add_co_u32 v28, vcc_lo, v31, s16
	s_wait_alu 0xfffd
	v_add_co_ci_u32_e64 v31, null, s17, v32, vcc_lo
	flat_store_b16 v[29:30], v15 offset:32
	flat_load_u16 v15, v[8:9] offset:64
	s_wait_loadcnt_dscnt 0x0
	v_mul_f16_e32 v15, s33, v15
	s_delay_alu instid0(VALU_DEP_1)
	v_fmac_f16_e32 v15, s30, v14
	flat_store_b16 v[29:30], v15 offset:64
	flat_load_u16 v8, v[8:9] offset:96
	s_wait_loadcnt_dscnt 0x0
	v_mul_f16_e32 v14, s33, v8
	v_add_co_u32 v8, vcc_lo, v28, v6
	s_wait_alu 0xfffd
	v_add_co_ci_u32_e64 v9, null, v31, v7, vcc_lo
	s_delay_alu instid0(VALU_DEP_3)
	v_fmac_f16_e32 v14, s30, v27
	v_add_co_u32 v27, vcc_lo, v33, s20
	flat_store_b16 v[29:30], v14 offset:96
	flat_load_u16 v14, v[8:9]
	s_wait_alu 0xfffd
	v_add_co_ci_u32_e64 v29, null, s21, v34, vcc_lo
	s_wait_loadcnt_dscnt 0x0
	v_mul_f16_e32 v30, s33, v14
	v_add_co_u32 v14, vcc_lo, v27, v6
	s_wait_alu 0xfffd
	v_add_co_ci_u32_e64 v15, null, v29, v7, vcc_lo
	s_delay_alu instid0(VALU_DEP_3) | instskip(SKIP_4) | instid1(VALU_DEP_1)
	v_fmac_f16_e32 v30, s30, v13
	flat_store_b16 v[14:15], v30
	flat_load_u16 v13, v[8:9] offset:32
	s_wait_loadcnt_dscnt 0x0
	v_mul_f16_e32 v13, s33, v13
	v_fmac_f16_e32 v13, s30, v26
	flat_store_b16 v[14:15], v13 offset:32
	flat_load_u16 v13, v[8:9] offset:64
	s_wait_loadcnt_dscnt 0x0
	v_mul_f16_e32 v13, s33, v13
	s_delay_alu instid0(VALU_DEP_1)
	v_fmac_f16_e32 v13, s30, v12
	flat_store_b16 v[14:15], v13 offset:64
	flat_load_u16 v8, v[8:9] offset:96
	s_wait_loadcnt_dscnt 0x0
	v_mul_f16_e32 v12, s33, v8
	v_add_co_u32 v8, vcc_lo, v28, s16
	s_wait_alu 0xfffd
	v_add_co_ci_u32_e64 v9, null, s17, v31, vcc_lo
	s_delay_alu instid0(VALU_DEP_3) | instskip(NEXT) | instid1(VALU_DEP_3)
	v_fmac_f16_e32 v12, s30, v25
	v_add_co_u32 v8, vcc_lo, v8, v6
	s_wait_alu 0xfffd
	s_delay_alu instid0(VALU_DEP_3)
	v_add_co_ci_u32_e64 v9, null, v9, v7, vcc_lo
	flat_store_b16 v[14:15], v12 offset:96
	flat_load_u16 v12, v[8:9]
	s_wait_loadcnt_dscnt 0x0
	v_mul_f16_e32 v13, s33, v12
	v_add_co_u32 v12, vcc_lo, v27, s20
	s_wait_alu 0xfffd
	v_add_co_ci_u32_e64 v14, null, s21, v29, vcc_lo
	s_delay_alu instid0(VALU_DEP_3) | instskip(NEXT) | instid1(VALU_DEP_3)
	v_fmac_f16_e32 v13, s30, v11
	v_add_co_u32 v11, vcc_lo, v12, v6
	s_wait_alu 0xfffd
	s_delay_alu instid0(VALU_DEP_3) | instskip(SKIP_4) | instid1(VALU_DEP_1)
	v_add_co_ci_u32_e64 v12, null, v14, v7, vcc_lo
	flat_store_b16 v[11:12], v13
	flat_load_u16 v13, v[8:9] offset:32
	s_wait_loadcnt_dscnt 0x0
	v_mul_f16_e32 v13, s33, v13
	v_fmac_f16_e32 v13, s30, v24
	flat_store_b16 v[11:12], v13 offset:32
	flat_load_u16 v13, v[8:9] offset:64
	s_wait_loadcnt_dscnt 0x0
	v_mul_f16_e32 v13, s33, v13
	s_delay_alu instid0(VALU_DEP_1) | instskip(SKIP_4) | instid1(VALU_DEP_1)
	v_fmac_f16_e32 v13, s30, v10
	flat_store_b16 v[11:12], v13 offset:64
	flat_load_u16 v8, v[8:9] offset:96
	s_wait_loadcnt_dscnt 0x0
	v_mul_f16_e32 v8, s33, v8
	v_fmac_f16_e32 v8, s30, v23
	flat_store_b16 v[11:12], v8 offset:96
	s_branch .LBB150_2
.LBB150_11:
	s_endpgm
	.section	.rodata,"a",@progbits
	.p2align	6, 0x0
	.amdhsa_kernel _ZN12_GLOBAL__N_127rocblas_gemm_batched_kernelIDF16_Li16ELi16ELi64ELi64ELi4ELi64ELi4ELi4ELi64ELc84ELc84EKPKDF16_S3_KPDF16_EEvlllT_PT11_llS8_llS6_PT12_llPT13_lli
		.amdhsa_group_segment_fixed_size 1024
		.amdhsa_private_segment_fixed_size 0
		.amdhsa_kernarg_size 140
		.amdhsa_user_sgpr_count 2
		.amdhsa_user_sgpr_dispatch_ptr 0
		.amdhsa_user_sgpr_queue_ptr 0
		.amdhsa_user_sgpr_kernarg_segment_ptr 1
		.amdhsa_user_sgpr_dispatch_id 0
		.amdhsa_user_sgpr_private_segment_size 0
		.amdhsa_wavefront_size32 1
		.amdhsa_uses_dynamic_stack 0
		.amdhsa_enable_private_segment 0
		.amdhsa_system_sgpr_workgroup_id_x 1
		.amdhsa_system_sgpr_workgroup_id_y 1
		.amdhsa_system_sgpr_workgroup_id_z 1
		.amdhsa_system_sgpr_workgroup_info 0
		.amdhsa_system_vgpr_workitem_id 1
		.amdhsa_next_free_vgpr 49
		.amdhsa_next_free_sgpr 38
		.amdhsa_reserve_vcc 1
		.amdhsa_float_round_mode_32 0
		.amdhsa_float_round_mode_16_64 0
		.amdhsa_float_denorm_mode_32 3
		.amdhsa_float_denorm_mode_16_64 3
		.amdhsa_fp16_overflow 0
		.amdhsa_workgroup_processor_mode 1
		.amdhsa_memory_ordered 1
		.amdhsa_forward_progress 1
		.amdhsa_inst_pref_size 23
		.amdhsa_round_robin_scheduling 0
		.amdhsa_exception_fp_ieee_invalid_op 0
		.amdhsa_exception_fp_denorm_src 0
		.amdhsa_exception_fp_ieee_div_zero 0
		.amdhsa_exception_fp_ieee_overflow 0
		.amdhsa_exception_fp_ieee_underflow 0
		.amdhsa_exception_fp_ieee_inexact 0
		.amdhsa_exception_int_div_zero 0
	.end_amdhsa_kernel
	.section	.text._ZN12_GLOBAL__N_127rocblas_gemm_batched_kernelIDF16_Li16ELi16ELi64ELi64ELi4ELi64ELi4ELi4ELi64ELc84ELc84EKPKDF16_S3_KPDF16_EEvlllT_PT11_llS8_llS6_PT12_llPT13_lli,"axG",@progbits,_ZN12_GLOBAL__N_127rocblas_gemm_batched_kernelIDF16_Li16ELi16ELi64ELi64ELi4ELi64ELi4ELi4ELi64ELc84ELc84EKPKDF16_S3_KPDF16_EEvlllT_PT11_llS8_llS6_PT12_llPT13_lli,comdat
.Lfunc_end150:
	.size	_ZN12_GLOBAL__N_127rocblas_gemm_batched_kernelIDF16_Li16ELi16ELi64ELi64ELi4ELi64ELi4ELi4ELi64ELc84ELc84EKPKDF16_S3_KPDF16_EEvlllT_PT11_llS8_llS6_PT12_llPT13_lli, .Lfunc_end150-_ZN12_GLOBAL__N_127rocblas_gemm_batched_kernelIDF16_Li16ELi16ELi64ELi64ELi4ELi64ELi4ELi4ELi64ELc84ELc84EKPKDF16_S3_KPDF16_EEvlllT_PT11_llS8_llS6_PT12_llPT13_lli
                                        ; -- End function
	.set _ZN12_GLOBAL__N_127rocblas_gemm_batched_kernelIDF16_Li16ELi16ELi64ELi64ELi4ELi64ELi4ELi4ELi64ELc84ELc84EKPKDF16_S3_KPDF16_EEvlllT_PT11_llS8_llS6_PT12_llPT13_lli.num_vgpr, 49
	.set _ZN12_GLOBAL__N_127rocblas_gemm_batched_kernelIDF16_Li16ELi16ELi64ELi64ELi4ELi64ELi4ELi4ELi64ELc84ELc84EKPKDF16_S3_KPDF16_EEvlllT_PT11_llS8_llS6_PT12_llPT13_lli.num_agpr, 0
	.set _ZN12_GLOBAL__N_127rocblas_gemm_batched_kernelIDF16_Li16ELi16ELi64ELi64ELi4ELi64ELi4ELi4ELi64ELc84ELc84EKPKDF16_S3_KPDF16_EEvlllT_PT11_llS8_llS6_PT12_llPT13_lli.numbered_sgpr, 38
	.set _ZN12_GLOBAL__N_127rocblas_gemm_batched_kernelIDF16_Li16ELi16ELi64ELi64ELi4ELi64ELi4ELi4ELi64ELc84ELc84EKPKDF16_S3_KPDF16_EEvlllT_PT11_llS8_llS6_PT12_llPT13_lli.num_named_barrier, 0
	.set _ZN12_GLOBAL__N_127rocblas_gemm_batched_kernelIDF16_Li16ELi16ELi64ELi64ELi4ELi64ELi4ELi4ELi64ELc84ELc84EKPKDF16_S3_KPDF16_EEvlllT_PT11_llS8_llS6_PT12_llPT13_lli.private_seg_size, 0
	.set _ZN12_GLOBAL__N_127rocblas_gemm_batched_kernelIDF16_Li16ELi16ELi64ELi64ELi4ELi64ELi4ELi4ELi64ELc84ELc84EKPKDF16_S3_KPDF16_EEvlllT_PT11_llS8_llS6_PT12_llPT13_lli.uses_vcc, 1
	.set _ZN12_GLOBAL__N_127rocblas_gemm_batched_kernelIDF16_Li16ELi16ELi64ELi64ELi4ELi64ELi4ELi4ELi64ELc84ELc84EKPKDF16_S3_KPDF16_EEvlllT_PT11_llS8_llS6_PT12_llPT13_lli.uses_flat_scratch, 1
	.set _ZN12_GLOBAL__N_127rocblas_gemm_batched_kernelIDF16_Li16ELi16ELi64ELi64ELi4ELi64ELi4ELi4ELi64ELc84ELc84EKPKDF16_S3_KPDF16_EEvlllT_PT11_llS8_llS6_PT12_llPT13_lli.has_dyn_sized_stack, 0
	.set _ZN12_GLOBAL__N_127rocblas_gemm_batched_kernelIDF16_Li16ELi16ELi64ELi64ELi4ELi64ELi4ELi4ELi64ELc84ELc84EKPKDF16_S3_KPDF16_EEvlllT_PT11_llS8_llS6_PT12_llPT13_lli.has_recursion, 0
	.set _ZN12_GLOBAL__N_127rocblas_gemm_batched_kernelIDF16_Li16ELi16ELi64ELi64ELi4ELi64ELi4ELi4ELi64ELc84ELc84EKPKDF16_S3_KPDF16_EEvlllT_PT11_llS8_llS6_PT12_llPT13_lli.has_indirect_call, 0
	.section	.AMDGPU.csdata,"",@progbits
; Kernel info:
; codeLenInByte = 2844
; TotalNumSgprs: 40
; NumVgprs: 49
; ScratchSize: 0
; MemoryBound: 0
; FloatMode: 240
; IeeeMode: 1
; LDSByteSize: 1024 bytes/workgroup (compile time only)
; SGPRBlocks: 0
; VGPRBlocks: 6
; NumSGPRsForWavesPerEU: 40
; NumVGPRsForWavesPerEU: 49
; Occupancy: 16
; WaveLimiterHint : 1
; COMPUTE_PGM_RSRC2:SCRATCH_EN: 0
; COMPUTE_PGM_RSRC2:USER_SGPR: 2
; COMPUTE_PGM_RSRC2:TRAP_HANDLER: 0
; COMPUTE_PGM_RSRC2:TGID_X_EN: 1
; COMPUTE_PGM_RSRC2:TGID_Y_EN: 1
; COMPUTE_PGM_RSRC2:TGID_Z_EN: 1
; COMPUTE_PGM_RSRC2:TIDIG_COMP_CNT: 1
	.section	.text._ZN12_GLOBAL__N_127rocblas_gemm_batched_kernelIDF16_Li16ELi16ELi64ELi64ELi4ELi64ELi4ELi4ELi64ELc67ELc67EKPKDF16_S3_KPDF16_EEvlllT_PT11_llS8_llS6_PT12_llPT13_lli,"axG",@progbits,_ZN12_GLOBAL__N_127rocblas_gemm_batched_kernelIDF16_Li16ELi16ELi64ELi64ELi4ELi64ELi4ELi4ELi64ELc67ELc67EKPKDF16_S3_KPDF16_EEvlllT_PT11_llS8_llS6_PT12_llPT13_lli,comdat
	.globl	_ZN12_GLOBAL__N_127rocblas_gemm_batched_kernelIDF16_Li16ELi16ELi64ELi64ELi4ELi64ELi4ELi4ELi64ELc67ELc67EKPKDF16_S3_KPDF16_EEvlllT_PT11_llS8_llS6_PT12_llPT13_lli ; -- Begin function _ZN12_GLOBAL__N_127rocblas_gemm_batched_kernelIDF16_Li16ELi16ELi64ELi64ELi4ELi64ELi4ELi4ELi64ELc67ELc67EKPKDF16_S3_KPDF16_EEvlllT_PT11_llS8_llS6_PT12_llPT13_lli
	.p2align	8
	.type	_ZN12_GLOBAL__N_127rocblas_gemm_batched_kernelIDF16_Li16ELi16ELi64ELi64ELi4ELi64ELi4ELi4ELi64ELc67ELc67EKPKDF16_S3_KPDF16_EEvlllT_PT11_llS8_llS6_PT12_llPT13_lli,@function
_ZN12_GLOBAL__N_127rocblas_gemm_batched_kernelIDF16_Li16ELi16ELi64ELi64ELi4ELi64ELi4ELi4ELi64ELc67ELc67EKPKDF16_S3_KPDF16_EEvlllT_PT11_llS8_llS6_PT12_llPT13_lli: ; @_ZN12_GLOBAL__N_127rocblas_gemm_batched_kernelIDF16_Li16ELi16ELi64ELi64ELi4ELi64ELi4ELi4ELi64ELc67ELc67EKPKDF16_S3_KPDF16_EEvlllT_PT11_llS8_llS6_PT12_llPT13_lli
; %bb.0:
	s_load_b32 s31, s[0:1], 0x88
	s_lshr_b32 s2, ttmp7, 16
	s_wait_kmcnt 0x0
	s_cmp_ge_i32 s2, s31
	s_cbranch_scc1 .LBB151_11
; %bb.1:
	v_dual_mov_b32 v1, 0 :: v_dual_and_b32 v8, 0x3ff, v0
	v_bfe_u32 v2, v0, 10, 10
	s_clause 0x5
	s_load_b96 s[28:30], s[0:1], 0x10
	s_load_b128 s[24:27], s[0:1], 0x40
	s_load_b32 s33, s[0:1], 0x50
	s_load_b128 s[20:23], s[0:1], 0x78
	s_load_b256 s[4:11], s[0:1], 0x20
	s_load_b256 s[12:19], s[0:1], 0x58
	s_lshl_b32 s0, ttmp7, 6
	s_mov_b32 s34, ttmp9
	v_lshl_add_u32 v3, v2, 4, v8
	s_and_b32 s36, s0, 0x3fffc0
	v_lshl_add_u32 v19, v2, 3, 0x200
	v_add_nc_u32_e32 v14, s36, v2
	s_ashr_i32 s35, ttmp9, 31
	v_and_b32_e32 v12, 63, v3
	v_lshrrev_b32_e32 v15, 6, v3
	s_lshl_b64 s[0:1], s[34:35], 6
	v_lshlrev_b32_e32 v18, 1, v8
	v_add_co_u32 v8, s35, s0, v8
	v_lshlrev_b32_e32 v4, 1, v12
	v_add_co_ci_u32_e64 v9, null, s1, 0, s35
	s_mov_b32 s3, 0
	s_wait_kmcnt 0x0
	s_cmp_eq_f16 s33, 0
	v_lshl_or_b32 v16, v15, 7, v4
	v_mad_co_u64_u32 v[4:5], null, v14, s20, 0
	v_and_b32_e32 v13, 3, v0
	v_lshrrev_b32_e32 v0, 2, v3
	v_mad_co_u64_u32 v[6:7], null, v14, s14, 0
	s_cselect_b32 s34, -1, 0
	v_lshlrev_b32_e32 v3, 1, v13
	s_delay_alu instid0(VALU_DEP_1) | instskip(NEXT) | instid1(VALU_DEP_1)
	v_lshl_or_b32 v3, v0, 3, v3
	v_add_nc_u32_e32 v17, 0x200, v3
	v_mad_co_u64_u32 v[2:3], null, s24, v13, v[0:1]
	v_mov_b32_e32 v0, v5
	v_or_b32_e32 v5, s0, v12
	s_mul_i32 s0, s6, s1
	s_delay_alu instid0(VALU_DEP_2) | instskip(SKIP_3) | instid1(VALU_DEP_3)
	v_mad_co_u64_u32 v[10:11], null, v14, s21, v[0:1]
	v_mov_b32_e32 v0, v7
	v_mad_co_u64_u32 v[11:12], null, s25, v13, v[3:4]
	v_add_co_u32 v2, vcc_lo, v2, s36
	v_mad_co_u64_u32 v[12:13], null, v14, s15, v[0:1]
	v_mul_lo_u32 v0, s7, v5
	v_mad_co_u64_u32 v[13:14], null, s6, v5, 0
	v_add_co_ci_u32_e64 v3, null, 0, v11, vcc_lo
	v_mov_b32_e32 v5, v10
	v_mov_b32_e32 v7, v12
	s_lshl_b64 s[20:21], s[20:21], 4
	s_delay_alu instid0(VALU_DEP_3)
	v_lshlrev_b64_e32 v[2:3], 1, v[2:3]
	s_wait_alu 0xfffe
	v_add3_u32 v14, v14, s0, v0
	s_lshl_b64 s[0:1], s[26:27], 1
	v_lshlrev_b64_e32 v[4:5], 1, v[4:5]
	s_lshl_b64 s[36:37], s[14:15], 4
	s_lshl_b64 s[6:7], s[24:25], 3
	v_lshlrev_b64_e32 v[10:11], 1, v[13:14]
	s_wait_alu 0xfffe
	v_add_co_u32 v0, vcc_lo, s0, v2
	s_wait_alu 0xfffd
	v_add_co_ci_u32_e64 v20, null, s1, v3, vcc_lo
	s_lshl_b64 s[0:1], s[8:9], 1
	v_lshlrev_b32_e32 v2, 1, v15
	s_wait_alu 0xfffe
	v_add_co_u32 v3, vcc_lo, v10, s0
	v_cmp_gt_i64_e64 s0, s[28:29], 0
	s_wait_alu 0xfffd
	v_add_co_ci_u32_e64 v10, null, s1, v11, vcc_lo
	s_delay_alu instid0(VALU_DEP_3)
	v_add_co_u32 v21, vcc_lo, v3, v2
	v_lshlrev_b64_e32 v[2:3], 1, v[6:7]
	s_wait_alu 0xf1ff
	v_cndmask_b32_e64 v11, 0, 1, s0
	v_lshlrev_b64_e32 v[6:7], 1, v[8:9]
	s_wait_alu 0xfffd
	v_add_co_ci_u32_e64 v22, null, 0, v10, vcc_lo
	s_lshl_b64 s[8:9], s[22:23], 1
	v_cmp_ne_u32_e64 s0, 1, v11
	s_lshl_b64 s[14:15], s[16:17], 1
	s_lshl_b64 s[16:17], s[36:37], 1
	;; [unrolled: 1-line block ×3, first 2 shown]
	s_branch .LBB151_3
.LBB151_2:                              ;   in Loop: Header=BB151_3 Depth=1
	s_add_co_i32 s2, s2, 0x10000
	s_delay_alu instid0(SALU_CYCLE_1)
	s_cmp_lt_i32 s2, s31
	s_cbranch_scc0 .LBB151_11
.LBB151_3:                              ; =>This Loop Header: Depth=1
                                        ;     Child Loop BB151_5 Depth 2
	s_lshl_b64 s[22:23], s[2:3], 3
	s_and_b32 vcc_lo, exec_lo, s0
	s_wait_alu 0xfffe
	s_add_nc_u64 s[24:25], s[12:13], s[22:23]
	s_add_nc_u64 s[26:27], s[18:19], s[22:23]
	s_clause 0x1
	global_load_b64 v[8:9], v1, s[24:25]
	global_load_b64 v[10:11], v1, s[26:27]
	s_cbranch_vccnz .LBB151_6
; %bb.4:                                ;   in Loop: Header=BB151_3 Depth=1
	s_add_nc_u64 s[24:25], s[10:11], s[22:23]
	s_add_nc_u64 s[22:23], s[4:5], s[22:23]
	s_clause 0x1
	global_load_b64 v[12:13], v1, s[24:25]
	global_load_b64 v[14:15], v1, s[22:23]
	v_dual_mov_b32 v23, 0 :: v_dual_mov_b32 v24, 0
	v_dual_mov_b32 v25, 0 :: v_dual_mov_b32 v26, 0
	;; [unrolled: 1-line block ×4, first 2 shown]
	s_mov_b64 s[22:23], 0
	s_wait_loadcnt 0x1
	v_add_co_u32 v12, vcc_lo, v12, v0
	s_wait_alu 0xfffd
	v_add_co_ci_u32_e64 v13, null, v13, v20, vcc_lo
	s_wait_loadcnt 0x0
	v_add_co_u32 v14, vcc_lo, v14, v21
	s_wait_alu 0xfffd
	v_add_co_ci_u32_e64 v15, null, v15, v22, vcc_lo
.LBB151_5:                              ;   Parent Loop BB151_3 Depth=1
                                        ; =>  This Inner Loop Header: Depth=2
	flat_load_u16 v31, v[14:15]
	s_wait_alu 0xfffe
	s_add_nc_u64 s[22:23], s[22:23], 4
	v_add_co_u32 v14, vcc_lo, v14, 8
	s_wait_alu 0xfffe
	v_cmp_lt_i64_e64 s1, s[22:23], s[28:29]
	s_wait_alu 0xfffd
	v_add_co_ci_u32_e64 v15, null, 0, v15, vcc_lo
	s_and_b32 vcc_lo, exec_lo, s1
	s_wait_loadcnt_dscnt 0x0
	ds_store_b16 v16, v31
	flat_load_u16 v31, v[12:13]
	v_add_co_u32 v12, s1, v12, s6
	s_wait_alu 0xf1ff
	v_add_co_ci_u32_e64 v13, null, s7, v13, s1
	s_wait_loadcnt_dscnt 0x0
	ds_store_b16 v17, v31
	s_wait_dscnt 0x0
	s_barrier_signal -1
	s_barrier_wait -1
	global_inv scope:SCOPE_SE
	ds_load_u16 v39, v18 offset:32
	ds_load_u16 v40, v18 offset:96
	ds_load_u16 v41, v18 offset:160
	ds_load_u16 v42, v18 offset:224
	ds_load_u16 v43, v18 offset:288
	ds_load_u16 v44, v18 offset:352
	ds_load_u16 v45, v18 offset:416
	ds_load_u16 v46, v18 offset:480
	ds_load_2addr_b64 v[31:34], v19 offset1:16
	ds_load_2addr_b64 v[35:38], v19 offset0:32 offset1:48
	s_wait_dscnt 0x9
	ds_load_u16_d16_hi v39, v18
	s_wait_dscnt 0x9
	ds_load_u16_d16_hi v40, v18 offset:64
	s_wait_dscnt 0x9
	ds_load_u16_d16_hi v41, v18 offset:128
	;; [unrolled: 2-line block ×7, first 2 shown]
	s_wait_loadcnt_dscnt 0x0
	s_barrier_signal -1
	s_barrier_wait -1
	global_inv scope:SCOPE_SE
	v_pk_fma_f16 v30, v39, v31, v30 op_sel_hi:[1,0,1]
	v_pk_fma_f16 v29, v40, v31, v29 op_sel_hi:[1,0,1]
	v_pk_fma_f16 v28, v39, v33, v28 op_sel_hi:[1,0,1]
	v_pk_fma_f16 v27, v40, v33, v27 op_sel_hi:[1,0,1]
	v_pk_fma_f16 v26, v39, v35, v26 op_sel_hi:[1,0,1]
	v_pk_fma_f16 v25, v40, v35, v25 op_sel_hi:[1,0,1]
	v_pk_fma_f16 v24, v39, v37, v24 op_sel_hi:[1,0,1]
	v_pk_fma_f16 v23, v40, v37, v23 op_sel_hi:[1,0,1]
	v_pk_fma_f16 v30, v41, v31, v30 op_sel:[0,1,0]
	v_pk_fma_f16 v29, v42, v31, v29 op_sel:[0,1,0]
	;; [unrolled: 1-line block ×8, first 2 shown]
	v_pk_fma_f16 v30, v43, v32, v30 op_sel_hi:[1,0,1]
	v_pk_fma_f16 v29, v44, v32, v29 op_sel_hi:[1,0,1]
	;; [unrolled: 1-line block ×8, first 2 shown]
	v_pk_fma_f16 v30, v45, v32, v30 op_sel:[0,1,0]
	v_pk_fma_f16 v29, v46, v32, v29 op_sel:[0,1,0]
	;; [unrolled: 1-line block ×8, first 2 shown]
	s_wait_alu 0xfffe
	s_cbranch_vccnz .LBB151_5
	s_branch .LBB151_7
.LBB151_6:                              ;   in Loop: Header=BB151_3 Depth=1
	v_dual_mov_b32 v30, 0 :: v_dual_mov_b32 v29, 0
	v_dual_mov_b32 v28, 0 :: v_dual_mov_b32 v27, 0
	;; [unrolled: 1-line block ×4, first 2 shown]
.LBB151_7:                              ;   in Loop: Header=BB151_3 Depth=1
	s_wait_loadcnt 0x0
	v_add_co_u32 v33, vcc_lo, v10, s8
	s_wait_alu 0xfffd
	v_add_co_ci_u32_e64 v34, null, s9, v11, vcc_lo
	v_lshrrev_b32_e32 v32, 16, v30
	v_lshrrev_b32_e32 v31, 16, v29
	;; [unrolled: 1-line block ×8, first 2 shown]
	s_and_not1_b32 vcc_lo, exec_lo, s34
	s_wait_alu 0xfffe
	s_cbranch_vccnz .LBB151_9
; %bb.8:                                ;   in Loop: Header=BB151_3 Depth=1
	v_add_co_u32 v37, vcc_lo, v33, v4
	s_wait_alu 0xfffd
	v_add_co_ci_u32_e64 v38, null, v34, v5, vcc_lo
	v_mul_f16_e32 v39, s30, v32
	s_delay_alu instid0(VALU_DEP_3) | instskip(SKIP_1) | instid1(VALU_DEP_3)
	v_add_co_u32 v35, vcc_lo, v37, v6
	s_wait_alu 0xfffd
	v_add_co_ci_u32_e64 v36, null, v38, v7, vcc_lo
	v_add_co_u32 v37, vcc_lo, v37, s20
	v_mul_f16_e32 v40, s30, v30
	v_mul_f16_e32 v41, s30, v31
	s_wait_alu 0xfffd
	v_add_co_ci_u32_e64 v38, null, s21, v38, vcc_lo
	v_mul_f16_e32 v42, s30, v29
	s_clause 0x3
	flat_store_b16 v[35:36], v39
	flat_store_b16 v[35:36], v40 offset:32
	flat_store_b16 v[35:36], v41 offset:64
	;; [unrolled: 1-line block ×3, first 2 shown]
	v_add_co_u32 v35, vcc_lo, v37, v6
	s_wait_alu 0xfffd
	v_add_co_ci_u32_e64 v36, null, v38, v7, vcc_lo
	v_add_co_u32 v43, vcc_lo, v37, s20
	s_wait_alu 0xfffd
	v_add_co_ci_u32_e64 v44, null, s21, v38, vcc_lo
	v_mul_f16_e32 v39, s30, v15
	v_mul_f16_e32 v40, s30, v28
	;; [unrolled: 1-line block ×3, first 2 shown]
	v_add_co_u32 v37, vcc_lo, v43, v6
	v_mul_f16_e32 v42, s30, v27
	v_mul_f16_e32 v45, s30, v13
	s_wait_alu 0xfffd
	v_add_co_ci_u32_e64 v38, null, v44, v7, vcc_lo
	v_mul_f16_e32 v46, s30, v26
	v_mul_f16_e32 v47, s30, v12
	;; [unrolled: 1-line block ×3, first 2 shown]
	s_clause 0x7
	flat_store_b16 v[35:36], v39
	flat_store_b16 v[35:36], v40 offset:32
	flat_store_b16 v[35:36], v41 offset:64
	;; [unrolled: 1-line block ×3, first 2 shown]
	flat_store_b16 v[37:38], v45
	flat_store_b16 v[37:38], v46 offset:32
	flat_store_b16 v[37:38], v47 offset:64
	;; [unrolled: 1-line block ×3, first 2 shown]
	v_add_co_u32 v35, vcc_lo, v43, s20
	s_wait_alu 0xfffd
	v_add_co_ci_u32_e64 v36, null, s21, v44, vcc_lo
	v_mul_f16_e32 v37, s30, v11
	s_delay_alu instid0(VALU_DEP_3) | instskip(SKIP_1) | instid1(VALU_DEP_3)
	v_add_co_u32 v35, vcc_lo, v35, v6
	s_wait_alu 0xfffd
	v_add_co_ci_u32_e64 v36, null, v36, v7, vcc_lo
	v_mul_f16_e32 v38, s30, v24
	v_mul_f16_e32 v39, s30, v10
	;; [unrolled: 1-line block ×3, first 2 shown]
	s_clause 0x3
	flat_store_b16 v[35:36], v37
	flat_store_b16 v[35:36], v38 offset:32
	flat_store_b16 v[35:36], v39 offset:64
	;; [unrolled: 1-line block ×3, first 2 shown]
	s_cbranch_execnz .LBB151_2
	s_branch .LBB151_10
.LBB151_9:                              ;   in Loop: Header=BB151_3 Depth=1
.LBB151_10:                             ;   in Loop: Header=BB151_3 Depth=1
	v_add_co_u32 v8, vcc_lo, v8, s14
	s_wait_alu 0xfffd
	v_add_co_ci_u32_e64 v9, null, s15, v9, vcc_lo
	s_delay_alu instid0(VALU_DEP_2) | instskip(SKIP_1) | instid1(VALU_DEP_2)
	v_add_co_u32 v35, vcc_lo, v8, v2
	s_wait_alu 0xfffd
	v_add_co_ci_u32_e64 v36, null, v9, v3, vcc_lo
	s_delay_alu instid0(VALU_DEP_2) | instskip(SKIP_1) | instid1(VALU_DEP_2)
	v_add_co_u32 v8, vcc_lo, v35, v6
	s_wait_alu 0xfffd
	v_add_co_ci_u32_e64 v9, null, v36, v7, vcc_lo
	v_add_co_u32 v38, vcc_lo, v33, v4
	s_wait_alu 0xfffd
	v_add_co_ci_u32_e64 v39, null, v34, v5, vcc_lo
	flat_load_u16 v37, v[8:9]
	v_add_co_u32 v33, vcc_lo, v38, v6
	s_wait_alu 0xfffd
	v_add_co_ci_u32_e64 v34, null, v39, v7, vcc_lo
	s_wait_loadcnt_dscnt 0x0
	v_mul_f16_e32 v37, s33, v37
	s_delay_alu instid0(VALU_DEP_1) | instskip(SKIP_4) | instid1(VALU_DEP_1)
	v_fmac_f16_e32 v37, s30, v32
	flat_store_b16 v[33:34], v37
	flat_load_u16 v32, v[8:9] offset:32
	s_wait_loadcnt_dscnt 0x0
	v_mul_f16_e32 v32, s33, v32
	v_fmac_f16_e32 v32, s30, v30
	flat_store_b16 v[33:34], v32 offset:32
	flat_load_u16 v30, v[8:9] offset:64
	s_wait_loadcnt_dscnt 0x0
	v_mul_f16_e32 v30, s33, v30
	s_delay_alu instid0(VALU_DEP_1)
	v_fmac_f16_e32 v30, s30, v31
	v_add_co_u32 v31, vcc_lo, v35, s16
	s_wait_alu 0xfffd
	v_add_co_ci_u32_e64 v32, null, s17, v36, vcc_lo
	flat_store_b16 v[33:34], v30 offset:64
	flat_load_u16 v8, v[8:9] offset:96
	s_wait_loadcnt_dscnt 0x0
	v_mul_f16_e32 v30, s33, v8
	v_add_co_u32 v8, vcc_lo, v31, v6
	s_wait_alu 0xfffd
	v_add_co_ci_u32_e64 v9, null, v32, v7, vcc_lo
	s_delay_alu instid0(VALU_DEP_3)
	v_fmac_f16_e32 v30, s30, v29
	flat_store_b16 v[33:34], v30 offset:96
	flat_load_u16 v29, v[8:9]
	v_add_co_u32 v33, vcc_lo, v38, s20
	s_wait_alu 0xfffd
	v_add_co_ci_u32_e64 v34, null, s21, v39, vcc_lo
	s_wait_loadcnt_dscnt 0x0
	v_mul_f16_e32 v35, s33, v29
	v_add_co_u32 v29, vcc_lo, v33, v6
	s_wait_alu 0xfffd
	v_add_co_ci_u32_e64 v30, null, v34, v7, vcc_lo
	s_delay_alu instid0(VALU_DEP_3) | instskip(SKIP_4) | instid1(VALU_DEP_1)
	v_fmac_f16_e32 v35, s30, v15
	flat_store_b16 v[29:30], v35
	flat_load_u16 v15, v[8:9] offset:32
	s_wait_loadcnt_dscnt 0x0
	v_mul_f16_e32 v15, s33, v15
	v_fmac_f16_e32 v15, s30, v28
	v_add_co_u32 v28, vcc_lo, v31, s16
	s_wait_alu 0xfffd
	v_add_co_ci_u32_e64 v31, null, s17, v32, vcc_lo
	flat_store_b16 v[29:30], v15 offset:32
	flat_load_u16 v15, v[8:9] offset:64
	s_wait_loadcnt_dscnt 0x0
	v_mul_f16_e32 v15, s33, v15
	s_delay_alu instid0(VALU_DEP_1)
	v_fmac_f16_e32 v15, s30, v14
	flat_store_b16 v[29:30], v15 offset:64
	flat_load_u16 v8, v[8:9] offset:96
	s_wait_loadcnt_dscnt 0x0
	v_mul_f16_e32 v14, s33, v8
	v_add_co_u32 v8, vcc_lo, v28, v6
	s_wait_alu 0xfffd
	v_add_co_ci_u32_e64 v9, null, v31, v7, vcc_lo
	s_delay_alu instid0(VALU_DEP_3)
	v_fmac_f16_e32 v14, s30, v27
	v_add_co_u32 v27, vcc_lo, v33, s20
	flat_store_b16 v[29:30], v14 offset:96
	flat_load_u16 v14, v[8:9]
	s_wait_alu 0xfffd
	v_add_co_ci_u32_e64 v29, null, s21, v34, vcc_lo
	s_wait_loadcnt_dscnt 0x0
	v_mul_f16_e32 v30, s33, v14
	v_add_co_u32 v14, vcc_lo, v27, v6
	s_wait_alu 0xfffd
	v_add_co_ci_u32_e64 v15, null, v29, v7, vcc_lo
	s_delay_alu instid0(VALU_DEP_3) | instskip(SKIP_4) | instid1(VALU_DEP_1)
	v_fmac_f16_e32 v30, s30, v13
	flat_store_b16 v[14:15], v30
	flat_load_u16 v13, v[8:9] offset:32
	s_wait_loadcnt_dscnt 0x0
	v_mul_f16_e32 v13, s33, v13
	v_fmac_f16_e32 v13, s30, v26
	flat_store_b16 v[14:15], v13 offset:32
	flat_load_u16 v13, v[8:9] offset:64
	s_wait_loadcnt_dscnt 0x0
	v_mul_f16_e32 v13, s33, v13
	s_delay_alu instid0(VALU_DEP_1)
	v_fmac_f16_e32 v13, s30, v12
	flat_store_b16 v[14:15], v13 offset:64
	flat_load_u16 v8, v[8:9] offset:96
	s_wait_loadcnt_dscnt 0x0
	v_mul_f16_e32 v12, s33, v8
	v_add_co_u32 v8, vcc_lo, v28, s16
	s_wait_alu 0xfffd
	v_add_co_ci_u32_e64 v9, null, s17, v31, vcc_lo
	s_delay_alu instid0(VALU_DEP_3) | instskip(NEXT) | instid1(VALU_DEP_3)
	v_fmac_f16_e32 v12, s30, v25
	v_add_co_u32 v8, vcc_lo, v8, v6
	s_wait_alu 0xfffd
	s_delay_alu instid0(VALU_DEP_3)
	v_add_co_ci_u32_e64 v9, null, v9, v7, vcc_lo
	flat_store_b16 v[14:15], v12 offset:96
	flat_load_u16 v12, v[8:9]
	s_wait_loadcnt_dscnt 0x0
	v_mul_f16_e32 v13, s33, v12
	v_add_co_u32 v12, vcc_lo, v27, s20
	s_wait_alu 0xfffd
	v_add_co_ci_u32_e64 v14, null, s21, v29, vcc_lo
	s_delay_alu instid0(VALU_DEP_3) | instskip(NEXT) | instid1(VALU_DEP_3)
	v_fmac_f16_e32 v13, s30, v11
	v_add_co_u32 v11, vcc_lo, v12, v6
	s_wait_alu 0xfffd
	s_delay_alu instid0(VALU_DEP_3) | instskip(SKIP_4) | instid1(VALU_DEP_1)
	v_add_co_ci_u32_e64 v12, null, v14, v7, vcc_lo
	flat_store_b16 v[11:12], v13
	flat_load_u16 v13, v[8:9] offset:32
	s_wait_loadcnt_dscnt 0x0
	v_mul_f16_e32 v13, s33, v13
	v_fmac_f16_e32 v13, s30, v24
	flat_store_b16 v[11:12], v13 offset:32
	flat_load_u16 v13, v[8:9] offset:64
	s_wait_loadcnt_dscnt 0x0
	v_mul_f16_e32 v13, s33, v13
	s_delay_alu instid0(VALU_DEP_1) | instskip(SKIP_4) | instid1(VALU_DEP_1)
	v_fmac_f16_e32 v13, s30, v10
	flat_store_b16 v[11:12], v13 offset:64
	flat_load_u16 v8, v[8:9] offset:96
	s_wait_loadcnt_dscnt 0x0
	v_mul_f16_e32 v8, s33, v8
	v_fmac_f16_e32 v8, s30, v23
	flat_store_b16 v[11:12], v8 offset:96
	s_branch .LBB151_2
.LBB151_11:
	s_endpgm
	.section	.rodata,"a",@progbits
	.p2align	6, 0x0
	.amdhsa_kernel _ZN12_GLOBAL__N_127rocblas_gemm_batched_kernelIDF16_Li16ELi16ELi64ELi64ELi4ELi64ELi4ELi4ELi64ELc67ELc67EKPKDF16_S3_KPDF16_EEvlllT_PT11_llS8_llS6_PT12_llPT13_lli
		.amdhsa_group_segment_fixed_size 1024
		.amdhsa_private_segment_fixed_size 0
		.amdhsa_kernarg_size 140
		.amdhsa_user_sgpr_count 2
		.amdhsa_user_sgpr_dispatch_ptr 0
		.amdhsa_user_sgpr_queue_ptr 0
		.amdhsa_user_sgpr_kernarg_segment_ptr 1
		.amdhsa_user_sgpr_dispatch_id 0
		.amdhsa_user_sgpr_private_segment_size 0
		.amdhsa_wavefront_size32 1
		.amdhsa_uses_dynamic_stack 0
		.amdhsa_enable_private_segment 0
		.amdhsa_system_sgpr_workgroup_id_x 1
		.amdhsa_system_sgpr_workgroup_id_y 1
		.amdhsa_system_sgpr_workgroup_id_z 1
		.amdhsa_system_sgpr_workgroup_info 0
		.amdhsa_system_vgpr_workitem_id 1
		.amdhsa_next_free_vgpr 49
		.amdhsa_next_free_sgpr 38
		.amdhsa_reserve_vcc 1
		.amdhsa_float_round_mode_32 0
		.amdhsa_float_round_mode_16_64 0
		.amdhsa_float_denorm_mode_32 3
		.amdhsa_float_denorm_mode_16_64 3
		.amdhsa_fp16_overflow 0
		.amdhsa_workgroup_processor_mode 1
		.amdhsa_memory_ordered 1
		.amdhsa_forward_progress 1
		.amdhsa_inst_pref_size 23
		.amdhsa_round_robin_scheduling 0
		.amdhsa_exception_fp_ieee_invalid_op 0
		.amdhsa_exception_fp_denorm_src 0
		.amdhsa_exception_fp_ieee_div_zero 0
		.amdhsa_exception_fp_ieee_overflow 0
		.amdhsa_exception_fp_ieee_underflow 0
		.amdhsa_exception_fp_ieee_inexact 0
		.amdhsa_exception_int_div_zero 0
	.end_amdhsa_kernel
	.section	.text._ZN12_GLOBAL__N_127rocblas_gemm_batched_kernelIDF16_Li16ELi16ELi64ELi64ELi4ELi64ELi4ELi4ELi64ELc67ELc67EKPKDF16_S3_KPDF16_EEvlllT_PT11_llS8_llS6_PT12_llPT13_lli,"axG",@progbits,_ZN12_GLOBAL__N_127rocblas_gemm_batched_kernelIDF16_Li16ELi16ELi64ELi64ELi4ELi64ELi4ELi4ELi64ELc67ELc67EKPKDF16_S3_KPDF16_EEvlllT_PT11_llS8_llS6_PT12_llPT13_lli,comdat
.Lfunc_end151:
	.size	_ZN12_GLOBAL__N_127rocblas_gemm_batched_kernelIDF16_Li16ELi16ELi64ELi64ELi4ELi64ELi4ELi4ELi64ELc67ELc67EKPKDF16_S3_KPDF16_EEvlllT_PT11_llS8_llS6_PT12_llPT13_lli, .Lfunc_end151-_ZN12_GLOBAL__N_127rocblas_gemm_batched_kernelIDF16_Li16ELi16ELi64ELi64ELi4ELi64ELi4ELi4ELi64ELc67ELc67EKPKDF16_S3_KPDF16_EEvlllT_PT11_llS8_llS6_PT12_llPT13_lli
                                        ; -- End function
	.set _ZN12_GLOBAL__N_127rocblas_gemm_batched_kernelIDF16_Li16ELi16ELi64ELi64ELi4ELi64ELi4ELi4ELi64ELc67ELc67EKPKDF16_S3_KPDF16_EEvlllT_PT11_llS8_llS6_PT12_llPT13_lli.num_vgpr, 49
	.set _ZN12_GLOBAL__N_127rocblas_gemm_batched_kernelIDF16_Li16ELi16ELi64ELi64ELi4ELi64ELi4ELi4ELi64ELc67ELc67EKPKDF16_S3_KPDF16_EEvlllT_PT11_llS8_llS6_PT12_llPT13_lli.num_agpr, 0
	.set _ZN12_GLOBAL__N_127rocblas_gemm_batched_kernelIDF16_Li16ELi16ELi64ELi64ELi4ELi64ELi4ELi4ELi64ELc67ELc67EKPKDF16_S3_KPDF16_EEvlllT_PT11_llS8_llS6_PT12_llPT13_lli.numbered_sgpr, 38
	.set _ZN12_GLOBAL__N_127rocblas_gemm_batched_kernelIDF16_Li16ELi16ELi64ELi64ELi4ELi64ELi4ELi4ELi64ELc67ELc67EKPKDF16_S3_KPDF16_EEvlllT_PT11_llS8_llS6_PT12_llPT13_lli.num_named_barrier, 0
	.set _ZN12_GLOBAL__N_127rocblas_gemm_batched_kernelIDF16_Li16ELi16ELi64ELi64ELi4ELi64ELi4ELi4ELi64ELc67ELc67EKPKDF16_S3_KPDF16_EEvlllT_PT11_llS8_llS6_PT12_llPT13_lli.private_seg_size, 0
	.set _ZN12_GLOBAL__N_127rocblas_gemm_batched_kernelIDF16_Li16ELi16ELi64ELi64ELi4ELi64ELi4ELi4ELi64ELc67ELc67EKPKDF16_S3_KPDF16_EEvlllT_PT11_llS8_llS6_PT12_llPT13_lli.uses_vcc, 1
	.set _ZN12_GLOBAL__N_127rocblas_gemm_batched_kernelIDF16_Li16ELi16ELi64ELi64ELi4ELi64ELi4ELi4ELi64ELc67ELc67EKPKDF16_S3_KPDF16_EEvlllT_PT11_llS8_llS6_PT12_llPT13_lli.uses_flat_scratch, 1
	.set _ZN12_GLOBAL__N_127rocblas_gemm_batched_kernelIDF16_Li16ELi16ELi64ELi64ELi4ELi64ELi4ELi4ELi64ELc67ELc67EKPKDF16_S3_KPDF16_EEvlllT_PT11_llS8_llS6_PT12_llPT13_lli.has_dyn_sized_stack, 0
	.set _ZN12_GLOBAL__N_127rocblas_gemm_batched_kernelIDF16_Li16ELi16ELi64ELi64ELi4ELi64ELi4ELi4ELi64ELc67ELc67EKPKDF16_S3_KPDF16_EEvlllT_PT11_llS8_llS6_PT12_llPT13_lli.has_recursion, 0
	.set _ZN12_GLOBAL__N_127rocblas_gemm_batched_kernelIDF16_Li16ELi16ELi64ELi64ELi4ELi64ELi4ELi4ELi64ELc67ELc67EKPKDF16_S3_KPDF16_EEvlllT_PT11_llS8_llS6_PT12_llPT13_lli.has_indirect_call, 0
	.section	.AMDGPU.csdata,"",@progbits
; Kernel info:
; codeLenInByte = 2844
; TotalNumSgprs: 40
; NumVgprs: 49
; ScratchSize: 0
; MemoryBound: 0
; FloatMode: 240
; IeeeMode: 1
; LDSByteSize: 1024 bytes/workgroup (compile time only)
; SGPRBlocks: 0
; VGPRBlocks: 6
; NumSGPRsForWavesPerEU: 40
; NumVGPRsForWavesPerEU: 49
; Occupancy: 16
; WaveLimiterHint : 1
; COMPUTE_PGM_RSRC2:SCRATCH_EN: 0
; COMPUTE_PGM_RSRC2:USER_SGPR: 2
; COMPUTE_PGM_RSRC2:TRAP_HANDLER: 0
; COMPUTE_PGM_RSRC2:TGID_X_EN: 1
; COMPUTE_PGM_RSRC2:TGID_Y_EN: 1
; COMPUTE_PGM_RSRC2:TGID_Z_EN: 1
; COMPUTE_PGM_RSRC2:TIDIG_COMP_CNT: 1
	.section	.text._ZN12_GLOBAL__N_127rocblas_gemm_batched_kernelIDF16_Li16ELi16ELi64ELi64ELi4ELi64ELi4ELi4ELi64ELc67ELc78EKPKDF16_S3_KPDF16_EEvlllT_PT11_llS8_llS6_PT12_llPT13_lli,"axG",@progbits,_ZN12_GLOBAL__N_127rocblas_gemm_batched_kernelIDF16_Li16ELi16ELi64ELi64ELi4ELi64ELi4ELi4ELi64ELc67ELc78EKPKDF16_S3_KPDF16_EEvlllT_PT11_llS8_llS6_PT12_llPT13_lli,comdat
	.globl	_ZN12_GLOBAL__N_127rocblas_gemm_batched_kernelIDF16_Li16ELi16ELi64ELi64ELi4ELi64ELi4ELi4ELi64ELc67ELc78EKPKDF16_S3_KPDF16_EEvlllT_PT11_llS8_llS6_PT12_llPT13_lli ; -- Begin function _ZN12_GLOBAL__N_127rocblas_gemm_batched_kernelIDF16_Li16ELi16ELi64ELi64ELi4ELi64ELi4ELi4ELi64ELc67ELc78EKPKDF16_S3_KPDF16_EEvlllT_PT11_llS8_llS6_PT12_llPT13_lli
	.p2align	8
	.type	_ZN12_GLOBAL__N_127rocblas_gemm_batched_kernelIDF16_Li16ELi16ELi64ELi64ELi4ELi64ELi4ELi4ELi64ELc67ELc78EKPKDF16_S3_KPDF16_EEvlllT_PT11_llS8_llS6_PT12_llPT13_lli,@function
_ZN12_GLOBAL__N_127rocblas_gemm_batched_kernelIDF16_Li16ELi16ELi64ELi64ELi4ELi64ELi4ELi4ELi64ELc67ELc78EKPKDF16_S3_KPDF16_EEvlllT_PT11_llS8_llS6_PT12_llPT13_lli: ; @_ZN12_GLOBAL__N_127rocblas_gemm_batched_kernelIDF16_Li16ELi16ELi64ELi64ELi4ELi64ELi4ELi4ELi64ELc67ELc78EKPKDF16_S3_KPDF16_EEvlllT_PT11_llS8_llS6_PT12_llPT13_lli
; %bb.0:
	s_load_b32 s31, s[0:1], 0x88
	s_lshr_b32 s2, ttmp7, 16
	s_wait_kmcnt 0x0
	s_cmp_ge_i32 s2, s31
	s_cbranch_scc1 .LBB152_11
; %bb.1:
	v_and_b32_e32 v10, 0x3ff, v0
	v_bfe_u32 v6, v0, 10, 10
	s_clause 0x5
	s_load_b96 s[28:30], s[0:1], 0x10
	s_load_b256 s[4:11], s[0:1], 0x20
	s_load_b128 s[20:23], s[0:1], 0x78
	s_load_b128 s[24:27], s[0:1], 0x40
	s_load_b32 s33, s[0:1], 0x50
	s_load_b256 s[12:19], s[0:1], 0x58
	v_lshlrev_b32_e32 v0, 1, v0
	s_lshl_b32 s0, ttmp7, 6
	v_lshl_add_u32 v1, v6, 4, v10
	v_mov_b32_e32 v14, 0
	s_and_b32 s3, s0, 0x3fffc0
	v_and_b32_e32 v19, 6, v0
	v_add_nc_u32_e32 v9, s3, v6
	v_and_b32_e32 v11, 63, v1
	v_lshrrev_b32_e32 v13, 6, v1
	v_lshrrev_b32_e32 v1, 2, v1
	s_mov_b32 s34, ttmp9
	s_ashr_i32 s35, ttmp9, 31
	v_lshlrev_b32_e32 v0, 1, v11
	v_lshl_add_u32 v18, v6, 3, 0x200
	v_lshl_or_b32 v2, v1, 3, v19
	v_add_nc_u32_e32 v8, s3, v1
	s_lshl_b64 s[0:1], s[34:35], 6
	v_lshl_or_b32 v15, v13, 7, v0
	s_wait_kmcnt 0x0
	s_cmp_eq_f16 s33, 0
	v_add_nc_u32_e32 v16, 0x200, v2
	v_mad_co_u64_u32 v[2:3], null, v9, s20, 0
	v_mad_co_u64_u32 v[4:5], null, v9, s14, 0
	v_mad_co_u64_u32 v[0:1], null, s24, v8, 0
	s_cselect_b32 s24, -1, 0
	s_mov_b32 s3, 0
	v_mad_co_u64_u32 v[6:7], null, v9, s21, v[3:4]
	v_mad_co_u64_u32 v[7:8], null, s25, v8, v[1:2]
	v_or_b32_e32 v3, s0, v11
	s_lshl_b64 s[20:21], s[20:21], 4
	s_delay_alu instid0(VALU_DEP_3) | instskip(NEXT) | instid1(VALU_DEP_3)
	v_mad_co_u64_u32 v[8:9], null, v9, s15, v[5:6]
	v_mov_b32_e32 v1, v7
	s_delay_alu instid0(VALU_DEP_3)
	v_mul_lo_u32 v7, s7, v3
	v_mad_co_u64_u32 v[11:12], null, s6, v3, 0
	s_mul_i32 s6, s6, s1
	v_lshlrev_b64_e32 v[0:1], 1, v[0:1]
	v_add_co_u32 v9, s0, s0, v10
	v_lshlrev_b32_e32 v17, 1, v10
	s_wait_alu 0xf1ff
	v_add_co_ci_u32_e64 v10, null, s1, 0, s0
	s_wait_alu 0xfffe
	v_add3_u32 v12, v12, s6, v7
	s_lshl_b64 s[0:1], s[26:27], 1
	v_mov_b32_e32 v3, v6
	s_wait_alu 0xfffe
	v_add_co_u32 v6, vcc_lo, v0, s0
	s_delay_alu instid0(VALU_DEP_1) | instskip(SKIP_1) | instid1(VALU_DEP_3)
	v_add_co_ci_u32_e64 v7, null, s1, v1, vcc_lo
	v_lshlrev_b64_e32 v[0:1], 1, v[11:12]
	v_add_co_u32 v19, vcc_lo, v6, v19
	s_lshl_b64 s[0:1], s[8:9], 1
	s_wait_alu 0xfffd
	v_add_co_ci_u32_e64 v20, null, 0, v7, vcc_lo
	s_wait_alu 0xfffe
	v_add_co_u32 v0, vcc_lo, v0, s0
	v_cmp_gt_i64_e64 s0, s[28:29], 0
	v_dual_mov_b32 v5, v8 :: v_dual_lshlrev_b32 v6, 1, v13
	s_wait_alu 0xfffd
	v_add_co_ci_u32_e64 v1, null, s1, v1, vcc_lo
	v_lshlrev_b64_e32 v[2:3], 1, v[2:3]
	s_wait_alu 0xf1ff
	v_cndmask_b32_e64 v7, 0, 1, s0
	v_add_co_u32 v21, vcc_lo, v0, v6
	s_wait_alu 0xfffd
	v_add_co_ci_u32_e64 v22, null, 0, v1, vcc_lo
	v_lshlrev_b64_e32 v[0:1], 1, v[4:5]
	v_lshlrev_b64_e32 v[4:5], 1, v[9:10]
	v_cmp_ne_u32_e64 s0, 1, v7
	s_lshl_b64 s[14:15], s[14:15], 4
	s_lshl_b64 s[6:7], s[22:23], 1
	;; [unrolled: 1-line block ×3, first 2 shown]
	s_wait_alu 0xfffe
	s_lshl_b64 s[14:15], s[14:15], 1
	s_lshl_b64 s[16:17], s[20:21], 1
	s_branch .LBB152_3
.LBB152_2:                              ;   in Loop: Header=BB152_3 Depth=1
	s_add_co_i32 s2, s2, 0x10000
	s_wait_alu 0xfffe
	s_cmp_lt_i32 s2, s31
	s_cbranch_scc0 .LBB152_11
.LBB152_3:                              ; =>This Loop Header: Depth=1
                                        ;     Child Loop BB152_5 Depth 2
	s_lshl_b64 s[20:21], s[2:3], 3
	s_and_b32 vcc_lo, exec_lo, s0
	s_wait_alu 0xfffe
	s_add_nc_u64 s[22:23], s[12:13], s[20:21]
	s_add_nc_u64 s[26:27], s[18:19], s[20:21]
	s_clause 0x1
	global_load_b64 v[6:7], v14, s[22:23]
	global_load_b64 v[8:9], v14, s[26:27]
	s_cbranch_vccnz .LBB152_6
; %bb.4:                                ;   in Loop: Header=BB152_3 Depth=1
	s_add_nc_u64 s[22:23], s[10:11], s[20:21]
	s_add_nc_u64 s[20:21], s[4:5], s[20:21]
	s_clause 0x1
	global_load_b64 v[10:11], v14, s[22:23]
	global_load_b64 v[12:13], v14, s[20:21]
	v_dual_mov_b32 v23, 0 :: v_dual_mov_b32 v24, 0
	v_dual_mov_b32 v25, 0 :: v_dual_mov_b32 v26, 0
	v_dual_mov_b32 v27, 0 :: v_dual_mov_b32 v28, 0
	v_dual_mov_b32 v29, 0 :: v_dual_mov_b32 v30, 0
	s_mov_b64 s[20:21], 0
	s_wait_loadcnt 0x1
	v_add_co_u32 v10, vcc_lo, v10, v19
	s_wait_alu 0xfffd
	v_add_co_ci_u32_e64 v11, null, v11, v20, vcc_lo
	s_wait_loadcnt 0x0
	v_add_co_u32 v12, vcc_lo, v12, v21
	s_wait_alu 0xfffd
	v_add_co_ci_u32_e64 v13, null, v13, v22, vcc_lo
.LBB152_5:                              ;   Parent Loop BB152_3 Depth=1
                                        ; =>  This Inner Loop Header: Depth=2
	flat_load_u16 v31, v[12:13]
	s_wait_alu 0xfffe
	s_add_nc_u64 s[20:21], s[20:21], 4
	v_add_co_u32 v12, vcc_lo, v12, 8
	s_wait_alu 0xfffe
	v_cmp_lt_i64_e64 s1, s[20:21], s[28:29]
	s_wait_alu 0xfffd
	v_add_co_ci_u32_e64 v13, null, 0, v13, vcc_lo
	s_and_b32 vcc_lo, exec_lo, s1
	s_wait_loadcnt_dscnt 0x0
	ds_store_b16 v15, v31
	flat_load_u16 v31, v[10:11]
	v_add_co_u32 v10, s1, v10, 8
	s_wait_alu 0xf1ff
	v_add_co_ci_u32_e64 v11, null, 0, v11, s1
	s_wait_loadcnt_dscnt 0x0
	ds_store_b16 v16, v31
	s_wait_dscnt 0x0
	s_barrier_signal -1
	s_barrier_wait -1
	global_inv scope:SCOPE_SE
	ds_load_u16 v39, v17 offset:32
	ds_load_u16 v40, v17 offset:96
	;; [unrolled: 1-line block ×8, first 2 shown]
	ds_load_2addr_b64 v[31:34], v18 offset1:16
	ds_load_2addr_b64 v[35:38], v18 offset0:32 offset1:48
	s_wait_dscnt 0x9
	ds_load_u16_d16_hi v39, v17
	s_wait_dscnt 0x9
	ds_load_u16_d16_hi v40, v17 offset:64
	s_wait_dscnt 0x9
	ds_load_u16_d16_hi v41, v17 offset:128
	;; [unrolled: 2-line block ×7, first 2 shown]
	s_wait_loadcnt_dscnt 0x0
	s_barrier_signal -1
	s_barrier_wait -1
	global_inv scope:SCOPE_SE
	v_pk_fma_f16 v30, v39, v31, v30 op_sel_hi:[1,0,1]
	v_pk_fma_f16 v29, v40, v31, v29 op_sel_hi:[1,0,1]
	;; [unrolled: 1-line block ×8, first 2 shown]
	v_pk_fma_f16 v30, v41, v31, v30 op_sel:[0,1,0]
	v_pk_fma_f16 v29, v42, v31, v29 op_sel:[0,1,0]
	;; [unrolled: 1-line block ×8, first 2 shown]
	v_pk_fma_f16 v30, v43, v32, v30 op_sel_hi:[1,0,1]
	v_pk_fma_f16 v29, v44, v32, v29 op_sel_hi:[1,0,1]
	;; [unrolled: 1-line block ×8, first 2 shown]
	v_pk_fma_f16 v30, v45, v32, v30 op_sel:[0,1,0]
	v_pk_fma_f16 v29, v46, v32, v29 op_sel:[0,1,0]
	;; [unrolled: 1-line block ×8, first 2 shown]
	s_wait_alu 0xfffe
	s_cbranch_vccnz .LBB152_5
	s_branch .LBB152_7
.LBB152_6:                              ;   in Loop: Header=BB152_3 Depth=1
	v_dual_mov_b32 v30, 0 :: v_dual_mov_b32 v29, 0
	v_dual_mov_b32 v28, 0 :: v_dual_mov_b32 v27, 0
	;; [unrolled: 1-line block ×4, first 2 shown]
.LBB152_7:                              ;   in Loop: Header=BB152_3 Depth=1
	s_wait_loadcnt 0x0
	v_add_co_u32 v33, vcc_lo, v8, s6
	s_wait_alu 0xfffd
	v_add_co_ci_u32_e64 v34, null, s7, v9, vcc_lo
	v_lshrrev_b32_e32 v32, 16, v30
	v_lshrrev_b32_e32 v31, 16, v29
	;; [unrolled: 1-line block ×8, first 2 shown]
	s_and_not1_b32 vcc_lo, exec_lo, s24
	s_wait_alu 0xfffe
	s_cbranch_vccnz .LBB152_9
; %bb.8:                                ;   in Loop: Header=BB152_3 Depth=1
	v_add_co_u32 v37, vcc_lo, v33, v2
	s_wait_alu 0xfffd
	v_add_co_ci_u32_e64 v38, null, v34, v3, vcc_lo
	v_mul_f16_e32 v39, s30, v32
	s_delay_alu instid0(VALU_DEP_3) | instskip(SKIP_1) | instid1(VALU_DEP_3)
	v_add_co_u32 v35, vcc_lo, v37, v4
	s_wait_alu 0xfffd
	v_add_co_ci_u32_e64 v36, null, v38, v5, vcc_lo
	v_add_co_u32 v37, vcc_lo, v37, s16
	v_mul_f16_e32 v40, s30, v30
	v_mul_f16_e32 v41, s30, v31
	s_wait_alu 0xfffd
	v_add_co_ci_u32_e64 v38, null, s17, v38, vcc_lo
	v_mul_f16_e32 v42, s30, v29
	s_clause 0x3
	flat_store_b16 v[35:36], v39
	flat_store_b16 v[35:36], v40 offset:32
	flat_store_b16 v[35:36], v41 offset:64
	;; [unrolled: 1-line block ×3, first 2 shown]
	v_add_co_u32 v35, vcc_lo, v37, v4
	s_wait_alu 0xfffd
	v_add_co_ci_u32_e64 v36, null, v38, v5, vcc_lo
	v_add_co_u32 v43, vcc_lo, v37, s16
	s_wait_alu 0xfffd
	v_add_co_ci_u32_e64 v44, null, s17, v38, vcc_lo
	v_mul_f16_e32 v39, s30, v13
	v_mul_f16_e32 v40, s30, v28
	;; [unrolled: 1-line block ×3, first 2 shown]
	v_add_co_u32 v37, vcc_lo, v43, v4
	v_mul_f16_e32 v42, s30, v27
	v_mul_f16_e32 v45, s30, v11
	s_wait_alu 0xfffd
	v_add_co_ci_u32_e64 v38, null, v44, v5, vcc_lo
	v_mul_f16_e32 v46, s30, v26
	v_mul_f16_e32 v47, s30, v10
	;; [unrolled: 1-line block ×3, first 2 shown]
	s_clause 0x7
	flat_store_b16 v[35:36], v39
	flat_store_b16 v[35:36], v40 offset:32
	flat_store_b16 v[35:36], v41 offset:64
	flat_store_b16 v[35:36], v42 offset:96
	flat_store_b16 v[37:38], v45
	flat_store_b16 v[37:38], v46 offset:32
	flat_store_b16 v[37:38], v47 offset:64
	;; [unrolled: 1-line block ×3, first 2 shown]
	v_add_co_u32 v35, vcc_lo, v43, s16
	s_wait_alu 0xfffd
	v_add_co_ci_u32_e64 v36, null, s17, v44, vcc_lo
	v_mul_f16_e32 v37, s30, v9
	s_delay_alu instid0(VALU_DEP_3) | instskip(SKIP_1) | instid1(VALU_DEP_3)
	v_add_co_u32 v35, vcc_lo, v35, v4
	s_wait_alu 0xfffd
	v_add_co_ci_u32_e64 v36, null, v36, v5, vcc_lo
	v_mul_f16_e32 v38, s30, v24
	v_mul_f16_e32 v39, s30, v8
	;; [unrolled: 1-line block ×3, first 2 shown]
	s_clause 0x3
	flat_store_b16 v[35:36], v37
	flat_store_b16 v[35:36], v38 offset:32
	flat_store_b16 v[35:36], v39 offset:64
	;; [unrolled: 1-line block ×3, first 2 shown]
	s_cbranch_execnz .LBB152_2
	s_branch .LBB152_10
.LBB152_9:                              ;   in Loop: Header=BB152_3 Depth=1
.LBB152_10:                             ;   in Loop: Header=BB152_3 Depth=1
	v_add_co_u32 v6, vcc_lo, v6, s8
	s_wait_alu 0xfffd
	v_add_co_ci_u32_e64 v7, null, s9, v7, vcc_lo
	s_delay_alu instid0(VALU_DEP_2) | instskip(SKIP_1) | instid1(VALU_DEP_2)
	v_add_co_u32 v35, vcc_lo, v6, v0
	s_wait_alu 0xfffd
	v_add_co_ci_u32_e64 v36, null, v7, v1, vcc_lo
	s_delay_alu instid0(VALU_DEP_2) | instskip(SKIP_1) | instid1(VALU_DEP_2)
	v_add_co_u32 v6, vcc_lo, v35, v4
	s_wait_alu 0xfffd
	v_add_co_ci_u32_e64 v7, null, v36, v5, vcc_lo
	v_add_co_u32 v38, vcc_lo, v33, v2
	s_wait_alu 0xfffd
	v_add_co_ci_u32_e64 v39, null, v34, v3, vcc_lo
	flat_load_u16 v37, v[6:7]
	v_add_co_u32 v33, vcc_lo, v38, v4
	s_wait_alu 0xfffd
	v_add_co_ci_u32_e64 v34, null, v39, v5, vcc_lo
	s_wait_loadcnt_dscnt 0x0
	v_mul_f16_e32 v37, s33, v37
	s_delay_alu instid0(VALU_DEP_1) | instskip(SKIP_4) | instid1(VALU_DEP_1)
	v_fmac_f16_e32 v37, s30, v32
	flat_store_b16 v[33:34], v37
	flat_load_u16 v32, v[6:7] offset:32
	s_wait_loadcnt_dscnt 0x0
	v_mul_f16_e32 v32, s33, v32
	v_fmac_f16_e32 v32, s30, v30
	flat_store_b16 v[33:34], v32 offset:32
	flat_load_u16 v30, v[6:7] offset:64
	s_wait_loadcnt_dscnt 0x0
	v_mul_f16_e32 v30, s33, v30
	s_delay_alu instid0(VALU_DEP_1)
	v_fmac_f16_e32 v30, s30, v31
	v_add_co_u32 v31, vcc_lo, v35, s14
	s_wait_alu 0xfffd
	v_add_co_ci_u32_e64 v32, null, s15, v36, vcc_lo
	flat_store_b16 v[33:34], v30 offset:64
	flat_load_u16 v6, v[6:7] offset:96
	s_wait_loadcnt_dscnt 0x0
	v_mul_f16_e32 v30, s33, v6
	v_add_co_u32 v6, vcc_lo, v31, v4
	s_wait_alu 0xfffd
	v_add_co_ci_u32_e64 v7, null, v32, v5, vcc_lo
	s_delay_alu instid0(VALU_DEP_3)
	v_fmac_f16_e32 v30, s30, v29
	flat_store_b16 v[33:34], v30 offset:96
	flat_load_u16 v29, v[6:7]
	v_add_co_u32 v33, vcc_lo, v38, s16
	s_wait_alu 0xfffd
	v_add_co_ci_u32_e64 v34, null, s17, v39, vcc_lo
	s_wait_loadcnt_dscnt 0x0
	v_mul_f16_e32 v35, s33, v29
	v_add_co_u32 v29, vcc_lo, v33, v4
	s_wait_alu 0xfffd
	v_add_co_ci_u32_e64 v30, null, v34, v5, vcc_lo
	s_delay_alu instid0(VALU_DEP_3) | instskip(SKIP_4) | instid1(VALU_DEP_1)
	v_fmac_f16_e32 v35, s30, v13
	flat_store_b16 v[29:30], v35
	flat_load_u16 v13, v[6:7] offset:32
	s_wait_loadcnt_dscnt 0x0
	v_mul_f16_e32 v13, s33, v13
	v_fmac_f16_e32 v13, s30, v28
	v_add_co_u32 v28, vcc_lo, v31, s14
	s_wait_alu 0xfffd
	v_add_co_ci_u32_e64 v31, null, s15, v32, vcc_lo
	flat_store_b16 v[29:30], v13 offset:32
	flat_load_u16 v13, v[6:7] offset:64
	s_wait_loadcnt_dscnt 0x0
	v_mul_f16_e32 v13, s33, v13
	s_delay_alu instid0(VALU_DEP_1)
	v_fmac_f16_e32 v13, s30, v12
	flat_store_b16 v[29:30], v13 offset:64
	flat_load_u16 v6, v[6:7] offset:96
	s_wait_loadcnt_dscnt 0x0
	v_mul_f16_e32 v12, s33, v6
	v_add_co_u32 v6, vcc_lo, v28, v4
	s_wait_alu 0xfffd
	v_add_co_ci_u32_e64 v7, null, v31, v5, vcc_lo
	s_delay_alu instid0(VALU_DEP_3)
	v_fmac_f16_e32 v12, s30, v27
	v_add_co_u32 v27, vcc_lo, v33, s16
	flat_store_b16 v[29:30], v12 offset:96
	flat_load_u16 v12, v[6:7]
	s_wait_alu 0xfffd
	v_add_co_ci_u32_e64 v29, null, s17, v34, vcc_lo
	s_wait_loadcnt_dscnt 0x0
	v_mul_f16_e32 v30, s33, v12
	v_add_co_u32 v12, vcc_lo, v27, v4
	s_wait_alu 0xfffd
	v_add_co_ci_u32_e64 v13, null, v29, v5, vcc_lo
	s_delay_alu instid0(VALU_DEP_3) | instskip(SKIP_4) | instid1(VALU_DEP_1)
	v_fmac_f16_e32 v30, s30, v11
	flat_store_b16 v[12:13], v30
	flat_load_u16 v11, v[6:7] offset:32
	s_wait_loadcnt_dscnt 0x0
	v_mul_f16_e32 v11, s33, v11
	v_fmac_f16_e32 v11, s30, v26
	flat_store_b16 v[12:13], v11 offset:32
	flat_load_u16 v11, v[6:7] offset:64
	s_wait_loadcnt_dscnt 0x0
	v_mul_f16_e32 v11, s33, v11
	s_delay_alu instid0(VALU_DEP_1)
	v_fmac_f16_e32 v11, s30, v10
	flat_store_b16 v[12:13], v11 offset:64
	flat_load_u16 v6, v[6:7] offset:96
	s_wait_loadcnt_dscnt 0x0
	v_mul_f16_e32 v10, s33, v6
	v_add_co_u32 v6, vcc_lo, v28, s14
	s_wait_alu 0xfffd
	v_add_co_ci_u32_e64 v7, null, s15, v31, vcc_lo
	s_delay_alu instid0(VALU_DEP_3) | instskip(NEXT) | instid1(VALU_DEP_3)
	v_fmac_f16_e32 v10, s30, v25
	v_add_co_u32 v6, vcc_lo, v6, v4
	s_wait_alu 0xfffd
	s_delay_alu instid0(VALU_DEP_3)
	v_add_co_ci_u32_e64 v7, null, v7, v5, vcc_lo
	flat_store_b16 v[12:13], v10 offset:96
	flat_load_u16 v10, v[6:7]
	s_wait_loadcnt_dscnt 0x0
	v_mul_f16_e32 v11, s33, v10
	v_add_co_u32 v10, vcc_lo, v27, s16
	s_wait_alu 0xfffd
	v_add_co_ci_u32_e64 v12, null, s17, v29, vcc_lo
	s_delay_alu instid0(VALU_DEP_3) | instskip(NEXT) | instid1(VALU_DEP_3)
	v_fmac_f16_e32 v11, s30, v9
	v_add_co_u32 v9, vcc_lo, v10, v4
	s_wait_alu 0xfffd
	s_delay_alu instid0(VALU_DEP_3) | instskip(SKIP_4) | instid1(VALU_DEP_1)
	v_add_co_ci_u32_e64 v10, null, v12, v5, vcc_lo
	flat_store_b16 v[9:10], v11
	flat_load_u16 v11, v[6:7] offset:32
	s_wait_loadcnt_dscnt 0x0
	v_mul_f16_e32 v11, s33, v11
	v_fmac_f16_e32 v11, s30, v24
	flat_store_b16 v[9:10], v11 offset:32
	flat_load_u16 v11, v[6:7] offset:64
	s_wait_loadcnt_dscnt 0x0
	v_mul_f16_e32 v11, s33, v11
	s_delay_alu instid0(VALU_DEP_1) | instskip(SKIP_4) | instid1(VALU_DEP_1)
	v_fmac_f16_e32 v11, s30, v8
	flat_store_b16 v[9:10], v11 offset:64
	flat_load_u16 v6, v[6:7] offset:96
	s_wait_loadcnt_dscnt 0x0
	v_mul_f16_e32 v6, s33, v6
	v_fmac_f16_e32 v6, s30, v23
	flat_store_b16 v[9:10], v6 offset:96
	s_branch .LBB152_2
.LBB152_11:
	s_endpgm
	.section	.rodata,"a",@progbits
	.p2align	6, 0x0
	.amdhsa_kernel _ZN12_GLOBAL__N_127rocblas_gemm_batched_kernelIDF16_Li16ELi16ELi64ELi64ELi4ELi64ELi4ELi4ELi64ELc67ELc78EKPKDF16_S3_KPDF16_EEvlllT_PT11_llS8_llS6_PT12_llPT13_lli
		.amdhsa_group_segment_fixed_size 1024
		.amdhsa_private_segment_fixed_size 0
		.amdhsa_kernarg_size 140
		.amdhsa_user_sgpr_count 2
		.amdhsa_user_sgpr_dispatch_ptr 0
		.amdhsa_user_sgpr_queue_ptr 0
		.amdhsa_user_sgpr_kernarg_segment_ptr 1
		.amdhsa_user_sgpr_dispatch_id 0
		.amdhsa_user_sgpr_private_segment_size 0
		.amdhsa_wavefront_size32 1
		.amdhsa_uses_dynamic_stack 0
		.amdhsa_enable_private_segment 0
		.amdhsa_system_sgpr_workgroup_id_x 1
		.amdhsa_system_sgpr_workgroup_id_y 1
		.amdhsa_system_sgpr_workgroup_id_z 1
		.amdhsa_system_sgpr_workgroup_info 0
		.amdhsa_system_vgpr_workitem_id 1
		.amdhsa_next_free_vgpr 49
		.amdhsa_next_free_sgpr 36
		.amdhsa_reserve_vcc 1
		.amdhsa_float_round_mode_32 0
		.amdhsa_float_round_mode_16_64 0
		.amdhsa_float_denorm_mode_32 3
		.amdhsa_float_denorm_mode_16_64 3
		.amdhsa_fp16_overflow 0
		.amdhsa_workgroup_processor_mode 1
		.amdhsa_memory_ordered 1
		.amdhsa_forward_progress 1
		.amdhsa_inst_pref_size 23
		.amdhsa_round_robin_scheduling 0
		.amdhsa_exception_fp_ieee_invalid_op 0
		.amdhsa_exception_fp_denorm_src 0
		.amdhsa_exception_fp_ieee_div_zero 0
		.amdhsa_exception_fp_ieee_overflow 0
		.amdhsa_exception_fp_ieee_underflow 0
		.amdhsa_exception_fp_ieee_inexact 0
		.amdhsa_exception_int_div_zero 0
	.end_amdhsa_kernel
	.section	.text._ZN12_GLOBAL__N_127rocblas_gemm_batched_kernelIDF16_Li16ELi16ELi64ELi64ELi4ELi64ELi4ELi4ELi64ELc67ELc78EKPKDF16_S3_KPDF16_EEvlllT_PT11_llS8_llS6_PT12_llPT13_lli,"axG",@progbits,_ZN12_GLOBAL__N_127rocblas_gemm_batched_kernelIDF16_Li16ELi16ELi64ELi64ELi4ELi64ELi4ELi4ELi64ELc67ELc78EKPKDF16_S3_KPDF16_EEvlllT_PT11_llS8_llS6_PT12_llPT13_lli,comdat
.Lfunc_end152:
	.size	_ZN12_GLOBAL__N_127rocblas_gemm_batched_kernelIDF16_Li16ELi16ELi64ELi64ELi4ELi64ELi4ELi4ELi64ELc67ELc78EKPKDF16_S3_KPDF16_EEvlllT_PT11_llS8_llS6_PT12_llPT13_lli, .Lfunc_end152-_ZN12_GLOBAL__N_127rocblas_gemm_batched_kernelIDF16_Li16ELi16ELi64ELi64ELi4ELi64ELi4ELi4ELi64ELc67ELc78EKPKDF16_S3_KPDF16_EEvlllT_PT11_llS8_llS6_PT12_llPT13_lli
                                        ; -- End function
	.set _ZN12_GLOBAL__N_127rocblas_gemm_batched_kernelIDF16_Li16ELi16ELi64ELi64ELi4ELi64ELi4ELi4ELi64ELc67ELc78EKPKDF16_S3_KPDF16_EEvlllT_PT11_llS8_llS6_PT12_llPT13_lli.num_vgpr, 49
	.set _ZN12_GLOBAL__N_127rocblas_gemm_batched_kernelIDF16_Li16ELi16ELi64ELi64ELi4ELi64ELi4ELi4ELi64ELc67ELc78EKPKDF16_S3_KPDF16_EEvlllT_PT11_llS8_llS6_PT12_llPT13_lli.num_agpr, 0
	.set _ZN12_GLOBAL__N_127rocblas_gemm_batched_kernelIDF16_Li16ELi16ELi64ELi64ELi4ELi64ELi4ELi4ELi64ELc67ELc78EKPKDF16_S3_KPDF16_EEvlllT_PT11_llS8_llS6_PT12_llPT13_lli.numbered_sgpr, 36
	.set _ZN12_GLOBAL__N_127rocblas_gemm_batched_kernelIDF16_Li16ELi16ELi64ELi64ELi4ELi64ELi4ELi4ELi64ELc67ELc78EKPKDF16_S3_KPDF16_EEvlllT_PT11_llS8_llS6_PT12_llPT13_lli.num_named_barrier, 0
	.set _ZN12_GLOBAL__N_127rocblas_gemm_batched_kernelIDF16_Li16ELi16ELi64ELi64ELi4ELi64ELi4ELi4ELi64ELc67ELc78EKPKDF16_S3_KPDF16_EEvlllT_PT11_llS8_llS6_PT12_llPT13_lli.private_seg_size, 0
	.set _ZN12_GLOBAL__N_127rocblas_gemm_batched_kernelIDF16_Li16ELi16ELi64ELi64ELi4ELi64ELi4ELi4ELi64ELc67ELc78EKPKDF16_S3_KPDF16_EEvlllT_PT11_llS8_llS6_PT12_llPT13_lli.uses_vcc, 1
	.set _ZN12_GLOBAL__N_127rocblas_gemm_batched_kernelIDF16_Li16ELi16ELi64ELi64ELi4ELi64ELi4ELi4ELi64ELc67ELc78EKPKDF16_S3_KPDF16_EEvlllT_PT11_llS8_llS6_PT12_llPT13_lli.uses_flat_scratch, 1
	.set _ZN12_GLOBAL__N_127rocblas_gemm_batched_kernelIDF16_Li16ELi16ELi64ELi64ELi4ELi64ELi4ELi4ELi64ELc67ELc78EKPKDF16_S3_KPDF16_EEvlllT_PT11_llS8_llS6_PT12_llPT13_lli.has_dyn_sized_stack, 0
	.set _ZN12_GLOBAL__N_127rocblas_gemm_batched_kernelIDF16_Li16ELi16ELi64ELi64ELi4ELi64ELi4ELi4ELi64ELc67ELc78EKPKDF16_S3_KPDF16_EEvlllT_PT11_llS8_llS6_PT12_llPT13_lli.has_recursion, 0
	.set _ZN12_GLOBAL__N_127rocblas_gemm_batched_kernelIDF16_Li16ELi16ELi64ELi64ELi4ELi64ELi4ELi4ELi64ELc67ELc78EKPKDF16_S3_KPDF16_EEvlllT_PT11_llS8_llS6_PT12_llPT13_lli.has_indirect_call, 0
	.section	.AMDGPU.csdata,"",@progbits
; Kernel info:
; codeLenInByte = 2844
; TotalNumSgprs: 38
; NumVgprs: 49
; ScratchSize: 0
; MemoryBound: 0
; FloatMode: 240
; IeeeMode: 1
; LDSByteSize: 1024 bytes/workgroup (compile time only)
; SGPRBlocks: 0
; VGPRBlocks: 6
; NumSGPRsForWavesPerEU: 38
; NumVGPRsForWavesPerEU: 49
; Occupancy: 16
; WaveLimiterHint : 1
; COMPUTE_PGM_RSRC2:SCRATCH_EN: 0
; COMPUTE_PGM_RSRC2:USER_SGPR: 2
; COMPUTE_PGM_RSRC2:TRAP_HANDLER: 0
; COMPUTE_PGM_RSRC2:TGID_X_EN: 1
; COMPUTE_PGM_RSRC2:TGID_Y_EN: 1
; COMPUTE_PGM_RSRC2:TGID_Z_EN: 1
; COMPUTE_PGM_RSRC2:TIDIG_COMP_CNT: 1
	.section	.text._ZN12_GLOBAL__N_127rocblas_gemm_batched_kernelIDF16_Li16ELi16ELi64ELi64ELi4ELi64ELi4ELi4ELi64ELc67ELc84EKPKDF16_S3_KPDF16_EEvlllT_PT11_llS8_llS6_PT12_llPT13_lli,"axG",@progbits,_ZN12_GLOBAL__N_127rocblas_gemm_batched_kernelIDF16_Li16ELi16ELi64ELi64ELi4ELi64ELi4ELi4ELi64ELc67ELc84EKPKDF16_S3_KPDF16_EEvlllT_PT11_llS8_llS6_PT12_llPT13_lli,comdat
	.globl	_ZN12_GLOBAL__N_127rocblas_gemm_batched_kernelIDF16_Li16ELi16ELi64ELi64ELi4ELi64ELi4ELi4ELi64ELc67ELc84EKPKDF16_S3_KPDF16_EEvlllT_PT11_llS8_llS6_PT12_llPT13_lli ; -- Begin function _ZN12_GLOBAL__N_127rocblas_gemm_batched_kernelIDF16_Li16ELi16ELi64ELi64ELi4ELi64ELi4ELi4ELi64ELc67ELc84EKPKDF16_S3_KPDF16_EEvlllT_PT11_llS8_llS6_PT12_llPT13_lli
	.p2align	8
	.type	_ZN12_GLOBAL__N_127rocblas_gemm_batched_kernelIDF16_Li16ELi16ELi64ELi64ELi4ELi64ELi4ELi4ELi64ELc67ELc84EKPKDF16_S3_KPDF16_EEvlllT_PT11_llS8_llS6_PT12_llPT13_lli,@function
_ZN12_GLOBAL__N_127rocblas_gemm_batched_kernelIDF16_Li16ELi16ELi64ELi64ELi4ELi64ELi4ELi4ELi64ELc67ELc84EKPKDF16_S3_KPDF16_EEvlllT_PT11_llS8_llS6_PT12_llPT13_lli: ; @_ZN12_GLOBAL__N_127rocblas_gemm_batched_kernelIDF16_Li16ELi16ELi64ELi64ELi4ELi64ELi4ELi4ELi64ELc67ELc84EKPKDF16_S3_KPDF16_EEvlllT_PT11_llS8_llS6_PT12_llPT13_lli
; %bb.0:
	s_load_b32 s31, s[0:1], 0x88
	s_lshr_b32 s2, ttmp7, 16
	s_wait_kmcnt 0x0
	s_cmp_ge_i32 s2, s31
	s_cbranch_scc1 .LBB153_11
; %bb.1:
	v_dual_mov_b32 v1, 0 :: v_dual_and_b32 v8, 0x3ff, v0
	v_bfe_u32 v2, v0, 10, 10
	s_clause 0x5
	s_load_b96 s[28:30], s[0:1], 0x10
	s_load_b128 s[24:27], s[0:1], 0x40
	s_load_b32 s33, s[0:1], 0x50
	s_load_b128 s[20:23], s[0:1], 0x78
	s_load_b256 s[4:11], s[0:1], 0x20
	s_load_b256 s[12:19], s[0:1], 0x58
	s_lshl_b32 s0, ttmp7, 6
	s_mov_b32 s34, ttmp9
	v_lshl_add_u32 v3, v2, 4, v8
	s_and_b32 s36, s0, 0x3fffc0
	v_lshl_add_u32 v19, v2, 3, 0x200
	v_add_nc_u32_e32 v14, s36, v2
	s_ashr_i32 s35, ttmp9, 31
	v_and_b32_e32 v12, 63, v3
	v_lshrrev_b32_e32 v15, 6, v3
	s_lshl_b64 s[0:1], s[34:35], 6
	v_lshlrev_b32_e32 v18, 1, v8
	v_add_co_u32 v8, s35, s0, v8
	v_lshlrev_b32_e32 v4, 1, v12
	v_add_co_ci_u32_e64 v9, null, s1, 0, s35
	s_mov_b32 s3, 0
	s_wait_kmcnt 0x0
	s_cmp_eq_f16 s33, 0
	v_lshl_or_b32 v16, v15, 7, v4
	v_mad_co_u64_u32 v[4:5], null, v14, s20, 0
	v_and_b32_e32 v13, 3, v0
	v_lshrrev_b32_e32 v0, 2, v3
	v_mad_co_u64_u32 v[6:7], null, v14, s14, 0
	s_cselect_b32 s34, -1, 0
	v_lshlrev_b32_e32 v3, 1, v13
	s_delay_alu instid0(VALU_DEP_1) | instskip(NEXT) | instid1(VALU_DEP_1)
	v_lshl_or_b32 v3, v0, 3, v3
	v_add_nc_u32_e32 v17, 0x200, v3
	v_mad_co_u64_u32 v[2:3], null, s24, v13, v[0:1]
	v_mov_b32_e32 v0, v5
	v_or_b32_e32 v5, s0, v12
	s_mul_i32 s0, s6, s1
	s_delay_alu instid0(VALU_DEP_2) | instskip(SKIP_3) | instid1(VALU_DEP_3)
	v_mad_co_u64_u32 v[10:11], null, v14, s21, v[0:1]
	v_mov_b32_e32 v0, v7
	v_mad_co_u64_u32 v[11:12], null, s25, v13, v[3:4]
	v_add_co_u32 v2, vcc_lo, v2, s36
	v_mad_co_u64_u32 v[12:13], null, v14, s15, v[0:1]
	v_mul_lo_u32 v0, s7, v5
	v_mad_co_u64_u32 v[13:14], null, s6, v5, 0
	v_add_co_ci_u32_e64 v3, null, 0, v11, vcc_lo
	v_mov_b32_e32 v5, v10
	v_mov_b32_e32 v7, v12
	s_lshl_b64 s[20:21], s[20:21], 4
	s_delay_alu instid0(VALU_DEP_3)
	v_lshlrev_b64_e32 v[2:3], 1, v[2:3]
	s_wait_alu 0xfffe
	v_add3_u32 v14, v14, s0, v0
	s_lshl_b64 s[0:1], s[26:27], 1
	v_lshlrev_b64_e32 v[4:5], 1, v[4:5]
	s_lshl_b64 s[36:37], s[14:15], 4
	s_lshl_b64 s[6:7], s[24:25], 3
	v_lshlrev_b64_e32 v[10:11], 1, v[13:14]
	s_wait_alu 0xfffe
	v_add_co_u32 v0, vcc_lo, s0, v2
	s_wait_alu 0xfffd
	v_add_co_ci_u32_e64 v20, null, s1, v3, vcc_lo
	s_lshl_b64 s[0:1], s[8:9], 1
	v_lshlrev_b32_e32 v2, 1, v15
	s_wait_alu 0xfffe
	v_add_co_u32 v3, vcc_lo, v10, s0
	v_cmp_gt_i64_e64 s0, s[28:29], 0
	s_wait_alu 0xfffd
	v_add_co_ci_u32_e64 v10, null, s1, v11, vcc_lo
	s_delay_alu instid0(VALU_DEP_3)
	v_add_co_u32 v21, vcc_lo, v3, v2
	v_lshlrev_b64_e32 v[2:3], 1, v[6:7]
	s_wait_alu 0xf1ff
	v_cndmask_b32_e64 v11, 0, 1, s0
	v_lshlrev_b64_e32 v[6:7], 1, v[8:9]
	s_wait_alu 0xfffd
	v_add_co_ci_u32_e64 v22, null, 0, v10, vcc_lo
	s_lshl_b64 s[8:9], s[22:23], 1
	v_cmp_ne_u32_e64 s0, 1, v11
	s_lshl_b64 s[14:15], s[16:17], 1
	s_lshl_b64 s[16:17], s[36:37], 1
	;; [unrolled: 1-line block ×3, first 2 shown]
	s_branch .LBB153_3
.LBB153_2:                              ;   in Loop: Header=BB153_3 Depth=1
	s_add_co_i32 s2, s2, 0x10000
	s_delay_alu instid0(SALU_CYCLE_1)
	s_cmp_lt_i32 s2, s31
	s_cbranch_scc0 .LBB153_11
.LBB153_3:                              ; =>This Loop Header: Depth=1
                                        ;     Child Loop BB153_5 Depth 2
	s_lshl_b64 s[22:23], s[2:3], 3
	s_and_b32 vcc_lo, exec_lo, s0
	s_wait_alu 0xfffe
	s_add_nc_u64 s[24:25], s[12:13], s[22:23]
	s_add_nc_u64 s[26:27], s[18:19], s[22:23]
	s_clause 0x1
	global_load_b64 v[8:9], v1, s[24:25]
	global_load_b64 v[10:11], v1, s[26:27]
	s_cbranch_vccnz .LBB153_6
; %bb.4:                                ;   in Loop: Header=BB153_3 Depth=1
	s_add_nc_u64 s[24:25], s[10:11], s[22:23]
	s_add_nc_u64 s[22:23], s[4:5], s[22:23]
	s_clause 0x1
	global_load_b64 v[12:13], v1, s[24:25]
	global_load_b64 v[14:15], v1, s[22:23]
	v_dual_mov_b32 v23, 0 :: v_dual_mov_b32 v24, 0
	v_dual_mov_b32 v25, 0 :: v_dual_mov_b32 v26, 0
	;; [unrolled: 1-line block ×4, first 2 shown]
	s_mov_b64 s[22:23], 0
	s_wait_loadcnt 0x1
	v_add_co_u32 v12, vcc_lo, v12, v0
	s_wait_alu 0xfffd
	v_add_co_ci_u32_e64 v13, null, v13, v20, vcc_lo
	s_wait_loadcnt 0x0
	v_add_co_u32 v14, vcc_lo, v14, v21
	s_wait_alu 0xfffd
	v_add_co_ci_u32_e64 v15, null, v15, v22, vcc_lo
.LBB153_5:                              ;   Parent Loop BB153_3 Depth=1
                                        ; =>  This Inner Loop Header: Depth=2
	flat_load_u16 v31, v[14:15]
	s_wait_alu 0xfffe
	s_add_nc_u64 s[22:23], s[22:23], 4
	v_add_co_u32 v14, vcc_lo, v14, 8
	s_wait_alu 0xfffe
	v_cmp_lt_i64_e64 s1, s[22:23], s[28:29]
	s_wait_alu 0xfffd
	v_add_co_ci_u32_e64 v15, null, 0, v15, vcc_lo
	s_and_b32 vcc_lo, exec_lo, s1
	s_wait_loadcnt_dscnt 0x0
	ds_store_b16 v16, v31
	flat_load_u16 v31, v[12:13]
	v_add_co_u32 v12, s1, v12, s6
	s_wait_alu 0xf1ff
	v_add_co_ci_u32_e64 v13, null, s7, v13, s1
	s_wait_loadcnt_dscnt 0x0
	ds_store_b16 v17, v31
	s_wait_dscnt 0x0
	s_barrier_signal -1
	s_barrier_wait -1
	global_inv scope:SCOPE_SE
	ds_load_u16 v39, v18 offset:32
	ds_load_u16 v40, v18 offset:96
	ds_load_u16 v41, v18 offset:160
	ds_load_u16 v42, v18 offset:224
	ds_load_u16 v43, v18 offset:288
	ds_load_u16 v44, v18 offset:352
	ds_load_u16 v45, v18 offset:416
	ds_load_u16 v46, v18 offset:480
	ds_load_2addr_b64 v[31:34], v19 offset1:16
	ds_load_2addr_b64 v[35:38], v19 offset0:32 offset1:48
	s_wait_dscnt 0x9
	ds_load_u16_d16_hi v39, v18
	s_wait_dscnt 0x9
	ds_load_u16_d16_hi v40, v18 offset:64
	s_wait_dscnt 0x9
	ds_load_u16_d16_hi v41, v18 offset:128
	;; [unrolled: 2-line block ×7, first 2 shown]
	s_wait_loadcnt_dscnt 0x0
	s_barrier_signal -1
	s_barrier_wait -1
	global_inv scope:SCOPE_SE
	v_pk_fma_f16 v30, v39, v31, v30 op_sel_hi:[1,0,1]
	v_pk_fma_f16 v29, v40, v31, v29 op_sel_hi:[1,0,1]
	v_pk_fma_f16 v28, v39, v33, v28 op_sel_hi:[1,0,1]
	v_pk_fma_f16 v27, v40, v33, v27 op_sel_hi:[1,0,1]
	v_pk_fma_f16 v26, v39, v35, v26 op_sel_hi:[1,0,1]
	v_pk_fma_f16 v25, v40, v35, v25 op_sel_hi:[1,0,1]
	v_pk_fma_f16 v24, v39, v37, v24 op_sel_hi:[1,0,1]
	v_pk_fma_f16 v23, v40, v37, v23 op_sel_hi:[1,0,1]
	v_pk_fma_f16 v30, v41, v31, v30 op_sel:[0,1,0]
	v_pk_fma_f16 v29, v42, v31, v29 op_sel:[0,1,0]
	;; [unrolled: 1-line block ×8, first 2 shown]
	v_pk_fma_f16 v30, v43, v32, v30 op_sel_hi:[1,0,1]
	v_pk_fma_f16 v29, v44, v32, v29 op_sel_hi:[1,0,1]
	;; [unrolled: 1-line block ×8, first 2 shown]
	v_pk_fma_f16 v30, v45, v32, v30 op_sel:[0,1,0]
	v_pk_fma_f16 v29, v46, v32, v29 op_sel:[0,1,0]
	;; [unrolled: 1-line block ×8, first 2 shown]
	s_wait_alu 0xfffe
	s_cbranch_vccnz .LBB153_5
	s_branch .LBB153_7
.LBB153_6:                              ;   in Loop: Header=BB153_3 Depth=1
	v_dual_mov_b32 v30, 0 :: v_dual_mov_b32 v29, 0
	v_dual_mov_b32 v28, 0 :: v_dual_mov_b32 v27, 0
	;; [unrolled: 1-line block ×4, first 2 shown]
.LBB153_7:                              ;   in Loop: Header=BB153_3 Depth=1
	s_wait_loadcnt 0x0
	v_add_co_u32 v33, vcc_lo, v10, s8
	s_wait_alu 0xfffd
	v_add_co_ci_u32_e64 v34, null, s9, v11, vcc_lo
	v_lshrrev_b32_e32 v32, 16, v30
	v_lshrrev_b32_e32 v31, 16, v29
	;; [unrolled: 1-line block ×8, first 2 shown]
	s_and_not1_b32 vcc_lo, exec_lo, s34
	s_wait_alu 0xfffe
	s_cbranch_vccnz .LBB153_9
; %bb.8:                                ;   in Loop: Header=BB153_3 Depth=1
	v_add_co_u32 v37, vcc_lo, v33, v4
	s_wait_alu 0xfffd
	v_add_co_ci_u32_e64 v38, null, v34, v5, vcc_lo
	v_mul_f16_e32 v39, s30, v32
	s_delay_alu instid0(VALU_DEP_3) | instskip(SKIP_1) | instid1(VALU_DEP_3)
	v_add_co_u32 v35, vcc_lo, v37, v6
	s_wait_alu 0xfffd
	v_add_co_ci_u32_e64 v36, null, v38, v7, vcc_lo
	v_add_co_u32 v37, vcc_lo, v37, s20
	v_mul_f16_e32 v40, s30, v30
	v_mul_f16_e32 v41, s30, v31
	s_wait_alu 0xfffd
	v_add_co_ci_u32_e64 v38, null, s21, v38, vcc_lo
	v_mul_f16_e32 v42, s30, v29
	s_clause 0x3
	flat_store_b16 v[35:36], v39
	flat_store_b16 v[35:36], v40 offset:32
	flat_store_b16 v[35:36], v41 offset:64
	;; [unrolled: 1-line block ×3, first 2 shown]
	v_add_co_u32 v35, vcc_lo, v37, v6
	s_wait_alu 0xfffd
	v_add_co_ci_u32_e64 v36, null, v38, v7, vcc_lo
	v_add_co_u32 v43, vcc_lo, v37, s20
	s_wait_alu 0xfffd
	v_add_co_ci_u32_e64 v44, null, s21, v38, vcc_lo
	v_mul_f16_e32 v39, s30, v15
	v_mul_f16_e32 v40, s30, v28
	;; [unrolled: 1-line block ×3, first 2 shown]
	v_add_co_u32 v37, vcc_lo, v43, v6
	v_mul_f16_e32 v42, s30, v27
	v_mul_f16_e32 v45, s30, v13
	s_wait_alu 0xfffd
	v_add_co_ci_u32_e64 v38, null, v44, v7, vcc_lo
	v_mul_f16_e32 v46, s30, v26
	v_mul_f16_e32 v47, s30, v12
	v_mul_f16_e32 v48, s30, v25
	s_clause 0x7
	flat_store_b16 v[35:36], v39
	flat_store_b16 v[35:36], v40 offset:32
	flat_store_b16 v[35:36], v41 offset:64
	;; [unrolled: 1-line block ×3, first 2 shown]
	flat_store_b16 v[37:38], v45
	flat_store_b16 v[37:38], v46 offset:32
	flat_store_b16 v[37:38], v47 offset:64
	;; [unrolled: 1-line block ×3, first 2 shown]
	v_add_co_u32 v35, vcc_lo, v43, s20
	s_wait_alu 0xfffd
	v_add_co_ci_u32_e64 v36, null, s21, v44, vcc_lo
	v_mul_f16_e32 v37, s30, v11
	s_delay_alu instid0(VALU_DEP_3) | instskip(SKIP_1) | instid1(VALU_DEP_3)
	v_add_co_u32 v35, vcc_lo, v35, v6
	s_wait_alu 0xfffd
	v_add_co_ci_u32_e64 v36, null, v36, v7, vcc_lo
	v_mul_f16_e32 v38, s30, v24
	v_mul_f16_e32 v39, s30, v10
	;; [unrolled: 1-line block ×3, first 2 shown]
	s_clause 0x3
	flat_store_b16 v[35:36], v37
	flat_store_b16 v[35:36], v38 offset:32
	flat_store_b16 v[35:36], v39 offset:64
	;; [unrolled: 1-line block ×3, first 2 shown]
	s_cbranch_execnz .LBB153_2
	s_branch .LBB153_10
.LBB153_9:                              ;   in Loop: Header=BB153_3 Depth=1
.LBB153_10:                             ;   in Loop: Header=BB153_3 Depth=1
	v_add_co_u32 v8, vcc_lo, v8, s14
	s_wait_alu 0xfffd
	v_add_co_ci_u32_e64 v9, null, s15, v9, vcc_lo
	s_delay_alu instid0(VALU_DEP_2) | instskip(SKIP_1) | instid1(VALU_DEP_2)
	v_add_co_u32 v35, vcc_lo, v8, v2
	s_wait_alu 0xfffd
	v_add_co_ci_u32_e64 v36, null, v9, v3, vcc_lo
	s_delay_alu instid0(VALU_DEP_2) | instskip(SKIP_1) | instid1(VALU_DEP_2)
	v_add_co_u32 v8, vcc_lo, v35, v6
	s_wait_alu 0xfffd
	v_add_co_ci_u32_e64 v9, null, v36, v7, vcc_lo
	v_add_co_u32 v38, vcc_lo, v33, v4
	s_wait_alu 0xfffd
	v_add_co_ci_u32_e64 v39, null, v34, v5, vcc_lo
	flat_load_u16 v37, v[8:9]
	v_add_co_u32 v33, vcc_lo, v38, v6
	s_wait_alu 0xfffd
	v_add_co_ci_u32_e64 v34, null, v39, v7, vcc_lo
	s_wait_loadcnt_dscnt 0x0
	v_mul_f16_e32 v37, s33, v37
	s_delay_alu instid0(VALU_DEP_1) | instskip(SKIP_4) | instid1(VALU_DEP_1)
	v_fmac_f16_e32 v37, s30, v32
	flat_store_b16 v[33:34], v37
	flat_load_u16 v32, v[8:9] offset:32
	s_wait_loadcnt_dscnt 0x0
	v_mul_f16_e32 v32, s33, v32
	v_fmac_f16_e32 v32, s30, v30
	flat_store_b16 v[33:34], v32 offset:32
	flat_load_u16 v30, v[8:9] offset:64
	s_wait_loadcnt_dscnt 0x0
	v_mul_f16_e32 v30, s33, v30
	s_delay_alu instid0(VALU_DEP_1)
	v_fmac_f16_e32 v30, s30, v31
	v_add_co_u32 v31, vcc_lo, v35, s16
	s_wait_alu 0xfffd
	v_add_co_ci_u32_e64 v32, null, s17, v36, vcc_lo
	flat_store_b16 v[33:34], v30 offset:64
	flat_load_u16 v8, v[8:9] offset:96
	s_wait_loadcnt_dscnt 0x0
	v_mul_f16_e32 v30, s33, v8
	v_add_co_u32 v8, vcc_lo, v31, v6
	s_wait_alu 0xfffd
	v_add_co_ci_u32_e64 v9, null, v32, v7, vcc_lo
	s_delay_alu instid0(VALU_DEP_3)
	v_fmac_f16_e32 v30, s30, v29
	flat_store_b16 v[33:34], v30 offset:96
	flat_load_u16 v29, v[8:9]
	v_add_co_u32 v33, vcc_lo, v38, s20
	s_wait_alu 0xfffd
	v_add_co_ci_u32_e64 v34, null, s21, v39, vcc_lo
	s_wait_loadcnt_dscnt 0x0
	v_mul_f16_e32 v35, s33, v29
	v_add_co_u32 v29, vcc_lo, v33, v6
	s_wait_alu 0xfffd
	v_add_co_ci_u32_e64 v30, null, v34, v7, vcc_lo
	s_delay_alu instid0(VALU_DEP_3) | instskip(SKIP_4) | instid1(VALU_DEP_1)
	v_fmac_f16_e32 v35, s30, v15
	flat_store_b16 v[29:30], v35
	flat_load_u16 v15, v[8:9] offset:32
	s_wait_loadcnt_dscnt 0x0
	v_mul_f16_e32 v15, s33, v15
	v_fmac_f16_e32 v15, s30, v28
	v_add_co_u32 v28, vcc_lo, v31, s16
	s_wait_alu 0xfffd
	v_add_co_ci_u32_e64 v31, null, s17, v32, vcc_lo
	flat_store_b16 v[29:30], v15 offset:32
	flat_load_u16 v15, v[8:9] offset:64
	s_wait_loadcnt_dscnt 0x0
	v_mul_f16_e32 v15, s33, v15
	s_delay_alu instid0(VALU_DEP_1)
	v_fmac_f16_e32 v15, s30, v14
	flat_store_b16 v[29:30], v15 offset:64
	flat_load_u16 v8, v[8:9] offset:96
	s_wait_loadcnt_dscnt 0x0
	v_mul_f16_e32 v14, s33, v8
	v_add_co_u32 v8, vcc_lo, v28, v6
	s_wait_alu 0xfffd
	v_add_co_ci_u32_e64 v9, null, v31, v7, vcc_lo
	s_delay_alu instid0(VALU_DEP_3)
	v_fmac_f16_e32 v14, s30, v27
	v_add_co_u32 v27, vcc_lo, v33, s20
	flat_store_b16 v[29:30], v14 offset:96
	flat_load_u16 v14, v[8:9]
	s_wait_alu 0xfffd
	v_add_co_ci_u32_e64 v29, null, s21, v34, vcc_lo
	s_wait_loadcnt_dscnt 0x0
	v_mul_f16_e32 v30, s33, v14
	v_add_co_u32 v14, vcc_lo, v27, v6
	s_wait_alu 0xfffd
	v_add_co_ci_u32_e64 v15, null, v29, v7, vcc_lo
	s_delay_alu instid0(VALU_DEP_3) | instskip(SKIP_4) | instid1(VALU_DEP_1)
	v_fmac_f16_e32 v30, s30, v13
	flat_store_b16 v[14:15], v30
	flat_load_u16 v13, v[8:9] offset:32
	s_wait_loadcnt_dscnt 0x0
	v_mul_f16_e32 v13, s33, v13
	v_fmac_f16_e32 v13, s30, v26
	flat_store_b16 v[14:15], v13 offset:32
	flat_load_u16 v13, v[8:9] offset:64
	s_wait_loadcnt_dscnt 0x0
	v_mul_f16_e32 v13, s33, v13
	s_delay_alu instid0(VALU_DEP_1)
	v_fmac_f16_e32 v13, s30, v12
	flat_store_b16 v[14:15], v13 offset:64
	flat_load_u16 v8, v[8:9] offset:96
	s_wait_loadcnt_dscnt 0x0
	v_mul_f16_e32 v12, s33, v8
	v_add_co_u32 v8, vcc_lo, v28, s16
	s_wait_alu 0xfffd
	v_add_co_ci_u32_e64 v9, null, s17, v31, vcc_lo
	s_delay_alu instid0(VALU_DEP_3) | instskip(NEXT) | instid1(VALU_DEP_3)
	v_fmac_f16_e32 v12, s30, v25
	v_add_co_u32 v8, vcc_lo, v8, v6
	s_wait_alu 0xfffd
	s_delay_alu instid0(VALU_DEP_3)
	v_add_co_ci_u32_e64 v9, null, v9, v7, vcc_lo
	flat_store_b16 v[14:15], v12 offset:96
	flat_load_u16 v12, v[8:9]
	s_wait_loadcnt_dscnt 0x0
	v_mul_f16_e32 v13, s33, v12
	v_add_co_u32 v12, vcc_lo, v27, s20
	s_wait_alu 0xfffd
	v_add_co_ci_u32_e64 v14, null, s21, v29, vcc_lo
	s_delay_alu instid0(VALU_DEP_3) | instskip(NEXT) | instid1(VALU_DEP_3)
	v_fmac_f16_e32 v13, s30, v11
	v_add_co_u32 v11, vcc_lo, v12, v6
	s_wait_alu 0xfffd
	s_delay_alu instid0(VALU_DEP_3) | instskip(SKIP_4) | instid1(VALU_DEP_1)
	v_add_co_ci_u32_e64 v12, null, v14, v7, vcc_lo
	flat_store_b16 v[11:12], v13
	flat_load_u16 v13, v[8:9] offset:32
	s_wait_loadcnt_dscnt 0x0
	v_mul_f16_e32 v13, s33, v13
	v_fmac_f16_e32 v13, s30, v24
	flat_store_b16 v[11:12], v13 offset:32
	flat_load_u16 v13, v[8:9] offset:64
	s_wait_loadcnt_dscnt 0x0
	v_mul_f16_e32 v13, s33, v13
	s_delay_alu instid0(VALU_DEP_1) | instskip(SKIP_4) | instid1(VALU_DEP_1)
	v_fmac_f16_e32 v13, s30, v10
	flat_store_b16 v[11:12], v13 offset:64
	flat_load_u16 v8, v[8:9] offset:96
	s_wait_loadcnt_dscnt 0x0
	v_mul_f16_e32 v8, s33, v8
	v_fmac_f16_e32 v8, s30, v23
	flat_store_b16 v[11:12], v8 offset:96
	s_branch .LBB153_2
.LBB153_11:
	s_endpgm
	.section	.rodata,"a",@progbits
	.p2align	6, 0x0
	.amdhsa_kernel _ZN12_GLOBAL__N_127rocblas_gemm_batched_kernelIDF16_Li16ELi16ELi64ELi64ELi4ELi64ELi4ELi4ELi64ELc67ELc84EKPKDF16_S3_KPDF16_EEvlllT_PT11_llS8_llS6_PT12_llPT13_lli
		.amdhsa_group_segment_fixed_size 1024
		.amdhsa_private_segment_fixed_size 0
		.amdhsa_kernarg_size 140
		.amdhsa_user_sgpr_count 2
		.amdhsa_user_sgpr_dispatch_ptr 0
		.amdhsa_user_sgpr_queue_ptr 0
		.amdhsa_user_sgpr_kernarg_segment_ptr 1
		.amdhsa_user_sgpr_dispatch_id 0
		.amdhsa_user_sgpr_private_segment_size 0
		.amdhsa_wavefront_size32 1
		.amdhsa_uses_dynamic_stack 0
		.amdhsa_enable_private_segment 0
		.amdhsa_system_sgpr_workgroup_id_x 1
		.amdhsa_system_sgpr_workgroup_id_y 1
		.amdhsa_system_sgpr_workgroup_id_z 1
		.amdhsa_system_sgpr_workgroup_info 0
		.amdhsa_system_vgpr_workitem_id 1
		.amdhsa_next_free_vgpr 49
		.amdhsa_next_free_sgpr 38
		.amdhsa_reserve_vcc 1
		.amdhsa_float_round_mode_32 0
		.amdhsa_float_round_mode_16_64 0
		.amdhsa_float_denorm_mode_32 3
		.amdhsa_float_denorm_mode_16_64 3
		.amdhsa_fp16_overflow 0
		.amdhsa_workgroup_processor_mode 1
		.amdhsa_memory_ordered 1
		.amdhsa_forward_progress 1
		.amdhsa_inst_pref_size 23
		.amdhsa_round_robin_scheduling 0
		.amdhsa_exception_fp_ieee_invalid_op 0
		.amdhsa_exception_fp_denorm_src 0
		.amdhsa_exception_fp_ieee_div_zero 0
		.amdhsa_exception_fp_ieee_overflow 0
		.amdhsa_exception_fp_ieee_underflow 0
		.amdhsa_exception_fp_ieee_inexact 0
		.amdhsa_exception_int_div_zero 0
	.end_amdhsa_kernel
	.section	.text._ZN12_GLOBAL__N_127rocblas_gemm_batched_kernelIDF16_Li16ELi16ELi64ELi64ELi4ELi64ELi4ELi4ELi64ELc67ELc84EKPKDF16_S3_KPDF16_EEvlllT_PT11_llS8_llS6_PT12_llPT13_lli,"axG",@progbits,_ZN12_GLOBAL__N_127rocblas_gemm_batched_kernelIDF16_Li16ELi16ELi64ELi64ELi4ELi64ELi4ELi4ELi64ELc67ELc84EKPKDF16_S3_KPDF16_EEvlllT_PT11_llS8_llS6_PT12_llPT13_lli,comdat
.Lfunc_end153:
	.size	_ZN12_GLOBAL__N_127rocblas_gemm_batched_kernelIDF16_Li16ELi16ELi64ELi64ELi4ELi64ELi4ELi4ELi64ELc67ELc84EKPKDF16_S3_KPDF16_EEvlllT_PT11_llS8_llS6_PT12_llPT13_lli, .Lfunc_end153-_ZN12_GLOBAL__N_127rocblas_gemm_batched_kernelIDF16_Li16ELi16ELi64ELi64ELi4ELi64ELi4ELi4ELi64ELc67ELc84EKPKDF16_S3_KPDF16_EEvlllT_PT11_llS8_llS6_PT12_llPT13_lli
                                        ; -- End function
	.set _ZN12_GLOBAL__N_127rocblas_gemm_batched_kernelIDF16_Li16ELi16ELi64ELi64ELi4ELi64ELi4ELi4ELi64ELc67ELc84EKPKDF16_S3_KPDF16_EEvlllT_PT11_llS8_llS6_PT12_llPT13_lli.num_vgpr, 49
	.set _ZN12_GLOBAL__N_127rocblas_gemm_batched_kernelIDF16_Li16ELi16ELi64ELi64ELi4ELi64ELi4ELi4ELi64ELc67ELc84EKPKDF16_S3_KPDF16_EEvlllT_PT11_llS8_llS6_PT12_llPT13_lli.num_agpr, 0
	.set _ZN12_GLOBAL__N_127rocblas_gemm_batched_kernelIDF16_Li16ELi16ELi64ELi64ELi4ELi64ELi4ELi4ELi64ELc67ELc84EKPKDF16_S3_KPDF16_EEvlllT_PT11_llS8_llS6_PT12_llPT13_lli.numbered_sgpr, 38
	.set _ZN12_GLOBAL__N_127rocblas_gemm_batched_kernelIDF16_Li16ELi16ELi64ELi64ELi4ELi64ELi4ELi4ELi64ELc67ELc84EKPKDF16_S3_KPDF16_EEvlllT_PT11_llS8_llS6_PT12_llPT13_lli.num_named_barrier, 0
	.set _ZN12_GLOBAL__N_127rocblas_gemm_batched_kernelIDF16_Li16ELi16ELi64ELi64ELi4ELi64ELi4ELi4ELi64ELc67ELc84EKPKDF16_S3_KPDF16_EEvlllT_PT11_llS8_llS6_PT12_llPT13_lli.private_seg_size, 0
	.set _ZN12_GLOBAL__N_127rocblas_gemm_batched_kernelIDF16_Li16ELi16ELi64ELi64ELi4ELi64ELi4ELi4ELi64ELc67ELc84EKPKDF16_S3_KPDF16_EEvlllT_PT11_llS8_llS6_PT12_llPT13_lli.uses_vcc, 1
	.set _ZN12_GLOBAL__N_127rocblas_gemm_batched_kernelIDF16_Li16ELi16ELi64ELi64ELi4ELi64ELi4ELi4ELi64ELc67ELc84EKPKDF16_S3_KPDF16_EEvlllT_PT11_llS8_llS6_PT12_llPT13_lli.uses_flat_scratch, 1
	.set _ZN12_GLOBAL__N_127rocblas_gemm_batched_kernelIDF16_Li16ELi16ELi64ELi64ELi4ELi64ELi4ELi4ELi64ELc67ELc84EKPKDF16_S3_KPDF16_EEvlllT_PT11_llS8_llS6_PT12_llPT13_lli.has_dyn_sized_stack, 0
	.set _ZN12_GLOBAL__N_127rocblas_gemm_batched_kernelIDF16_Li16ELi16ELi64ELi64ELi4ELi64ELi4ELi4ELi64ELc67ELc84EKPKDF16_S3_KPDF16_EEvlllT_PT11_llS8_llS6_PT12_llPT13_lli.has_recursion, 0
	.set _ZN12_GLOBAL__N_127rocblas_gemm_batched_kernelIDF16_Li16ELi16ELi64ELi64ELi4ELi64ELi4ELi4ELi64ELc67ELc84EKPKDF16_S3_KPDF16_EEvlllT_PT11_llS8_llS6_PT12_llPT13_lli.has_indirect_call, 0
	.section	.AMDGPU.csdata,"",@progbits
; Kernel info:
; codeLenInByte = 2844
; TotalNumSgprs: 40
; NumVgprs: 49
; ScratchSize: 0
; MemoryBound: 0
; FloatMode: 240
; IeeeMode: 1
; LDSByteSize: 1024 bytes/workgroup (compile time only)
; SGPRBlocks: 0
; VGPRBlocks: 6
; NumSGPRsForWavesPerEU: 40
; NumVGPRsForWavesPerEU: 49
; Occupancy: 16
; WaveLimiterHint : 1
; COMPUTE_PGM_RSRC2:SCRATCH_EN: 0
; COMPUTE_PGM_RSRC2:USER_SGPR: 2
; COMPUTE_PGM_RSRC2:TRAP_HANDLER: 0
; COMPUTE_PGM_RSRC2:TGID_X_EN: 1
; COMPUTE_PGM_RSRC2:TGID_Y_EN: 1
; COMPUTE_PGM_RSRC2:TGID_Z_EN: 1
; COMPUTE_PGM_RSRC2:TIDIG_COMP_CNT: 1
	.section	.text._ZN12_GLOBAL__N_127rocblas_gemm_batched_kernelIDF16_Li16ELi16ELi64ELi64ELi4ELi64ELi4ELi4ELi64ELc78ELc67EKPKDF16_S3_KPDF16_EEvlllT_PT11_llS8_llS6_PT12_llPT13_lli,"axG",@progbits,_ZN12_GLOBAL__N_127rocblas_gemm_batched_kernelIDF16_Li16ELi16ELi64ELi64ELi4ELi64ELi4ELi4ELi64ELc78ELc67EKPKDF16_S3_KPDF16_EEvlllT_PT11_llS8_llS6_PT12_llPT13_lli,comdat
	.globl	_ZN12_GLOBAL__N_127rocblas_gemm_batched_kernelIDF16_Li16ELi16ELi64ELi64ELi4ELi64ELi4ELi4ELi64ELc78ELc67EKPKDF16_S3_KPDF16_EEvlllT_PT11_llS8_llS6_PT12_llPT13_lli ; -- Begin function _ZN12_GLOBAL__N_127rocblas_gemm_batched_kernelIDF16_Li16ELi16ELi64ELi64ELi4ELi64ELi4ELi4ELi64ELc78ELc67EKPKDF16_S3_KPDF16_EEvlllT_PT11_llS8_llS6_PT12_llPT13_lli
	.p2align	8
	.type	_ZN12_GLOBAL__N_127rocblas_gemm_batched_kernelIDF16_Li16ELi16ELi64ELi64ELi4ELi64ELi4ELi4ELi64ELc78ELc67EKPKDF16_S3_KPDF16_EEvlllT_PT11_llS8_llS6_PT12_llPT13_lli,@function
_ZN12_GLOBAL__N_127rocblas_gemm_batched_kernelIDF16_Li16ELi16ELi64ELi64ELi4ELi64ELi4ELi4ELi64ELc78ELc67EKPKDF16_S3_KPDF16_EEvlllT_PT11_llS8_llS6_PT12_llPT13_lli: ; @_ZN12_GLOBAL__N_127rocblas_gemm_batched_kernelIDF16_Li16ELi16ELi64ELi64ELi4ELi64ELi4ELi4ELi64ELc78ELc67EKPKDF16_S3_KPDF16_EEvlllT_PT11_llS8_llS6_PT12_llPT13_lli
; %bb.0:
	s_load_b32 s31, s[0:1], 0x88
	s_lshr_b32 s2, ttmp7, 16
	s_wait_kmcnt 0x0
	s_cmp_ge_i32 s2, s31
	s_cbranch_scc1 .LBB154_11
; %bb.1:
	s_load_b128 s[20:23], s[0:1], 0x78
	v_and_b32_e32 v12, 0x3ff, v0
	v_bfe_u32 v3, v0, 10, 10
	s_clause 0x4
	s_load_b96 s[28:30], s[0:1], 0x10
	s_load_b256 s[4:11], s[0:1], 0x20
	s_load_b128 s[24:27], s[0:1], 0x40
	s_load_b32 s33, s[0:1], 0x50
	s_load_b256 s[12:19], s[0:1], 0x58
	s_lshl_b32 s0, ttmp7, 6
	v_and_b32_e32 v14, 3, v0
	v_lshl_add_u32 v1, v3, 4, v12
	s_and_b32 s38, s0, 0x3fffc0
	s_mov_b32 s34, ttmp9
	v_add_nc_u32_e32 v20, s38, v3
	v_lshlrev_b32_e32 v2, 1, v14
	v_lshrrev_b32_e32 v0, 2, v1
	v_lshrrev_b32_e32 v23, 6, v1
	s_ashr_i32 s35, ttmp9, 31
	v_lshl_add_u32 v19, v3, 3, 0x200
	s_lshl_b64 s[0:1], s[34:35], 6
	v_lshl_or_b32 v2, v0, 3, v2
	s_mov_b32 s3, 0
	s_wait_kmcnt 0x0
	v_mad_co_u64_u32 v[4:5], null, v20, s20, 0
	s_delay_alu instid0(VALU_DEP_2) | instskip(SKIP_3) | instid1(VALU_DEP_4)
	v_add_nc_u32_e32 v17, 0x200, v2
	v_mad_co_u64_u32 v[10:11], null, s6, v23, s[0:1]
	v_dual_mov_b32 v1, 0 :: v_dual_and_b32 v22, 63, v1
	s_cmp_eq_f16 s33, 0
	v_mov_b32_e32 v2, v5
	v_lshlrev_b32_e32 v18, 1, v12
	v_add_co_u32 v12, s0, s0, v12
	s_cselect_b32 s34, -1, 0
	v_mad_co_u64_u32 v[2:3], null, v20, s21, v[2:3]
	v_dual_mov_b32 v3, v11 :: v_dual_lshlrev_b32 v6, 1, v22
	s_wait_alu 0xf1ff
	v_add_co_ci_u32_e64 v13, null, s1, 0, s0
	s_lshl_b64 s[0:1], s[26:27], 1
	s_lshl_b64 s[36:37], s[20:21], 4
	v_mov_b32_e32 v5, v2
	v_mad_co_u64_u32 v[8:9], null, s24, v14, v[0:1]
	v_lshl_or_b32 v16, v23, 7, v6
	v_mad_co_u64_u32 v[6:7], null, v20, s14, 0
	s_lshl_b64 s[20:21], s[14:15], 4
	s_lshl_b64 s[16:17], s[16:17], 1
	s_wait_alu 0xfffe
	s_lshl_b64 s[20:21], s[20:21], 1
	v_mov_b32_e32 v0, v9
	v_mov_b32_e32 v2, v7
	v_add_co_u32 v7, vcc_lo, v8, s38
	s_delay_alu instid0(VALU_DEP_3) | instskip(NEXT) | instid1(VALU_DEP_3)
	v_mad_co_u64_u32 v[14:15], null, s25, v14, v[0:1]
	v_mad_co_u64_u32 v[20:21], null, v20, s15, v[2:3]
	v_mad_co_u64_u32 v[2:3], null, s7, v23, v[3:4]
	v_lshlrev_b64_e32 v[4:5], 1, v[4:5]
	s_lshl_b64 s[14:15], s[24:25], 3
	s_delay_alu instid0(VALU_DEP_4) | instskip(SKIP_2) | instid1(VALU_DEP_4)
	v_add_co_ci_u32_e64 v8, null, 0, v14, vcc_lo
	v_add_co_u32 v9, vcc_lo, v10, v22
	s_wait_alu 0xfffd
	v_add_co_ci_u32_e64 v10, null, 0, v2, vcc_lo
	s_delay_alu instid0(VALU_DEP_3) | instskip(SKIP_2) | instid1(VALU_DEP_3)
	v_lshlrev_b64_e32 v[2:3], 1, v[7:8]
	v_mov_b32_e32 v7, v20
	s_lshl_b64 s[6:7], s[6:7], 3
	v_lshlrev_b64_e32 v[8:9], 1, v[9:10]
	s_delay_alu instid0(VALU_DEP_3)
	v_add_co_u32 v0, vcc_lo, s0, v2
	s_wait_alu 0xfffd
	v_add_co_ci_u32_e64 v20, null, s1, v3, vcc_lo
	s_lshl_b64 s[0:1], s[8:9], 1
	v_lshlrev_b64_e32 v[2:3], 1, v[6:7]
	s_wait_alu 0xfffe
	v_add_co_u32 v21, vcc_lo, s0, v8
	v_cmp_gt_i64_e64 s0, s[28:29], 0
	v_lshlrev_b64_e32 v[6:7], 1, v[12:13]
	s_wait_alu 0xfffd
	v_add_co_ci_u32_e64 v22, null, s1, v9, vcc_lo
	s_lshl_b64 s[8:9], s[22:23], 1
	s_lshl_b64 s[22:23], s[36:37], 1
	s_wait_alu 0xf1ff
	v_cndmask_b32_e64 v8, 0, 1, s0
	s_delay_alu instid0(VALU_DEP_1)
	v_cmp_ne_u32_e64 s0, 1, v8
	s_branch .LBB154_3
.LBB154_2:                              ;   in Loop: Header=BB154_3 Depth=1
	s_add_co_i32 s2, s2, 0x10000
	s_delay_alu instid0(SALU_CYCLE_1)
	s_cmp_lt_i32 s2, s31
	s_cbranch_scc0 .LBB154_11
.LBB154_3:                              ; =>This Loop Header: Depth=1
                                        ;     Child Loop BB154_5 Depth 2
	s_lshl_b64 s[24:25], s[2:3], 3
	s_delay_alu instid0(VALU_DEP_1)
	s_and_b32 vcc_lo, exec_lo, s0
	s_wait_alu 0xfffe
	s_add_nc_u64 s[26:27], s[12:13], s[24:25]
	s_add_nc_u64 s[36:37], s[18:19], s[24:25]
	s_clause 0x1
	global_load_b64 v[8:9], v1, s[26:27]
	global_load_b64 v[10:11], v1, s[36:37]
	s_cbranch_vccnz .LBB154_6
; %bb.4:                                ;   in Loop: Header=BB154_3 Depth=1
	s_add_nc_u64 s[26:27], s[10:11], s[24:25]
	s_add_nc_u64 s[24:25], s[4:5], s[24:25]
	s_clause 0x1
	global_load_b64 v[12:13], v1, s[26:27]
	global_load_b64 v[14:15], v1, s[24:25]
	v_dual_mov_b32 v23, 0 :: v_dual_mov_b32 v24, 0
	v_dual_mov_b32 v25, 0 :: v_dual_mov_b32 v26, 0
	;; [unrolled: 1-line block ×4, first 2 shown]
	s_mov_b64 s[24:25], 0
	s_wait_loadcnt 0x1
	v_add_co_u32 v12, vcc_lo, v12, v0
	s_wait_alu 0xfffd
	v_add_co_ci_u32_e64 v13, null, v13, v20, vcc_lo
	s_wait_loadcnt 0x0
	v_add_co_u32 v14, vcc_lo, v14, v21
	s_wait_alu 0xfffd
	v_add_co_ci_u32_e64 v15, null, v15, v22, vcc_lo
.LBB154_5:                              ;   Parent Loop BB154_3 Depth=1
                                        ; =>  This Inner Loop Header: Depth=2
	flat_load_u16 v31, v[14:15]
	s_wait_alu 0xfffe
	s_add_nc_u64 s[24:25], s[24:25], 4
	v_add_co_u32 v14, vcc_lo, v14, s6
	s_wait_alu 0xfffe
	v_cmp_lt_i64_e64 s1, s[24:25], s[28:29]
	s_wait_alu 0xfffd
	v_add_co_ci_u32_e64 v15, null, s7, v15, vcc_lo
	s_and_b32 vcc_lo, exec_lo, s1
	s_wait_loadcnt_dscnt 0x0
	ds_store_b16 v16, v31
	flat_load_u16 v31, v[12:13]
	v_add_co_u32 v12, s1, v12, s14
	s_wait_alu 0xf1ff
	v_add_co_ci_u32_e64 v13, null, s15, v13, s1
	s_wait_loadcnt_dscnt 0x0
	ds_store_b16 v17, v31
	s_wait_dscnt 0x0
	s_barrier_signal -1
	s_barrier_wait -1
	global_inv scope:SCOPE_SE
	ds_load_u16 v39, v18 offset:32
	ds_load_u16 v40, v18 offset:96
	;; [unrolled: 1-line block ×8, first 2 shown]
	ds_load_2addr_b64 v[31:34], v19 offset1:16
	ds_load_2addr_b64 v[35:38], v19 offset0:32 offset1:48
	s_wait_dscnt 0x9
	ds_load_u16_d16_hi v39, v18
	s_wait_dscnt 0x9
	ds_load_u16_d16_hi v40, v18 offset:64
	s_wait_dscnt 0x9
	ds_load_u16_d16_hi v41, v18 offset:128
	s_wait_dscnt 0x9
	ds_load_u16_d16_hi v42, v18 offset:192
	s_wait_dscnt 0x9
	ds_load_u16_d16_hi v43, v18 offset:256
	s_wait_dscnt 0x9
	ds_load_u16_d16_hi v44, v18 offset:320
	s_wait_dscnt 0x9
	ds_load_u16_d16_hi v45, v18 offset:384
	s_wait_dscnt 0x9
	ds_load_u16_d16_hi v46, v18 offset:448
	s_wait_loadcnt_dscnt 0x0
	s_barrier_signal -1
	s_barrier_wait -1
	global_inv scope:SCOPE_SE
	v_pk_fma_f16 v30, v39, v31, v30 op_sel_hi:[1,0,1]
	v_pk_fma_f16 v29, v40, v31, v29 op_sel_hi:[1,0,1]
	;; [unrolled: 1-line block ×8, first 2 shown]
	v_pk_fma_f16 v30, v41, v31, v30 op_sel:[0,1,0]
	v_pk_fma_f16 v29, v42, v31, v29 op_sel:[0,1,0]
	;; [unrolled: 1-line block ×8, first 2 shown]
	v_pk_fma_f16 v30, v43, v32, v30 op_sel_hi:[1,0,1]
	v_pk_fma_f16 v29, v44, v32, v29 op_sel_hi:[1,0,1]
	;; [unrolled: 1-line block ×8, first 2 shown]
	v_pk_fma_f16 v30, v45, v32, v30 op_sel:[0,1,0]
	v_pk_fma_f16 v29, v46, v32, v29 op_sel:[0,1,0]
	;; [unrolled: 1-line block ×8, first 2 shown]
	s_wait_alu 0xfffe
	s_cbranch_vccnz .LBB154_5
	s_branch .LBB154_7
.LBB154_6:                              ;   in Loop: Header=BB154_3 Depth=1
	v_dual_mov_b32 v30, 0 :: v_dual_mov_b32 v29, 0
	v_dual_mov_b32 v28, 0 :: v_dual_mov_b32 v27, 0
	;; [unrolled: 1-line block ×4, first 2 shown]
.LBB154_7:                              ;   in Loop: Header=BB154_3 Depth=1
	s_wait_loadcnt 0x0
	v_add_co_u32 v33, vcc_lo, v10, s8
	s_wait_alu 0xfffd
	v_add_co_ci_u32_e64 v34, null, s9, v11, vcc_lo
	v_lshrrev_b32_e32 v32, 16, v30
	v_lshrrev_b32_e32 v31, 16, v29
	;; [unrolled: 1-line block ×8, first 2 shown]
	s_and_not1_b32 vcc_lo, exec_lo, s34
	s_wait_alu 0xfffe
	s_cbranch_vccnz .LBB154_9
; %bb.8:                                ;   in Loop: Header=BB154_3 Depth=1
	v_add_co_u32 v37, vcc_lo, v33, v4
	s_wait_alu 0xfffd
	v_add_co_ci_u32_e64 v38, null, v34, v5, vcc_lo
	v_mul_f16_e32 v39, s30, v32
	s_delay_alu instid0(VALU_DEP_3) | instskip(SKIP_1) | instid1(VALU_DEP_3)
	v_add_co_u32 v35, vcc_lo, v37, v6
	s_wait_alu 0xfffd
	v_add_co_ci_u32_e64 v36, null, v38, v7, vcc_lo
	v_add_co_u32 v37, vcc_lo, v37, s22
	v_mul_f16_e32 v40, s30, v30
	v_mul_f16_e32 v41, s30, v31
	s_wait_alu 0xfffd
	v_add_co_ci_u32_e64 v38, null, s23, v38, vcc_lo
	v_mul_f16_e32 v42, s30, v29
	s_clause 0x3
	flat_store_b16 v[35:36], v39
	flat_store_b16 v[35:36], v40 offset:32
	flat_store_b16 v[35:36], v41 offset:64
	;; [unrolled: 1-line block ×3, first 2 shown]
	v_add_co_u32 v35, vcc_lo, v37, v6
	s_wait_alu 0xfffd
	v_add_co_ci_u32_e64 v36, null, v38, v7, vcc_lo
	v_add_co_u32 v43, vcc_lo, v37, s22
	s_wait_alu 0xfffd
	v_add_co_ci_u32_e64 v44, null, s23, v38, vcc_lo
	v_mul_f16_e32 v39, s30, v15
	v_mul_f16_e32 v40, s30, v28
	;; [unrolled: 1-line block ×3, first 2 shown]
	v_add_co_u32 v37, vcc_lo, v43, v6
	v_mul_f16_e32 v42, s30, v27
	v_mul_f16_e32 v45, s30, v13
	s_wait_alu 0xfffd
	v_add_co_ci_u32_e64 v38, null, v44, v7, vcc_lo
	v_mul_f16_e32 v46, s30, v26
	v_mul_f16_e32 v47, s30, v12
	;; [unrolled: 1-line block ×3, first 2 shown]
	s_clause 0x7
	flat_store_b16 v[35:36], v39
	flat_store_b16 v[35:36], v40 offset:32
	flat_store_b16 v[35:36], v41 offset:64
	;; [unrolled: 1-line block ×3, first 2 shown]
	flat_store_b16 v[37:38], v45
	flat_store_b16 v[37:38], v46 offset:32
	flat_store_b16 v[37:38], v47 offset:64
	;; [unrolled: 1-line block ×3, first 2 shown]
	v_add_co_u32 v35, vcc_lo, v43, s22
	s_wait_alu 0xfffd
	v_add_co_ci_u32_e64 v36, null, s23, v44, vcc_lo
	v_mul_f16_e32 v37, s30, v11
	s_delay_alu instid0(VALU_DEP_3) | instskip(SKIP_1) | instid1(VALU_DEP_3)
	v_add_co_u32 v35, vcc_lo, v35, v6
	s_wait_alu 0xfffd
	v_add_co_ci_u32_e64 v36, null, v36, v7, vcc_lo
	v_mul_f16_e32 v38, s30, v24
	v_mul_f16_e32 v39, s30, v10
	;; [unrolled: 1-line block ×3, first 2 shown]
	s_clause 0x3
	flat_store_b16 v[35:36], v37
	flat_store_b16 v[35:36], v38 offset:32
	flat_store_b16 v[35:36], v39 offset:64
	;; [unrolled: 1-line block ×3, first 2 shown]
	s_cbranch_execnz .LBB154_2
	s_branch .LBB154_10
.LBB154_9:                              ;   in Loop: Header=BB154_3 Depth=1
.LBB154_10:                             ;   in Loop: Header=BB154_3 Depth=1
	v_add_co_u32 v8, vcc_lo, v8, s16
	s_wait_alu 0xfffd
	v_add_co_ci_u32_e64 v9, null, s17, v9, vcc_lo
	s_delay_alu instid0(VALU_DEP_2) | instskip(SKIP_1) | instid1(VALU_DEP_2)
	v_add_co_u32 v35, vcc_lo, v8, v2
	s_wait_alu 0xfffd
	v_add_co_ci_u32_e64 v36, null, v9, v3, vcc_lo
	s_delay_alu instid0(VALU_DEP_2) | instskip(SKIP_1) | instid1(VALU_DEP_2)
	v_add_co_u32 v8, vcc_lo, v35, v6
	s_wait_alu 0xfffd
	v_add_co_ci_u32_e64 v9, null, v36, v7, vcc_lo
	v_add_co_u32 v38, vcc_lo, v33, v4
	s_wait_alu 0xfffd
	v_add_co_ci_u32_e64 v39, null, v34, v5, vcc_lo
	flat_load_u16 v37, v[8:9]
	v_add_co_u32 v33, vcc_lo, v38, v6
	s_wait_alu 0xfffd
	v_add_co_ci_u32_e64 v34, null, v39, v7, vcc_lo
	s_wait_loadcnt_dscnt 0x0
	v_mul_f16_e32 v37, s33, v37
	s_delay_alu instid0(VALU_DEP_1) | instskip(SKIP_4) | instid1(VALU_DEP_1)
	v_fmac_f16_e32 v37, s30, v32
	flat_store_b16 v[33:34], v37
	flat_load_u16 v32, v[8:9] offset:32
	s_wait_loadcnt_dscnt 0x0
	v_mul_f16_e32 v32, s33, v32
	v_fmac_f16_e32 v32, s30, v30
	flat_store_b16 v[33:34], v32 offset:32
	flat_load_u16 v30, v[8:9] offset:64
	s_wait_loadcnt_dscnt 0x0
	v_mul_f16_e32 v30, s33, v30
	s_delay_alu instid0(VALU_DEP_1)
	v_fmac_f16_e32 v30, s30, v31
	v_add_co_u32 v31, vcc_lo, v35, s20
	s_wait_alu 0xfffd
	v_add_co_ci_u32_e64 v32, null, s21, v36, vcc_lo
	flat_store_b16 v[33:34], v30 offset:64
	flat_load_u16 v8, v[8:9] offset:96
	s_wait_loadcnt_dscnt 0x0
	v_mul_f16_e32 v30, s33, v8
	v_add_co_u32 v8, vcc_lo, v31, v6
	s_wait_alu 0xfffd
	v_add_co_ci_u32_e64 v9, null, v32, v7, vcc_lo
	s_delay_alu instid0(VALU_DEP_3)
	v_fmac_f16_e32 v30, s30, v29
	flat_store_b16 v[33:34], v30 offset:96
	flat_load_u16 v29, v[8:9]
	v_add_co_u32 v33, vcc_lo, v38, s22
	s_wait_alu 0xfffd
	v_add_co_ci_u32_e64 v34, null, s23, v39, vcc_lo
	s_wait_loadcnt_dscnt 0x0
	v_mul_f16_e32 v35, s33, v29
	v_add_co_u32 v29, vcc_lo, v33, v6
	s_wait_alu 0xfffd
	v_add_co_ci_u32_e64 v30, null, v34, v7, vcc_lo
	s_delay_alu instid0(VALU_DEP_3) | instskip(SKIP_4) | instid1(VALU_DEP_1)
	v_fmac_f16_e32 v35, s30, v15
	flat_store_b16 v[29:30], v35
	flat_load_u16 v15, v[8:9] offset:32
	s_wait_loadcnt_dscnt 0x0
	v_mul_f16_e32 v15, s33, v15
	v_fmac_f16_e32 v15, s30, v28
	v_add_co_u32 v28, vcc_lo, v31, s20
	s_wait_alu 0xfffd
	v_add_co_ci_u32_e64 v31, null, s21, v32, vcc_lo
	flat_store_b16 v[29:30], v15 offset:32
	flat_load_u16 v15, v[8:9] offset:64
	s_wait_loadcnt_dscnt 0x0
	v_mul_f16_e32 v15, s33, v15
	s_delay_alu instid0(VALU_DEP_1)
	v_fmac_f16_e32 v15, s30, v14
	flat_store_b16 v[29:30], v15 offset:64
	flat_load_u16 v8, v[8:9] offset:96
	s_wait_loadcnt_dscnt 0x0
	v_mul_f16_e32 v14, s33, v8
	v_add_co_u32 v8, vcc_lo, v28, v6
	s_wait_alu 0xfffd
	v_add_co_ci_u32_e64 v9, null, v31, v7, vcc_lo
	s_delay_alu instid0(VALU_DEP_3)
	v_fmac_f16_e32 v14, s30, v27
	v_add_co_u32 v27, vcc_lo, v33, s22
	flat_store_b16 v[29:30], v14 offset:96
	flat_load_u16 v14, v[8:9]
	s_wait_alu 0xfffd
	v_add_co_ci_u32_e64 v29, null, s23, v34, vcc_lo
	s_wait_loadcnt_dscnt 0x0
	v_mul_f16_e32 v30, s33, v14
	v_add_co_u32 v14, vcc_lo, v27, v6
	s_wait_alu 0xfffd
	v_add_co_ci_u32_e64 v15, null, v29, v7, vcc_lo
	s_delay_alu instid0(VALU_DEP_3) | instskip(SKIP_4) | instid1(VALU_DEP_1)
	v_fmac_f16_e32 v30, s30, v13
	flat_store_b16 v[14:15], v30
	flat_load_u16 v13, v[8:9] offset:32
	s_wait_loadcnt_dscnt 0x0
	v_mul_f16_e32 v13, s33, v13
	v_fmac_f16_e32 v13, s30, v26
	flat_store_b16 v[14:15], v13 offset:32
	flat_load_u16 v13, v[8:9] offset:64
	s_wait_loadcnt_dscnt 0x0
	v_mul_f16_e32 v13, s33, v13
	s_delay_alu instid0(VALU_DEP_1)
	v_fmac_f16_e32 v13, s30, v12
	flat_store_b16 v[14:15], v13 offset:64
	flat_load_u16 v8, v[8:9] offset:96
	s_wait_loadcnt_dscnt 0x0
	v_mul_f16_e32 v12, s33, v8
	v_add_co_u32 v8, vcc_lo, v28, s20
	s_wait_alu 0xfffd
	v_add_co_ci_u32_e64 v9, null, s21, v31, vcc_lo
	s_delay_alu instid0(VALU_DEP_3) | instskip(NEXT) | instid1(VALU_DEP_3)
	v_fmac_f16_e32 v12, s30, v25
	v_add_co_u32 v8, vcc_lo, v8, v6
	s_wait_alu 0xfffd
	s_delay_alu instid0(VALU_DEP_3)
	v_add_co_ci_u32_e64 v9, null, v9, v7, vcc_lo
	flat_store_b16 v[14:15], v12 offset:96
	flat_load_u16 v12, v[8:9]
	s_wait_loadcnt_dscnt 0x0
	v_mul_f16_e32 v13, s33, v12
	v_add_co_u32 v12, vcc_lo, v27, s22
	s_wait_alu 0xfffd
	v_add_co_ci_u32_e64 v14, null, s23, v29, vcc_lo
	s_delay_alu instid0(VALU_DEP_3) | instskip(NEXT) | instid1(VALU_DEP_3)
	v_fmac_f16_e32 v13, s30, v11
	v_add_co_u32 v11, vcc_lo, v12, v6
	s_wait_alu 0xfffd
	s_delay_alu instid0(VALU_DEP_3) | instskip(SKIP_4) | instid1(VALU_DEP_1)
	v_add_co_ci_u32_e64 v12, null, v14, v7, vcc_lo
	flat_store_b16 v[11:12], v13
	flat_load_u16 v13, v[8:9] offset:32
	s_wait_loadcnt_dscnt 0x0
	v_mul_f16_e32 v13, s33, v13
	v_fmac_f16_e32 v13, s30, v24
	flat_store_b16 v[11:12], v13 offset:32
	flat_load_u16 v13, v[8:9] offset:64
	s_wait_loadcnt_dscnt 0x0
	v_mul_f16_e32 v13, s33, v13
	s_delay_alu instid0(VALU_DEP_1) | instskip(SKIP_4) | instid1(VALU_DEP_1)
	v_fmac_f16_e32 v13, s30, v10
	flat_store_b16 v[11:12], v13 offset:64
	flat_load_u16 v8, v[8:9] offset:96
	s_wait_loadcnt_dscnt 0x0
	v_mul_f16_e32 v8, s33, v8
	v_fmac_f16_e32 v8, s30, v23
	flat_store_b16 v[11:12], v8 offset:96
	s_branch .LBB154_2
.LBB154_11:
	s_endpgm
	.section	.rodata,"a",@progbits
	.p2align	6, 0x0
	.amdhsa_kernel _ZN12_GLOBAL__N_127rocblas_gemm_batched_kernelIDF16_Li16ELi16ELi64ELi64ELi4ELi64ELi4ELi4ELi64ELc78ELc67EKPKDF16_S3_KPDF16_EEvlllT_PT11_llS8_llS6_PT12_llPT13_lli
		.amdhsa_group_segment_fixed_size 1024
		.amdhsa_private_segment_fixed_size 0
		.amdhsa_kernarg_size 140
		.amdhsa_user_sgpr_count 2
		.amdhsa_user_sgpr_dispatch_ptr 0
		.amdhsa_user_sgpr_queue_ptr 0
		.amdhsa_user_sgpr_kernarg_segment_ptr 1
		.amdhsa_user_sgpr_dispatch_id 0
		.amdhsa_user_sgpr_private_segment_size 0
		.amdhsa_wavefront_size32 1
		.amdhsa_uses_dynamic_stack 0
		.amdhsa_enable_private_segment 0
		.amdhsa_system_sgpr_workgroup_id_x 1
		.amdhsa_system_sgpr_workgroup_id_y 1
		.amdhsa_system_sgpr_workgroup_id_z 1
		.amdhsa_system_sgpr_workgroup_info 0
		.amdhsa_system_vgpr_workitem_id 1
		.amdhsa_next_free_vgpr 49
		.amdhsa_next_free_sgpr 39
		.amdhsa_reserve_vcc 1
		.amdhsa_float_round_mode_32 0
		.amdhsa_float_round_mode_16_64 0
		.amdhsa_float_denorm_mode_32 3
		.amdhsa_float_denorm_mode_16_64 3
		.amdhsa_fp16_overflow 0
		.amdhsa_workgroup_processor_mode 1
		.amdhsa_memory_ordered 1
		.amdhsa_forward_progress 1
		.amdhsa_inst_pref_size 23
		.amdhsa_round_robin_scheduling 0
		.amdhsa_exception_fp_ieee_invalid_op 0
		.amdhsa_exception_fp_denorm_src 0
		.amdhsa_exception_fp_ieee_div_zero 0
		.amdhsa_exception_fp_ieee_overflow 0
		.amdhsa_exception_fp_ieee_underflow 0
		.amdhsa_exception_fp_ieee_inexact 0
		.amdhsa_exception_int_div_zero 0
	.end_amdhsa_kernel
	.section	.text._ZN12_GLOBAL__N_127rocblas_gemm_batched_kernelIDF16_Li16ELi16ELi64ELi64ELi4ELi64ELi4ELi4ELi64ELc78ELc67EKPKDF16_S3_KPDF16_EEvlllT_PT11_llS8_llS6_PT12_llPT13_lli,"axG",@progbits,_ZN12_GLOBAL__N_127rocblas_gemm_batched_kernelIDF16_Li16ELi16ELi64ELi64ELi4ELi64ELi4ELi4ELi64ELc78ELc67EKPKDF16_S3_KPDF16_EEvlllT_PT11_llS8_llS6_PT12_llPT13_lli,comdat
.Lfunc_end154:
	.size	_ZN12_GLOBAL__N_127rocblas_gemm_batched_kernelIDF16_Li16ELi16ELi64ELi64ELi4ELi64ELi4ELi4ELi64ELc78ELc67EKPKDF16_S3_KPDF16_EEvlllT_PT11_llS8_llS6_PT12_llPT13_lli, .Lfunc_end154-_ZN12_GLOBAL__N_127rocblas_gemm_batched_kernelIDF16_Li16ELi16ELi64ELi64ELi4ELi64ELi4ELi4ELi64ELc78ELc67EKPKDF16_S3_KPDF16_EEvlllT_PT11_llS8_llS6_PT12_llPT13_lli
                                        ; -- End function
	.set _ZN12_GLOBAL__N_127rocblas_gemm_batched_kernelIDF16_Li16ELi16ELi64ELi64ELi4ELi64ELi4ELi4ELi64ELc78ELc67EKPKDF16_S3_KPDF16_EEvlllT_PT11_llS8_llS6_PT12_llPT13_lli.num_vgpr, 49
	.set _ZN12_GLOBAL__N_127rocblas_gemm_batched_kernelIDF16_Li16ELi16ELi64ELi64ELi4ELi64ELi4ELi4ELi64ELc78ELc67EKPKDF16_S3_KPDF16_EEvlllT_PT11_llS8_llS6_PT12_llPT13_lli.num_agpr, 0
	.set _ZN12_GLOBAL__N_127rocblas_gemm_batched_kernelIDF16_Li16ELi16ELi64ELi64ELi4ELi64ELi4ELi4ELi64ELc78ELc67EKPKDF16_S3_KPDF16_EEvlllT_PT11_llS8_llS6_PT12_llPT13_lli.numbered_sgpr, 39
	.set _ZN12_GLOBAL__N_127rocblas_gemm_batched_kernelIDF16_Li16ELi16ELi64ELi64ELi4ELi64ELi4ELi4ELi64ELc78ELc67EKPKDF16_S3_KPDF16_EEvlllT_PT11_llS8_llS6_PT12_llPT13_lli.num_named_barrier, 0
	.set _ZN12_GLOBAL__N_127rocblas_gemm_batched_kernelIDF16_Li16ELi16ELi64ELi64ELi4ELi64ELi4ELi4ELi64ELc78ELc67EKPKDF16_S3_KPDF16_EEvlllT_PT11_llS8_llS6_PT12_llPT13_lli.private_seg_size, 0
	.set _ZN12_GLOBAL__N_127rocblas_gemm_batched_kernelIDF16_Li16ELi16ELi64ELi64ELi4ELi64ELi4ELi4ELi64ELc78ELc67EKPKDF16_S3_KPDF16_EEvlllT_PT11_llS8_llS6_PT12_llPT13_lli.uses_vcc, 1
	.set _ZN12_GLOBAL__N_127rocblas_gemm_batched_kernelIDF16_Li16ELi16ELi64ELi64ELi4ELi64ELi4ELi4ELi64ELc78ELc67EKPKDF16_S3_KPDF16_EEvlllT_PT11_llS8_llS6_PT12_llPT13_lli.uses_flat_scratch, 1
	.set _ZN12_GLOBAL__N_127rocblas_gemm_batched_kernelIDF16_Li16ELi16ELi64ELi64ELi4ELi64ELi4ELi4ELi64ELc78ELc67EKPKDF16_S3_KPDF16_EEvlllT_PT11_llS8_llS6_PT12_llPT13_lli.has_dyn_sized_stack, 0
	.set _ZN12_GLOBAL__N_127rocblas_gemm_batched_kernelIDF16_Li16ELi16ELi64ELi64ELi4ELi64ELi4ELi4ELi64ELc78ELc67EKPKDF16_S3_KPDF16_EEvlllT_PT11_llS8_llS6_PT12_llPT13_lli.has_recursion, 0
	.set _ZN12_GLOBAL__N_127rocblas_gemm_batched_kernelIDF16_Li16ELi16ELi64ELi64ELi4ELi64ELi4ELi4ELi64ELc78ELc67EKPKDF16_S3_KPDF16_EEvlllT_PT11_llS8_llS6_PT12_llPT13_lli.has_indirect_call, 0
	.section	.AMDGPU.csdata,"",@progbits
; Kernel info:
; codeLenInByte = 2848
; TotalNumSgprs: 41
; NumVgprs: 49
; ScratchSize: 0
; MemoryBound: 0
; FloatMode: 240
; IeeeMode: 1
; LDSByteSize: 1024 bytes/workgroup (compile time only)
; SGPRBlocks: 0
; VGPRBlocks: 6
; NumSGPRsForWavesPerEU: 41
; NumVGPRsForWavesPerEU: 49
; Occupancy: 16
; WaveLimiterHint : 1
; COMPUTE_PGM_RSRC2:SCRATCH_EN: 0
; COMPUTE_PGM_RSRC2:USER_SGPR: 2
; COMPUTE_PGM_RSRC2:TRAP_HANDLER: 0
; COMPUTE_PGM_RSRC2:TGID_X_EN: 1
; COMPUTE_PGM_RSRC2:TGID_Y_EN: 1
; COMPUTE_PGM_RSRC2:TGID_Z_EN: 1
; COMPUTE_PGM_RSRC2:TIDIG_COMP_CNT: 1
	.section	.text._ZN12_GLOBAL__N_127rocblas_gemm_batched_kernelIDF16_Li16ELi16ELi64ELi64ELi4ELi64ELi4ELi4ELi64ELc84ELc67EKPKDF16_S3_KPDF16_EEvlllT_PT11_llS8_llS6_PT12_llPT13_lli,"axG",@progbits,_ZN12_GLOBAL__N_127rocblas_gemm_batched_kernelIDF16_Li16ELi16ELi64ELi64ELi4ELi64ELi4ELi4ELi64ELc84ELc67EKPKDF16_S3_KPDF16_EEvlllT_PT11_llS8_llS6_PT12_llPT13_lli,comdat
	.globl	_ZN12_GLOBAL__N_127rocblas_gemm_batched_kernelIDF16_Li16ELi16ELi64ELi64ELi4ELi64ELi4ELi4ELi64ELc84ELc67EKPKDF16_S3_KPDF16_EEvlllT_PT11_llS8_llS6_PT12_llPT13_lli ; -- Begin function _ZN12_GLOBAL__N_127rocblas_gemm_batched_kernelIDF16_Li16ELi16ELi64ELi64ELi4ELi64ELi4ELi4ELi64ELc84ELc67EKPKDF16_S3_KPDF16_EEvlllT_PT11_llS8_llS6_PT12_llPT13_lli
	.p2align	8
	.type	_ZN12_GLOBAL__N_127rocblas_gemm_batched_kernelIDF16_Li16ELi16ELi64ELi64ELi4ELi64ELi4ELi4ELi64ELc84ELc67EKPKDF16_S3_KPDF16_EEvlllT_PT11_llS8_llS6_PT12_llPT13_lli,@function
_ZN12_GLOBAL__N_127rocblas_gemm_batched_kernelIDF16_Li16ELi16ELi64ELi64ELi4ELi64ELi4ELi4ELi64ELc84ELc67EKPKDF16_S3_KPDF16_EEvlllT_PT11_llS8_llS6_PT12_llPT13_lli: ; @_ZN12_GLOBAL__N_127rocblas_gemm_batched_kernelIDF16_Li16ELi16ELi64ELi64ELi4ELi64ELi4ELi4ELi64ELc84ELc67EKPKDF16_S3_KPDF16_EEvlllT_PT11_llS8_llS6_PT12_llPT13_lli
; %bb.0:
	s_load_b32 s31, s[0:1], 0x88
	s_lshr_b32 s2, ttmp7, 16
	s_wait_kmcnt 0x0
	s_cmp_ge_i32 s2, s31
	s_cbranch_scc1 .LBB155_11
; %bb.1:
	v_dual_mov_b32 v1, 0 :: v_dual_and_b32 v8, 0x3ff, v0
	v_bfe_u32 v2, v0, 10, 10
	s_clause 0x5
	s_load_b96 s[28:30], s[0:1], 0x10
	s_load_b128 s[24:27], s[0:1], 0x40
	s_load_b32 s33, s[0:1], 0x50
	s_load_b128 s[20:23], s[0:1], 0x78
	s_load_b256 s[4:11], s[0:1], 0x20
	s_load_b256 s[12:19], s[0:1], 0x58
	s_lshl_b32 s0, ttmp7, 6
	s_mov_b32 s34, ttmp9
	v_lshl_add_u32 v3, v2, 4, v8
	s_and_b32 s36, s0, 0x3fffc0
	v_lshl_add_u32 v19, v2, 3, 0x200
	v_add_nc_u32_e32 v14, s36, v2
	s_ashr_i32 s35, ttmp9, 31
	v_and_b32_e32 v12, 63, v3
	v_lshrrev_b32_e32 v15, 6, v3
	s_lshl_b64 s[0:1], s[34:35], 6
	v_lshlrev_b32_e32 v18, 1, v8
	v_add_co_u32 v8, s35, s0, v8
	v_lshlrev_b32_e32 v4, 1, v12
	v_add_co_ci_u32_e64 v9, null, s1, 0, s35
	s_mov_b32 s3, 0
	s_wait_kmcnt 0x0
	s_cmp_eq_f16 s33, 0
	v_lshl_or_b32 v16, v15, 7, v4
	v_mad_co_u64_u32 v[4:5], null, v14, s20, 0
	v_and_b32_e32 v13, 3, v0
	v_lshrrev_b32_e32 v0, 2, v3
	v_mad_co_u64_u32 v[6:7], null, v14, s14, 0
	s_cselect_b32 s34, -1, 0
	v_lshlrev_b32_e32 v3, 1, v13
	s_delay_alu instid0(VALU_DEP_1) | instskip(NEXT) | instid1(VALU_DEP_1)
	v_lshl_or_b32 v3, v0, 3, v3
	v_add_nc_u32_e32 v17, 0x200, v3
	v_mad_co_u64_u32 v[2:3], null, s24, v13, v[0:1]
	v_mov_b32_e32 v0, v5
	v_or_b32_e32 v5, s0, v12
	s_mul_i32 s0, s6, s1
	s_delay_alu instid0(VALU_DEP_2) | instskip(SKIP_3) | instid1(VALU_DEP_3)
	v_mad_co_u64_u32 v[10:11], null, v14, s21, v[0:1]
	v_mov_b32_e32 v0, v7
	v_mad_co_u64_u32 v[11:12], null, s25, v13, v[3:4]
	v_add_co_u32 v2, vcc_lo, v2, s36
	v_mad_co_u64_u32 v[12:13], null, v14, s15, v[0:1]
	v_mul_lo_u32 v0, s7, v5
	v_mad_co_u64_u32 v[13:14], null, s6, v5, 0
	v_add_co_ci_u32_e64 v3, null, 0, v11, vcc_lo
	v_mov_b32_e32 v5, v10
	v_mov_b32_e32 v7, v12
	s_lshl_b64 s[20:21], s[20:21], 4
	s_delay_alu instid0(VALU_DEP_3)
	v_lshlrev_b64_e32 v[2:3], 1, v[2:3]
	s_wait_alu 0xfffe
	v_add3_u32 v14, v14, s0, v0
	s_lshl_b64 s[0:1], s[26:27], 1
	v_lshlrev_b64_e32 v[4:5], 1, v[4:5]
	s_lshl_b64 s[36:37], s[14:15], 4
	s_lshl_b64 s[6:7], s[24:25], 3
	v_lshlrev_b64_e32 v[10:11], 1, v[13:14]
	s_wait_alu 0xfffe
	v_add_co_u32 v0, vcc_lo, s0, v2
	s_wait_alu 0xfffd
	v_add_co_ci_u32_e64 v20, null, s1, v3, vcc_lo
	s_lshl_b64 s[0:1], s[8:9], 1
	v_lshlrev_b32_e32 v2, 1, v15
	s_wait_alu 0xfffe
	v_add_co_u32 v3, vcc_lo, v10, s0
	v_cmp_gt_i64_e64 s0, s[28:29], 0
	s_wait_alu 0xfffd
	v_add_co_ci_u32_e64 v10, null, s1, v11, vcc_lo
	s_delay_alu instid0(VALU_DEP_3)
	v_add_co_u32 v21, vcc_lo, v3, v2
	v_lshlrev_b64_e32 v[2:3], 1, v[6:7]
	s_wait_alu 0xf1ff
	v_cndmask_b32_e64 v11, 0, 1, s0
	v_lshlrev_b64_e32 v[6:7], 1, v[8:9]
	s_wait_alu 0xfffd
	v_add_co_ci_u32_e64 v22, null, 0, v10, vcc_lo
	s_lshl_b64 s[8:9], s[22:23], 1
	v_cmp_ne_u32_e64 s0, 1, v11
	s_lshl_b64 s[14:15], s[16:17], 1
	s_lshl_b64 s[16:17], s[36:37], 1
	;; [unrolled: 1-line block ×3, first 2 shown]
	s_branch .LBB155_3
.LBB155_2:                              ;   in Loop: Header=BB155_3 Depth=1
	s_add_co_i32 s2, s2, 0x10000
	s_delay_alu instid0(SALU_CYCLE_1)
	s_cmp_lt_i32 s2, s31
	s_cbranch_scc0 .LBB155_11
.LBB155_3:                              ; =>This Loop Header: Depth=1
                                        ;     Child Loop BB155_5 Depth 2
	s_lshl_b64 s[22:23], s[2:3], 3
	s_and_b32 vcc_lo, exec_lo, s0
	s_wait_alu 0xfffe
	s_add_nc_u64 s[24:25], s[12:13], s[22:23]
	s_add_nc_u64 s[26:27], s[18:19], s[22:23]
	s_clause 0x1
	global_load_b64 v[8:9], v1, s[24:25]
	global_load_b64 v[10:11], v1, s[26:27]
	s_cbranch_vccnz .LBB155_6
; %bb.4:                                ;   in Loop: Header=BB155_3 Depth=1
	s_add_nc_u64 s[24:25], s[10:11], s[22:23]
	s_add_nc_u64 s[22:23], s[4:5], s[22:23]
	s_clause 0x1
	global_load_b64 v[12:13], v1, s[24:25]
	global_load_b64 v[14:15], v1, s[22:23]
	v_dual_mov_b32 v23, 0 :: v_dual_mov_b32 v24, 0
	v_dual_mov_b32 v25, 0 :: v_dual_mov_b32 v26, 0
	;; [unrolled: 1-line block ×4, first 2 shown]
	s_mov_b64 s[22:23], 0
	s_wait_loadcnt 0x1
	v_add_co_u32 v12, vcc_lo, v12, v0
	s_wait_alu 0xfffd
	v_add_co_ci_u32_e64 v13, null, v13, v20, vcc_lo
	s_wait_loadcnt 0x0
	v_add_co_u32 v14, vcc_lo, v14, v21
	s_wait_alu 0xfffd
	v_add_co_ci_u32_e64 v15, null, v15, v22, vcc_lo
.LBB155_5:                              ;   Parent Loop BB155_3 Depth=1
                                        ; =>  This Inner Loop Header: Depth=2
	flat_load_u16 v31, v[14:15]
	s_wait_alu 0xfffe
	s_add_nc_u64 s[22:23], s[22:23], 4
	v_add_co_u32 v14, vcc_lo, v14, 8
	s_wait_alu 0xfffe
	v_cmp_lt_i64_e64 s1, s[22:23], s[28:29]
	s_wait_alu 0xfffd
	v_add_co_ci_u32_e64 v15, null, 0, v15, vcc_lo
	s_and_b32 vcc_lo, exec_lo, s1
	s_wait_loadcnt_dscnt 0x0
	ds_store_b16 v16, v31
	flat_load_u16 v31, v[12:13]
	v_add_co_u32 v12, s1, v12, s6
	s_wait_alu 0xf1ff
	v_add_co_ci_u32_e64 v13, null, s7, v13, s1
	s_wait_loadcnt_dscnt 0x0
	ds_store_b16 v17, v31
	s_wait_dscnt 0x0
	s_barrier_signal -1
	s_barrier_wait -1
	global_inv scope:SCOPE_SE
	ds_load_u16 v39, v18 offset:32
	ds_load_u16 v40, v18 offset:96
	;; [unrolled: 1-line block ×8, first 2 shown]
	ds_load_2addr_b64 v[31:34], v19 offset1:16
	ds_load_2addr_b64 v[35:38], v19 offset0:32 offset1:48
	s_wait_dscnt 0x9
	ds_load_u16_d16_hi v39, v18
	s_wait_dscnt 0x9
	ds_load_u16_d16_hi v40, v18 offset:64
	s_wait_dscnt 0x9
	ds_load_u16_d16_hi v41, v18 offset:128
	;; [unrolled: 2-line block ×7, first 2 shown]
	s_wait_loadcnt_dscnt 0x0
	s_barrier_signal -1
	s_barrier_wait -1
	global_inv scope:SCOPE_SE
	v_pk_fma_f16 v30, v39, v31, v30 op_sel_hi:[1,0,1]
	v_pk_fma_f16 v29, v40, v31, v29 op_sel_hi:[1,0,1]
	;; [unrolled: 1-line block ×8, first 2 shown]
	v_pk_fma_f16 v30, v41, v31, v30 op_sel:[0,1,0]
	v_pk_fma_f16 v29, v42, v31, v29 op_sel:[0,1,0]
	;; [unrolled: 1-line block ×8, first 2 shown]
	v_pk_fma_f16 v30, v43, v32, v30 op_sel_hi:[1,0,1]
	v_pk_fma_f16 v29, v44, v32, v29 op_sel_hi:[1,0,1]
	;; [unrolled: 1-line block ×8, first 2 shown]
	v_pk_fma_f16 v30, v45, v32, v30 op_sel:[0,1,0]
	v_pk_fma_f16 v29, v46, v32, v29 op_sel:[0,1,0]
	;; [unrolled: 1-line block ×8, first 2 shown]
	s_wait_alu 0xfffe
	s_cbranch_vccnz .LBB155_5
	s_branch .LBB155_7
.LBB155_6:                              ;   in Loop: Header=BB155_3 Depth=1
	v_dual_mov_b32 v30, 0 :: v_dual_mov_b32 v29, 0
	v_dual_mov_b32 v28, 0 :: v_dual_mov_b32 v27, 0
	;; [unrolled: 1-line block ×4, first 2 shown]
.LBB155_7:                              ;   in Loop: Header=BB155_3 Depth=1
	s_wait_loadcnt 0x0
	v_add_co_u32 v33, vcc_lo, v10, s8
	s_wait_alu 0xfffd
	v_add_co_ci_u32_e64 v34, null, s9, v11, vcc_lo
	v_lshrrev_b32_e32 v32, 16, v30
	v_lshrrev_b32_e32 v31, 16, v29
	;; [unrolled: 1-line block ×8, first 2 shown]
	s_and_not1_b32 vcc_lo, exec_lo, s34
	s_wait_alu 0xfffe
	s_cbranch_vccnz .LBB155_9
; %bb.8:                                ;   in Loop: Header=BB155_3 Depth=1
	v_add_co_u32 v37, vcc_lo, v33, v4
	s_wait_alu 0xfffd
	v_add_co_ci_u32_e64 v38, null, v34, v5, vcc_lo
	v_mul_f16_e32 v39, s30, v32
	s_delay_alu instid0(VALU_DEP_3) | instskip(SKIP_1) | instid1(VALU_DEP_3)
	v_add_co_u32 v35, vcc_lo, v37, v6
	s_wait_alu 0xfffd
	v_add_co_ci_u32_e64 v36, null, v38, v7, vcc_lo
	v_add_co_u32 v37, vcc_lo, v37, s20
	v_mul_f16_e32 v40, s30, v30
	v_mul_f16_e32 v41, s30, v31
	s_wait_alu 0xfffd
	v_add_co_ci_u32_e64 v38, null, s21, v38, vcc_lo
	v_mul_f16_e32 v42, s30, v29
	s_clause 0x3
	flat_store_b16 v[35:36], v39
	flat_store_b16 v[35:36], v40 offset:32
	flat_store_b16 v[35:36], v41 offset:64
	;; [unrolled: 1-line block ×3, first 2 shown]
	v_add_co_u32 v35, vcc_lo, v37, v6
	s_wait_alu 0xfffd
	v_add_co_ci_u32_e64 v36, null, v38, v7, vcc_lo
	v_add_co_u32 v43, vcc_lo, v37, s20
	s_wait_alu 0xfffd
	v_add_co_ci_u32_e64 v44, null, s21, v38, vcc_lo
	v_mul_f16_e32 v39, s30, v15
	v_mul_f16_e32 v40, s30, v28
	;; [unrolled: 1-line block ×3, first 2 shown]
	v_add_co_u32 v37, vcc_lo, v43, v6
	v_mul_f16_e32 v42, s30, v27
	v_mul_f16_e32 v45, s30, v13
	s_wait_alu 0xfffd
	v_add_co_ci_u32_e64 v38, null, v44, v7, vcc_lo
	v_mul_f16_e32 v46, s30, v26
	v_mul_f16_e32 v47, s30, v12
	;; [unrolled: 1-line block ×3, first 2 shown]
	s_clause 0x7
	flat_store_b16 v[35:36], v39
	flat_store_b16 v[35:36], v40 offset:32
	flat_store_b16 v[35:36], v41 offset:64
	;; [unrolled: 1-line block ×3, first 2 shown]
	flat_store_b16 v[37:38], v45
	flat_store_b16 v[37:38], v46 offset:32
	flat_store_b16 v[37:38], v47 offset:64
	;; [unrolled: 1-line block ×3, first 2 shown]
	v_add_co_u32 v35, vcc_lo, v43, s20
	s_wait_alu 0xfffd
	v_add_co_ci_u32_e64 v36, null, s21, v44, vcc_lo
	v_mul_f16_e32 v37, s30, v11
	s_delay_alu instid0(VALU_DEP_3) | instskip(SKIP_1) | instid1(VALU_DEP_3)
	v_add_co_u32 v35, vcc_lo, v35, v6
	s_wait_alu 0xfffd
	v_add_co_ci_u32_e64 v36, null, v36, v7, vcc_lo
	v_mul_f16_e32 v38, s30, v24
	v_mul_f16_e32 v39, s30, v10
	;; [unrolled: 1-line block ×3, first 2 shown]
	s_clause 0x3
	flat_store_b16 v[35:36], v37
	flat_store_b16 v[35:36], v38 offset:32
	flat_store_b16 v[35:36], v39 offset:64
	;; [unrolled: 1-line block ×3, first 2 shown]
	s_cbranch_execnz .LBB155_2
	s_branch .LBB155_10
.LBB155_9:                              ;   in Loop: Header=BB155_3 Depth=1
.LBB155_10:                             ;   in Loop: Header=BB155_3 Depth=1
	v_add_co_u32 v8, vcc_lo, v8, s14
	s_wait_alu 0xfffd
	v_add_co_ci_u32_e64 v9, null, s15, v9, vcc_lo
	s_delay_alu instid0(VALU_DEP_2) | instskip(SKIP_1) | instid1(VALU_DEP_2)
	v_add_co_u32 v35, vcc_lo, v8, v2
	s_wait_alu 0xfffd
	v_add_co_ci_u32_e64 v36, null, v9, v3, vcc_lo
	s_delay_alu instid0(VALU_DEP_2) | instskip(SKIP_1) | instid1(VALU_DEP_2)
	v_add_co_u32 v8, vcc_lo, v35, v6
	s_wait_alu 0xfffd
	v_add_co_ci_u32_e64 v9, null, v36, v7, vcc_lo
	v_add_co_u32 v38, vcc_lo, v33, v4
	s_wait_alu 0xfffd
	v_add_co_ci_u32_e64 v39, null, v34, v5, vcc_lo
	flat_load_u16 v37, v[8:9]
	v_add_co_u32 v33, vcc_lo, v38, v6
	s_wait_alu 0xfffd
	v_add_co_ci_u32_e64 v34, null, v39, v7, vcc_lo
	s_wait_loadcnt_dscnt 0x0
	v_mul_f16_e32 v37, s33, v37
	s_delay_alu instid0(VALU_DEP_1) | instskip(SKIP_4) | instid1(VALU_DEP_1)
	v_fmac_f16_e32 v37, s30, v32
	flat_store_b16 v[33:34], v37
	flat_load_u16 v32, v[8:9] offset:32
	s_wait_loadcnt_dscnt 0x0
	v_mul_f16_e32 v32, s33, v32
	v_fmac_f16_e32 v32, s30, v30
	flat_store_b16 v[33:34], v32 offset:32
	flat_load_u16 v30, v[8:9] offset:64
	s_wait_loadcnt_dscnt 0x0
	v_mul_f16_e32 v30, s33, v30
	s_delay_alu instid0(VALU_DEP_1)
	v_fmac_f16_e32 v30, s30, v31
	v_add_co_u32 v31, vcc_lo, v35, s16
	s_wait_alu 0xfffd
	v_add_co_ci_u32_e64 v32, null, s17, v36, vcc_lo
	flat_store_b16 v[33:34], v30 offset:64
	flat_load_u16 v8, v[8:9] offset:96
	s_wait_loadcnt_dscnt 0x0
	v_mul_f16_e32 v30, s33, v8
	v_add_co_u32 v8, vcc_lo, v31, v6
	s_wait_alu 0xfffd
	v_add_co_ci_u32_e64 v9, null, v32, v7, vcc_lo
	s_delay_alu instid0(VALU_DEP_3)
	v_fmac_f16_e32 v30, s30, v29
	flat_store_b16 v[33:34], v30 offset:96
	flat_load_u16 v29, v[8:9]
	v_add_co_u32 v33, vcc_lo, v38, s20
	s_wait_alu 0xfffd
	v_add_co_ci_u32_e64 v34, null, s21, v39, vcc_lo
	s_wait_loadcnt_dscnt 0x0
	v_mul_f16_e32 v35, s33, v29
	v_add_co_u32 v29, vcc_lo, v33, v6
	s_wait_alu 0xfffd
	v_add_co_ci_u32_e64 v30, null, v34, v7, vcc_lo
	s_delay_alu instid0(VALU_DEP_3) | instskip(SKIP_4) | instid1(VALU_DEP_1)
	v_fmac_f16_e32 v35, s30, v15
	flat_store_b16 v[29:30], v35
	flat_load_u16 v15, v[8:9] offset:32
	s_wait_loadcnt_dscnt 0x0
	v_mul_f16_e32 v15, s33, v15
	v_fmac_f16_e32 v15, s30, v28
	v_add_co_u32 v28, vcc_lo, v31, s16
	s_wait_alu 0xfffd
	v_add_co_ci_u32_e64 v31, null, s17, v32, vcc_lo
	flat_store_b16 v[29:30], v15 offset:32
	flat_load_u16 v15, v[8:9] offset:64
	s_wait_loadcnt_dscnt 0x0
	v_mul_f16_e32 v15, s33, v15
	s_delay_alu instid0(VALU_DEP_1)
	v_fmac_f16_e32 v15, s30, v14
	flat_store_b16 v[29:30], v15 offset:64
	flat_load_u16 v8, v[8:9] offset:96
	s_wait_loadcnt_dscnt 0x0
	v_mul_f16_e32 v14, s33, v8
	v_add_co_u32 v8, vcc_lo, v28, v6
	s_wait_alu 0xfffd
	v_add_co_ci_u32_e64 v9, null, v31, v7, vcc_lo
	s_delay_alu instid0(VALU_DEP_3)
	v_fmac_f16_e32 v14, s30, v27
	v_add_co_u32 v27, vcc_lo, v33, s20
	flat_store_b16 v[29:30], v14 offset:96
	flat_load_u16 v14, v[8:9]
	s_wait_alu 0xfffd
	v_add_co_ci_u32_e64 v29, null, s21, v34, vcc_lo
	s_wait_loadcnt_dscnt 0x0
	v_mul_f16_e32 v30, s33, v14
	v_add_co_u32 v14, vcc_lo, v27, v6
	s_wait_alu 0xfffd
	v_add_co_ci_u32_e64 v15, null, v29, v7, vcc_lo
	s_delay_alu instid0(VALU_DEP_3) | instskip(SKIP_4) | instid1(VALU_DEP_1)
	v_fmac_f16_e32 v30, s30, v13
	flat_store_b16 v[14:15], v30
	flat_load_u16 v13, v[8:9] offset:32
	s_wait_loadcnt_dscnt 0x0
	v_mul_f16_e32 v13, s33, v13
	v_fmac_f16_e32 v13, s30, v26
	flat_store_b16 v[14:15], v13 offset:32
	flat_load_u16 v13, v[8:9] offset:64
	s_wait_loadcnt_dscnt 0x0
	v_mul_f16_e32 v13, s33, v13
	s_delay_alu instid0(VALU_DEP_1)
	v_fmac_f16_e32 v13, s30, v12
	flat_store_b16 v[14:15], v13 offset:64
	flat_load_u16 v8, v[8:9] offset:96
	s_wait_loadcnt_dscnt 0x0
	v_mul_f16_e32 v12, s33, v8
	v_add_co_u32 v8, vcc_lo, v28, s16
	s_wait_alu 0xfffd
	v_add_co_ci_u32_e64 v9, null, s17, v31, vcc_lo
	s_delay_alu instid0(VALU_DEP_3) | instskip(NEXT) | instid1(VALU_DEP_3)
	v_fmac_f16_e32 v12, s30, v25
	v_add_co_u32 v8, vcc_lo, v8, v6
	s_wait_alu 0xfffd
	s_delay_alu instid0(VALU_DEP_3)
	v_add_co_ci_u32_e64 v9, null, v9, v7, vcc_lo
	flat_store_b16 v[14:15], v12 offset:96
	flat_load_u16 v12, v[8:9]
	s_wait_loadcnt_dscnt 0x0
	v_mul_f16_e32 v13, s33, v12
	v_add_co_u32 v12, vcc_lo, v27, s20
	s_wait_alu 0xfffd
	v_add_co_ci_u32_e64 v14, null, s21, v29, vcc_lo
	s_delay_alu instid0(VALU_DEP_3) | instskip(NEXT) | instid1(VALU_DEP_3)
	v_fmac_f16_e32 v13, s30, v11
	v_add_co_u32 v11, vcc_lo, v12, v6
	s_wait_alu 0xfffd
	s_delay_alu instid0(VALU_DEP_3) | instskip(SKIP_4) | instid1(VALU_DEP_1)
	v_add_co_ci_u32_e64 v12, null, v14, v7, vcc_lo
	flat_store_b16 v[11:12], v13
	flat_load_u16 v13, v[8:9] offset:32
	s_wait_loadcnt_dscnt 0x0
	v_mul_f16_e32 v13, s33, v13
	v_fmac_f16_e32 v13, s30, v24
	flat_store_b16 v[11:12], v13 offset:32
	flat_load_u16 v13, v[8:9] offset:64
	s_wait_loadcnt_dscnt 0x0
	v_mul_f16_e32 v13, s33, v13
	s_delay_alu instid0(VALU_DEP_1) | instskip(SKIP_4) | instid1(VALU_DEP_1)
	v_fmac_f16_e32 v13, s30, v10
	flat_store_b16 v[11:12], v13 offset:64
	flat_load_u16 v8, v[8:9] offset:96
	s_wait_loadcnt_dscnt 0x0
	v_mul_f16_e32 v8, s33, v8
	v_fmac_f16_e32 v8, s30, v23
	flat_store_b16 v[11:12], v8 offset:96
	s_branch .LBB155_2
.LBB155_11:
	s_endpgm
	.section	.rodata,"a",@progbits
	.p2align	6, 0x0
	.amdhsa_kernel _ZN12_GLOBAL__N_127rocblas_gemm_batched_kernelIDF16_Li16ELi16ELi64ELi64ELi4ELi64ELi4ELi4ELi64ELc84ELc67EKPKDF16_S3_KPDF16_EEvlllT_PT11_llS8_llS6_PT12_llPT13_lli
		.amdhsa_group_segment_fixed_size 1024
		.amdhsa_private_segment_fixed_size 0
		.amdhsa_kernarg_size 140
		.amdhsa_user_sgpr_count 2
		.amdhsa_user_sgpr_dispatch_ptr 0
		.amdhsa_user_sgpr_queue_ptr 0
		.amdhsa_user_sgpr_kernarg_segment_ptr 1
		.amdhsa_user_sgpr_dispatch_id 0
		.amdhsa_user_sgpr_private_segment_size 0
		.amdhsa_wavefront_size32 1
		.amdhsa_uses_dynamic_stack 0
		.amdhsa_enable_private_segment 0
		.amdhsa_system_sgpr_workgroup_id_x 1
		.amdhsa_system_sgpr_workgroup_id_y 1
		.amdhsa_system_sgpr_workgroup_id_z 1
		.amdhsa_system_sgpr_workgroup_info 0
		.amdhsa_system_vgpr_workitem_id 1
		.amdhsa_next_free_vgpr 49
		.amdhsa_next_free_sgpr 38
		.amdhsa_reserve_vcc 1
		.amdhsa_float_round_mode_32 0
		.amdhsa_float_round_mode_16_64 0
		.amdhsa_float_denorm_mode_32 3
		.amdhsa_float_denorm_mode_16_64 3
		.amdhsa_fp16_overflow 0
		.amdhsa_workgroup_processor_mode 1
		.amdhsa_memory_ordered 1
		.amdhsa_forward_progress 1
		.amdhsa_inst_pref_size 23
		.amdhsa_round_robin_scheduling 0
		.amdhsa_exception_fp_ieee_invalid_op 0
		.amdhsa_exception_fp_denorm_src 0
		.amdhsa_exception_fp_ieee_div_zero 0
		.amdhsa_exception_fp_ieee_overflow 0
		.amdhsa_exception_fp_ieee_underflow 0
		.amdhsa_exception_fp_ieee_inexact 0
		.amdhsa_exception_int_div_zero 0
	.end_amdhsa_kernel
	.section	.text._ZN12_GLOBAL__N_127rocblas_gemm_batched_kernelIDF16_Li16ELi16ELi64ELi64ELi4ELi64ELi4ELi4ELi64ELc84ELc67EKPKDF16_S3_KPDF16_EEvlllT_PT11_llS8_llS6_PT12_llPT13_lli,"axG",@progbits,_ZN12_GLOBAL__N_127rocblas_gemm_batched_kernelIDF16_Li16ELi16ELi64ELi64ELi4ELi64ELi4ELi4ELi64ELc84ELc67EKPKDF16_S3_KPDF16_EEvlllT_PT11_llS8_llS6_PT12_llPT13_lli,comdat
.Lfunc_end155:
	.size	_ZN12_GLOBAL__N_127rocblas_gemm_batched_kernelIDF16_Li16ELi16ELi64ELi64ELi4ELi64ELi4ELi4ELi64ELc84ELc67EKPKDF16_S3_KPDF16_EEvlllT_PT11_llS8_llS6_PT12_llPT13_lli, .Lfunc_end155-_ZN12_GLOBAL__N_127rocblas_gemm_batched_kernelIDF16_Li16ELi16ELi64ELi64ELi4ELi64ELi4ELi4ELi64ELc84ELc67EKPKDF16_S3_KPDF16_EEvlllT_PT11_llS8_llS6_PT12_llPT13_lli
                                        ; -- End function
	.set _ZN12_GLOBAL__N_127rocblas_gemm_batched_kernelIDF16_Li16ELi16ELi64ELi64ELi4ELi64ELi4ELi4ELi64ELc84ELc67EKPKDF16_S3_KPDF16_EEvlllT_PT11_llS8_llS6_PT12_llPT13_lli.num_vgpr, 49
	.set _ZN12_GLOBAL__N_127rocblas_gemm_batched_kernelIDF16_Li16ELi16ELi64ELi64ELi4ELi64ELi4ELi4ELi64ELc84ELc67EKPKDF16_S3_KPDF16_EEvlllT_PT11_llS8_llS6_PT12_llPT13_lli.num_agpr, 0
	.set _ZN12_GLOBAL__N_127rocblas_gemm_batched_kernelIDF16_Li16ELi16ELi64ELi64ELi4ELi64ELi4ELi4ELi64ELc84ELc67EKPKDF16_S3_KPDF16_EEvlllT_PT11_llS8_llS6_PT12_llPT13_lli.numbered_sgpr, 38
	.set _ZN12_GLOBAL__N_127rocblas_gemm_batched_kernelIDF16_Li16ELi16ELi64ELi64ELi4ELi64ELi4ELi4ELi64ELc84ELc67EKPKDF16_S3_KPDF16_EEvlllT_PT11_llS8_llS6_PT12_llPT13_lli.num_named_barrier, 0
	.set _ZN12_GLOBAL__N_127rocblas_gemm_batched_kernelIDF16_Li16ELi16ELi64ELi64ELi4ELi64ELi4ELi4ELi64ELc84ELc67EKPKDF16_S3_KPDF16_EEvlllT_PT11_llS8_llS6_PT12_llPT13_lli.private_seg_size, 0
	.set _ZN12_GLOBAL__N_127rocblas_gemm_batched_kernelIDF16_Li16ELi16ELi64ELi64ELi4ELi64ELi4ELi4ELi64ELc84ELc67EKPKDF16_S3_KPDF16_EEvlllT_PT11_llS8_llS6_PT12_llPT13_lli.uses_vcc, 1
	.set _ZN12_GLOBAL__N_127rocblas_gemm_batched_kernelIDF16_Li16ELi16ELi64ELi64ELi4ELi64ELi4ELi4ELi64ELc84ELc67EKPKDF16_S3_KPDF16_EEvlllT_PT11_llS8_llS6_PT12_llPT13_lli.uses_flat_scratch, 1
	.set _ZN12_GLOBAL__N_127rocblas_gemm_batched_kernelIDF16_Li16ELi16ELi64ELi64ELi4ELi64ELi4ELi4ELi64ELc84ELc67EKPKDF16_S3_KPDF16_EEvlllT_PT11_llS8_llS6_PT12_llPT13_lli.has_dyn_sized_stack, 0
	.set _ZN12_GLOBAL__N_127rocblas_gemm_batched_kernelIDF16_Li16ELi16ELi64ELi64ELi4ELi64ELi4ELi4ELi64ELc84ELc67EKPKDF16_S3_KPDF16_EEvlllT_PT11_llS8_llS6_PT12_llPT13_lli.has_recursion, 0
	.set _ZN12_GLOBAL__N_127rocblas_gemm_batched_kernelIDF16_Li16ELi16ELi64ELi64ELi4ELi64ELi4ELi4ELi64ELc84ELc67EKPKDF16_S3_KPDF16_EEvlllT_PT11_llS8_llS6_PT12_llPT13_lli.has_indirect_call, 0
	.section	.AMDGPU.csdata,"",@progbits
; Kernel info:
; codeLenInByte = 2844
; TotalNumSgprs: 40
; NumVgprs: 49
; ScratchSize: 0
; MemoryBound: 0
; FloatMode: 240
; IeeeMode: 1
; LDSByteSize: 1024 bytes/workgroup (compile time only)
; SGPRBlocks: 0
; VGPRBlocks: 6
; NumSGPRsForWavesPerEU: 40
; NumVGPRsForWavesPerEU: 49
; Occupancy: 16
; WaveLimiterHint : 1
; COMPUTE_PGM_RSRC2:SCRATCH_EN: 0
; COMPUTE_PGM_RSRC2:USER_SGPR: 2
; COMPUTE_PGM_RSRC2:TRAP_HANDLER: 0
; COMPUTE_PGM_RSRC2:TGID_X_EN: 1
; COMPUTE_PGM_RSRC2:TGID_Y_EN: 1
; COMPUTE_PGM_RSRC2:TGID_Z_EN: 1
; COMPUTE_PGM_RSRC2:TIDIG_COMP_CNT: 1
	.section	.text._ZN12_GLOBAL__N_127rocblas_gemm_batched_kernelIDF16_Li16ELi16ELi32ELi32ELi8ELi32ELi8ELi8ELi32ELc78ELc78EKPKDF16_S3_KPDF16_EEvlllT_PT11_llS8_llS6_PT12_llPT13_lli,"axG",@progbits,_ZN12_GLOBAL__N_127rocblas_gemm_batched_kernelIDF16_Li16ELi16ELi32ELi32ELi8ELi32ELi8ELi8ELi32ELc78ELc78EKPKDF16_S3_KPDF16_EEvlllT_PT11_llS8_llS6_PT12_llPT13_lli,comdat
	.globl	_ZN12_GLOBAL__N_127rocblas_gemm_batched_kernelIDF16_Li16ELi16ELi32ELi32ELi8ELi32ELi8ELi8ELi32ELc78ELc78EKPKDF16_S3_KPDF16_EEvlllT_PT11_llS8_llS6_PT12_llPT13_lli ; -- Begin function _ZN12_GLOBAL__N_127rocblas_gemm_batched_kernelIDF16_Li16ELi16ELi32ELi32ELi8ELi32ELi8ELi8ELi32ELc78ELc78EKPKDF16_S3_KPDF16_EEvlllT_PT11_llS8_llS6_PT12_llPT13_lli
	.p2align	8
	.type	_ZN12_GLOBAL__N_127rocblas_gemm_batched_kernelIDF16_Li16ELi16ELi32ELi32ELi8ELi32ELi8ELi8ELi32ELc78ELc78EKPKDF16_S3_KPDF16_EEvlllT_PT11_llS8_llS6_PT12_llPT13_lli,@function
_ZN12_GLOBAL__N_127rocblas_gemm_batched_kernelIDF16_Li16ELi16ELi32ELi32ELi8ELi32ELi8ELi8ELi32ELc78ELc78EKPKDF16_S3_KPDF16_EEvlllT_PT11_llS8_llS6_PT12_llPT13_lli: ; @_ZN12_GLOBAL__N_127rocblas_gemm_batched_kernelIDF16_Li16ELi16ELi32ELi32ELi8ELi32ELi8ELi8ELi32ELc78ELc78EKPKDF16_S3_KPDF16_EEvlllT_PT11_llS8_llS6_PT12_llPT13_lli
; %bb.0:
	s_load_b32 s31, s[0:1], 0x88
	s_lshr_b32 s34, ttmp7, 16
	s_wait_kmcnt 0x0
	s_cmp_ge_i32 s34, s31
	s_cbranch_scc1 .LBB156_11
; %bb.1:
	v_bfe_u32 v1, v0, 10, 10
	v_and_b32_e32 v12, 0x3ff, v0
	s_clause 0x5
	s_load_b96 s[28:30], s[0:1], 0x10
	s_load_b256 s[4:11], s[0:1], 0x20
	s_load_b128 s[20:23], s[0:1], 0x78
	s_load_b128 s[24:27], s[0:1], 0x40
	s_load_b32 s33, s[0:1], 0x50
	s_load_b256 s[12:19], s[0:1], 0x58
	v_lshlrev_b32_e32 v0, 1, v0
	v_lshlrev_b32_e32 v6, 4, v1
	s_lshl_b32 s0, ttmp7, 5
	s_mov_b32 s2, ttmp9
	s_and_b32 s35, s0, 0x1fffe0
	v_and_b32_e32 v21, 14, v0
	v_add_nc_u32_e32 v2, v6, v12
	v_dual_mov_b32 v14, 0 :: v_dual_add_nc_u32 v9, s35, v1
	s_ashr_i32 s3, ttmp9, 31
	v_add_nc_u32_e32 v18, 0x200, v6
	s_delay_alu instid0(VALU_DEP_3) | instskip(SKIP_3) | instid1(VALU_DEP_3)
	v_and_b32_e32 v13, 31, v2
	v_lshrrev_b32_e32 v0, 3, v2
	v_lshrrev_b32_e32 v19, 5, v2
	s_lshl_b64 s[0:1], s[2:3], 5
	v_lshlrev_b32_e32 v2, 1, v13
	s_delay_alu instid0(VALU_DEP_3)
	v_add_nc_u32_e32 v11, s35, v0
	v_lshl_or_b32 v1, v0, 4, v21
	s_wait_kmcnt 0x0
	s_cmp_eq_f16 s33, 0
	s_mov_b32 s35, 0
	v_lshl_or_b32 v15, v19, 6, v2
	v_mad_co_u64_u32 v[2:3], null, v9, s20, 0
	v_mad_co_u64_u32 v[4:5], null, s24, v11, 0
	v_add_nc_u32_e32 v16, 0x200, v1
	v_mad_co_u64_u32 v[0:1], null, v9, s14, 0
	s_cselect_b32 s24, -1, 0
	s_lshl_b64 s[2:3], s[20:21], 4
	v_mad_co_u64_u32 v[6:7], null, v9, s21, v[3:4]
	v_mov_b32_e32 v3, v5
	v_mad_co_u64_u32 v[7:8], null, s6, v19, s[0:1]
	v_mad_co_u64_u32 v[9:10], null, v9, s15, v[1:2]
	s_delay_alu instid0(VALU_DEP_3) | instskip(SKIP_1) | instid1(VALU_DEP_4)
	v_mad_co_u64_u32 v[10:11], null, s25, v11, v[3:4]
	v_add_co_u32 v11, s0, s0, v12
	v_mov_b32_e32 v1, v8
	v_lshlrev_b32_e32 v17, 1, v12
	s_wait_alu 0xf1ff
	v_add_co_ci_u32_e64 v12, null, s1, 0, s0
	v_mov_b32_e32 v5, v10
	v_mad_co_u64_u32 v[19:20], null, s7, v19, v[1:2]
	v_mov_b32_e32 v3, v6
	s_lshl_b64 s[0:1], s[26:27], 1
	s_delay_alu instid0(VALU_DEP_3) | instskip(SKIP_4) | instid1(VALU_DEP_4)
	v_lshlrev_b64_e32 v[4:5], 1, v[4:5]
	v_add_co_u32 v6, vcc_lo, v7, v13
	v_mov_b32_e32 v1, v9
	v_add_co_ci_u32_e64 v7, null, 0, v19, vcc_lo
	s_wait_alu 0xfffe
	v_add_co_u32 v8, vcc_lo, v4, s0
	s_wait_alu 0xfffd
	v_add_co_ci_u32_e64 v9, null, s1, v5, vcc_lo
	s_lshl_b64 s[0:1], s[8:9], 1
	v_cmp_gt_i64_e64 s8, s[28:29], 0
	v_lshlrev_b64_e32 v[4:5], 1, v[6:7]
	v_add_co_u32 v19, vcc_lo, v8, v21
	s_wait_alu 0xfffd
	v_add_co_ci_u32_e64 v20, null, 0, v9, vcc_lo
	s_delay_alu instid0(VALU_DEP_4)
	v_cndmask_b32_e64 v6, 0, 1, s8
	s_wait_alu 0xfffe
	v_add_co_u32 v21, vcc_lo, s0, v4
	s_wait_alu 0xfffd
	v_add_co_ci_u32_e64 v22, null, s1, v5, vcc_lo
	v_cmp_ne_u32_e64 s0, 1, v6
	v_cndmask_b32_e64 v6, 0, 1, s24
	v_lshlrev_b64_e32 v[0:1], 1, v[0:1]
	v_lshlrev_b64_e32 v[2:3], 1, v[2:3]
	;; [unrolled: 1-line block ×3, first 2 shown]
	s_lshl_b64 s[20:21], s[14:15], 4
	v_cmp_ne_u32_e64 s1, 1, v6
	s_lshl_b64 s[6:7], s[6:7], 4
	s_lshl_b64 s[8:9], s[22:23], 1
	;; [unrolled: 1-line block ×3, first 2 shown]
	s_wait_alu 0xfffe
	s_lshl_b64 s[16:17], s[20:21], 1
	s_lshl_b64 s[20:21], s[2:3], 1
	s_branch .LBB156_3
.LBB156_2:                              ;   in Loop: Header=BB156_3 Depth=1
	s_add_co_i32 s34, s34, 0x10000
	s_wait_alu 0xfffe
	s_cmp_lt_i32 s34, s31
	s_cbranch_scc0 .LBB156_11
.LBB156_3:                              ; =>This Loop Header: Depth=1
                                        ;     Child Loop BB156_5 Depth 2
	s_lshl_b64 s[2:3], s[34:35], 3
	s_and_b32 vcc_lo, exec_lo, s0
	s_wait_alu 0xfffe
	s_add_nc_u64 s[22:23], s[12:13], s[2:3]
	s_add_nc_u64 s[24:25], s[18:19], s[2:3]
	s_clause 0x1
	global_load_b64 v[6:7], v14, s[22:23]
	global_load_b64 v[8:9], v14, s[24:25]
	s_cbranch_vccnz .LBB156_6
; %bb.4:                                ;   in Loop: Header=BB156_3 Depth=1
	s_add_nc_u64 s[22:23], s[10:11], s[2:3]
	s_add_nc_u64 s[2:3], s[4:5], s[2:3]
	s_clause 0x1
	global_load_b64 v[10:11], v14, s[22:23]
	global_load_b64 v[12:13], v14, s[2:3]
	v_dual_mov_b32 v23, 0 :: v_dual_mov_b32 v24, 0
	s_mov_b64 s[22:23], 0
	s_wait_loadcnt 0x1
	v_add_co_u32 v10, vcc_lo, v10, v19
	s_wait_alu 0xfffd
	v_add_co_ci_u32_e64 v11, null, v11, v20, vcc_lo
	s_wait_loadcnt 0x0
	v_add_co_u32 v12, vcc_lo, v12, v21
	s_wait_alu 0xfffd
	v_add_co_ci_u32_e64 v13, null, v13, v22, vcc_lo
.LBB156_5:                              ;   Parent Loop BB156_3 Depth=1
                                        ; =>  This Inner Loop Header: Depth=2
	flat_load_u16 v25, v[12:13]
	s_wait_alu 0xfffe
	s_add_nc_u64 s[22:23], s[22:23], 8
	v_add_co_u32 v12, vcc_lo, v12, s6
	s_wait_alu 0xfffe
	v_cmp_lt_i64_e64 s2, s[22:23], s[28:29]
	s_wait_alu 0xfffd
	v_add_co_ci_u32_e64 v13, null, s7, v13, vcc_lo
	s_and_b32 vcc_lo, exec_lo, s2
	s_wait_loadcnt_dscnt 0x0
	ds_store_b16 v15, v25
	flat_load_u16 v25, v[10:11]
	v_add_co_u32 v10, s2, v10, 16
	s_wait_alu 0xf1ff
	v_add_co_ci_u32_e64 v11, null, 0, v11, s2
	s_wait_loadcnt_dscnt 0x0
	ds_store_b16 v16, v25
	s_wait_dscnt 0x0
	s_barrier_signal -1
	s_barrier_wait -1
	global_inv scope:SCOPE_SE
	ds_load_u16 v33, v17 offset:32
	ds_load_u16 v34, v17 offset:96
	;; [unrolled: 1-line block ×3, first 2 shown]
	ds_load_b128 v[25:28], v18
	ds_load_b128 v[29:32], v18 offset:256
	ds_load_u16 v36, v17 offset:224
	ds_load_u16 v37, v17 offset:288
	;; [unrolled: 1-line block ×5, first 2 shown]
	s_wait_dscnt 0x9
	ds_load_u16_d16_hi v33, v17
	s_wait_dscnt 0x9
	ds_load_u16_d16_hi v34, v17 offset:64
	s_wait_dscnt 0x9
	ds_load_u16_d16_hi v35, v17 offset:128
	s_wait_dscnt 0x7
	ds_load_u16_d16_hi v36, v17 offset:192
	s_wait_dscnt 0x7
	ds_load_u16_d16_hi v37, v17 offset:256
	s_wait_dscnt 0x7
	ds_load_u16_d16_hi v38, v17 offset:320
	s_wait_dscnt 0x7
	ds_load_u16_d16_hi v39, v17 offset:384
	s_wait_dscnt 0x7
	ds_load_u16_d16_hi v40, v17 offset:448
	s_wait_loadcnt_dscnt 0x0
	s_barrier_signal -1
	s_barrier_wait -1
	global_inv scope:SCOPE_SE
	v_pk_fma_f16 v24, v33, v25, v24 op_sel_hi:[1,0,1]
	v_pk_fma_f16 v23, v33, v29, v23 op_sel_hi:[1,0,1]
	s_delay_alu instid0(VALU_DEP_2) | instskip(NEXT) | instid1(VALU_DEP_2)
	v_pk_fma_f16 v24, v34, v25, v24 op_sel:[0,1,0]
	v_pk_fma_f16 v23, v34, v29, v23 op_sel:[0,1,0]
	s_delay_alu instid0(VALU_DEP_2) | instskip(NEXT) | instid1(VALU_DEP_2)
	v_pk_fma_f16 v24, v35, v26, v24 op_sel_hi:[1,0,1]
	v_pk_fma_f16 v23, v35, v30, v23 op_sel_hi:[1,0,1]
	s_delay_alu instid0(VALU_DEP_2) | instskip(NEXT) | instid1(VALU_DEP_2)
	v_pk_fma_f16 v24, v36, v26, v24 op_sel:[0,1,0]
	v_pk_fma_f16 v23, v36, v30, v23 op_sel:[0,1,0]
	s_delay_alu instid0(VALU_DEP_2) | instskip(NEXT) | instid1(VALU_DEP_2)
	;; [unrolled: 6-line block ×3, first 2 shown]
	v_pk_fma_f16 v24, v39, v28, v24 op_sel_hi:[1,0,1]
	v_pk_fma_f16 v23, v39, v32, v23 op_sel_hi:[1,0,1]
	s_delay_alu instid0(VALU_DEP_2) | instskip(NEXT) | instid1(VALU_DEP_2)
	v_pk_fma_f16 v24, v40, v28, v24 op_sel:[0,1,0]
	v_pk_fma_f16 v23, v40, v32, v23 op_sel:[0,1,0]
	s_wait_alu 0xfffe
	s_cbranch_vccnz .LBB156_5
	s_branch .LBB156_7
.LBB156_6:                              ;   in Loop: Header=BB156_3 Depth=1
	v_dual_mov_b32 v24, 0 :: v_dual_mov_b32 v23, 0
.LBB156_7:                              ;   in Loop: Header=BB156_3 Depth=1
	s_wait_loadcnt 0x0
	v_add_co_u32 v10, vcc_lo, v8, s8
	s_wait_alu 0xfffd
	v_add_co_ci_u32_e64 v11, null, s9, v9, vcc_lo
	v_lshrrev_b32_e32 v9, 16, v24
	v_lshrrev_b32_e32 v8, 16, v23
	s_and_b32 vcc_lo, exec_lo, s1
	s_wait_alu 0xfffe
	s_cbranch_vccnz .LBB156_9
; %bb.8:                                ;   in Loop: Header=BB156_3 Depth=1
	v_add_co_u32 v25, vcc_lo, v10, v2
	s_wait_alu 0xfffd
	v_add_co_ci_u32_e64 v26, null, v11, v3, vcc_lo
	v_mul_f16_e32 v27, s30, v9
	s_delay_alu instid0(VALU_DEP_3) | instskip(SKIP_1) | instid1(VALU_DEP_3)
	v_add_co_u32 v12, vcc_lo, v25, v4
	s_wait_alu 0xfffd
	v_add_co_ci_u32_e64 v13, null, v26, v5, vcc_lo
	v_add_co_u32 v25, vcc_lo, v25, s20
	s_wait_alu 0xfffd
	v_add_co_ci_u32_e64 v26, null, s21, v26, vcc_lo
	v_mul_f16_e32 v29, s30, v8
	s_delay_alu instid0(VALU_DEP_3) | instskip(SKIP_1) | instid1(VALU_DEP_3)
	v_add_co_u32 v25, vcc_lo, v25, v4
	s_wait_alu 0xfffd
	v_add_co_ci_u32_e64 v26, null, v26, v5, vcc_lo
	v_mul_f16_e32 v28, s30, v24
	v_mul_f16_e32 v30, s30, v23
	s_clause 0x3
	flat_store_b16 v[12:13], v27
	flat_store_b16 v[12:13], v28 offset:32
	flat_store_b16 v[25:26], v29
	flat_store_b16 v[25:26], v30 offset:32
	s_cbranch_execnz .LBB156_2
	s_branch .LBB156_10
.LBB156_9:                              ;   in Loop: Header=BB156_3 Depth=1
.LBB156_10:                             ;   in Loop: Header=BB156_3 Depth=1
	v_add_co_u32 v6, vcc_lo, v6, s14
	s_wait_alu 0xfffd
	v_add_co_ci_u32_e64 v7, null, s15, v7, vcc_lo
	s_delay_alu instid0(VALU_DEP_2) | instskip(SKIP_1) | instid1(VALU_DEP_2)
	v_add_co_u32 v12, vcc_lo, v6, v0
	s_wait_alu 0xfffd
	v_add_co_ci_u32_e64 v13, null, v7, v1, vcc_lo
	s_delay_alu instid0(VALU_DEP_2) | instskip(SKIP_1) | instid1(VALU_DEP_2)
	v_add_co_u32 v6, vcc_lo, v12, v4
	s_wait_alu 0xfffd
	v_add_co_ci_u32_e64 v7, null, v13, v5, vcc_lo
	v_add_co_u32 v26, vcc_lo, v10, v2
	s_wait_alu 0xfffd
	v_add_co_ci_u32_e64 v27, null, v11, v3, vcc_lo
	flat_load_u16 v25, v[6:7]
	v_add_co_u32 v10, vcc_lo, v26, v4
	s_wait_alu 0xfffd
	v_add_co_ci_u32_e64 v11, null, v27, v5, vcc_lo
	s_wait_loadcnt_dscnt 0x0
	v_mul_f16_e32 v25, s33, v25
	s_delay_alu instid0(VALU_DEP_1)
	v_fmac_f16_e32 v25, s30, v9
	flat_store_b16 v[10:11], v25
	flat_load_u16 v6, v[6:7] offset:32
	s_wait_loadcnt_dscnt 0x0
	v_mul_f16_e32 v9, s33, v6
	v_add_co_u32 v6, vcc_lo, v12, s16
	s_wait_alu 0xfffd
	v_add_co_ci_u32_e64 v7, null, s17, v13, vcc_lo
	s_delay_alu instid0(VALU_DEP_3) | instskip(NEXT) | instid1(VALU_DEP_3)
	v_fmac_f16_e32 v9, s30, v24
	v_add_co_u32 v6, vcc_lo, v6, v4
	s_wait_alu 0xfffd
	s_delay_alu instid0(VALU_DEP_3)
	v_add_co_ci_u32_e64 v7, null, v7, v5, vcc_lo
	flat_store_b16 v[10:11], v9 offset:32
	flat_load_u16 v9, v[6:7]
	s_wait_loadcnt_dscnt 0x0
	v_mul_f16_e32 v10, s33, v9
	v_add_co_u32 v9, vcc_lo, v26, s20
	s_wait_alu 0xfffd
	v_add_co_ci_u32_e64 v11, null, s21, v27, vcc_lo
	s_delay_alu instid0(VALU_DEP_3) | instskip(NEXT) | instid1(VALU_DEP_3)
	v_fmac_f16_e32 v10, s30, v8
	v_add_co_u32 v8, vcc_lo, v9, v4
	s_wait_alu 0xfffd
	s_delay_alu instid0(VALU_DEP_3) | instskip(SKIP_4) | instid1(VALU_DEP_1)
	v_add_co_ci_u32_e64 v9, null, v11, v5, vcc_lo
	flat_store_b16 v[8:9], v10
	flat_load_u16 v6, v[6:7] offset:32
	s_wait_loadcnt_dscnt 0x0
	v_mul_f16_e32 v6, s33, v6
	v_fmac_f16_e32 v6, s30, v23
	flat_store_b16 v[8:9], v6 offset:32
	s_branch .LBB156_2
.LBB156_11:
	s_endpgm
	.section	.rodata,"a",@progbits
	.p2align	6, 0x0
	.amdhsa_kernel _ZN12_GLOBAL__N_127rocblas_gemm_batched_kernelIDF16_Li16ELi16ELi32ELi32ELi8ELi32ELi8ELi8ELi32ELc78ELc78EKPKDF16_S3_KPDF16_EEvlllT_PT11_llS8_llS6_PT12_llPT13_lli
		.amdhsa_group_segment_fixed_size 1024
		.amdhsa_private_segment_fixed_size 0
		.amdhsa_kernarg_size 140
		.amdhsa_user_sgpr_count 2
		.amdhsa_user_sgpr_dispatch_ptr 0
		.amdhsa_user_sgpr_queue_ptr 0
		.amdhsa_user_sgpr_kernarg_segment_ptr 1
		.amdhsa_user_sgpr_dispatch_id 0
		.amdhsa_user_sgpr_private_segment_size 0
		.amdhsa_wavefront_size32 1
		.amdhsa_uses_dynamic_stack 0
		.amdhsa_enable_private_segment 0
		.amdhsa_system_sgpr_workgroup_id_x 1
		.amdhsa_system_sgpr_workgroup_id_y 1
		.amdhsa_system_sgpr_workgroup_id_z 1
		.amdhsa_system_sgpr_workgroup_info 0
		.amdhsa_system_vgpr_workitem_id 1
		.amdhsa_next_free_vgpr 41
		.amdhsa_next_free_sgpr 36
		.amdhsa_reserve_vcc 1
		.amdhsa_float_round_mode_32 0
		.amdhsa_float_round_mode_16_64 0
		.amdhsa_float_denorm_mode_32 3
		.amdhsa_float_denorm_mode_16_64 3
		.amdhsa_fp16_overflow 0
		.amdhsa_workgroup_processor_mode 1
		.amdhsa_memory_ordered 1
		.amdhsa_forward_progress 1
		.amdhsa_inst_pref_size 14
		.amdhsa_round_robin_scheduling 0
		.amdhsa_exception_fp_ieee_invalid_op 0
		.amdhsa_exception_fp_denorm_src 0
		.amdhsa_exception_fp_ieee_div_zero 0
		.amdhsa_exception_fp_ieee_overflow 0
		.amdhsa_exception_fp_ieee_underflow 0
		.amdhsa_exception_fp_ieee_inexact 0
		.amdhsa_exception_int_div_zero 0
	.end_amdhsa_kernel
	.section	.text._ZN12_GLOBAL__N_127rocblas_gemm_batched_kernelIDF16_Li16ELi16ELi32ELi32ELi8ELi32ELi8ELi8ELi32ELc78ELc78EKPKDF16_S3_KPDF16_EEvlllT_PT11_llS8_llS6_PT12_llPT13_lli,"axG",@progbits,_ZN12_GLOBAL__N_127rocblas_gemm_batched_kernelIDF16_Li16ELi16ELi32ELi32ELi8ELi32ELi8ELi8ELi32ELc78ELc78EKPKDF16_S3_KPDF16_EEvlllT_PT11_llS8_llS6_PT12_llPT13_lli,comdat
.Lfunc_end156:
	.size	_ZN12_GLOBAL__N_127rocblas_gemm_batched_kernelIDF16_Li16ELi16ELi32ELi32ELi8ELi32ELi8ELi8ELi32ELc78ELc78EKPKDF16_S3_KPDF16_EEvlllT_PT11_llS8_llS6_PT12_llPT13_lli, .Lfunc_end156-_ZN12_GLOBAL__N_127rocblas_gemm_batched_kernelIDF16_Li16ELi16ELi32ELi32ELi8ELi32ELi8ELi8ELi32ELc78ELc78EKPKDF16_S3_KPDF16_EEvlllT_PT11_llS8_llS6_PT12_llPT13_lli
                                        ; -- End function
	.set _ZN12_GLOBAL__N_127rocblas_gemm_batched_kernelIDF16_Li16ELi16ELi32ELi32ELi8ELi32ELi8ELi8ELi32ELc78ELc78EKPKDF16_S3_KPDF16_EEvlllT_PT11_llS8_llS6_PT12_llPT13_lli.num_vgpr, 41
	.set _ZN12_GLOBAL__N_127rocblas_gemm_batched_kernelIDF16_Li16ELi16ELi32ELi32ELi8ELi32ELi8ELi8ELi32ELc78ELc78EKPKDF16_S3_KPDF16_EEvlllT_PT11_llS8_llS6_PT12_llPT13_lli.num_agpr, 0
	.set _ZN12_GLOBAL__N_127rocblas_gemm_batched_kernelIDF16_Li16ELi16ELi32ELi32ELi8ELi32ELi8ELi8ELi32ELc78ELc78EKPKDF16_S3_KPDF16_EEvlllT_PT11_llS8_llS6_PT12_llPT13_lli.numbered_sgpr, 36
	.set _ZN12_GLOBAL__N_127rocblas_gemm_batched_kernelIDF16_Li16ELi16ELi32ELi32ELi8ELi32ELi8ELi8ELi32ELc78ELc78EKPKDF16_S3_KPDF16_EEvlllT_PT11_llS8_llS6_PT12_llPT13_lli.num_named_barrier, 0
	.set _ZN12_GLOBAL__N_127rocblas_gemm_batched_kernelIDF16_Li16ELi16ELi32ELi32ELi8ELi32ELi8ELi8ELi32ELc78ELc78EKPKDF16_S3_KPDF16_EEvlllT_PT11_llS8_llS6_PT12_llPT13_lli.private_seg_size, 0
	.set _ZN12_GLOBAL__N_127rocblas_gemm_batched_kernelIDF16_Li16ELi16ELi32ELi32ELi8ELi32ELi8ELi8ELi32ELc78ELc78EKPKDF16_S3_KPDF16_EEvlllT_PT11_llS8_llS6_PT12_llPT13_lli.uses_vcc, 1
	.set _ZN12_GLOBAL__N_127rocblas_gemm_batched_kernelIDF16_Li16ELi16ELi32ELi32ELi8ELi32ELi8ELi8ELi32ELc78ELc78EKPKDF16_S3_KPDF16_EEvlllT_PT11_llS8_llS6_PT12_llPT13_lli.uses_flat_scratch, 1
	.set _ZN12_GLOBAL__N_127rocblas_gemm_batched_kernelIDF16_Li16ELi16ELi32ELi32ELi8ELi32ELi8ELi8ELi32ELc78ELc78EKPKDF16_S3_KPDF16_EEvlllT_PT11_llS8_llS6_PT12_llPT13_lli.has_dyn_sized_stack, 0
	.set _ZN12_GLOBAL__N_127rocblas_gemm_batched_kernelIDF16_Li16ELi16ELi32ELi32ELi8ELi32ELi8ELi8ELi32ELc78ELc78EKPKDF16_S3_KPDF16_EEvlllT_PT11_llS8_llS6_PT12_llPT13_lli.has_recursion, 0
	.set _ZN12_GLOBAL__N_127rocblas_gemm_batched_kernelIDF16_Li16ELi16ELi32ELi32ELi8ELi32ELi8ELi8ELi32ELc78ELc78EKPKDF16_S3_KPDF16_EEvlllT_PT11_llS8_llS6_PT12_llPT13_lli.has_indirect_call, 0
	.section	.AMDGPU.csdata,"",@progbits
; Kernel info:
; codeLenInByte = 1772
; TotalNumSgprs: 38
; NumVgprs: 41
; ScratchSize: 0
; MemoryBound: 0
; FloatMode: 240
; IeeeMode: 1
; LDSByteSize: 1024 bytes/workgroup (compile time only)
; SGPRBlocks: 0
; VGPRBlocks: 5
; NumSGPRsForWavesPerEU: 38
; NumVGPRsForWavesPerEU: 41
; Occupancy: 16
; WaveLimiterHint : 1
; COMPUTE_PGM_RSRC2:SCRATCH_EN: 0
; COMPUTE_PGM_RSRC2:USER_SGPR: 2
; COMPUTE_PGM_RSRC2:TRAP_HANDLER: 0
; COMPUTE_PGM_RSRC2:TGID_X_EN: 1
; COMPUTE_PGM_RSRC2:TGID_Y_EN: 1
; COMPUTE_PGM_RSRC2:TGID_Z_EN: 1
; COMPUTE_PGM_RSRC2:TIDIG_COMP_CNT: 1
	.section	.text._ZN12_GLOBAL__N_127rocblas_gemm_batched_kernelIDF16_Li16ELi16ELi32ELi32ELi8ELi32ELi8ELi8ELi32ELc84ELc78EKPKDF16_S3_KPDF16_EEvlllT_PT11_llS8_llS6_PT12_llPT13_lli,"axG",@progbits,_ZN12_GLOBAL__N_127rocblas_gemm_batched_kernelIDF16_Li16ELi16ELi32ELi32ELi8ELi32ELi8ELi8ELi32ELc84ELc78EKPKDF16_S3_KPDF16_EEvlllT_PT11_llS8_llS6_PT12_llPT13_lli,comdat
	.globl	_ZN12_GLOBAL__N_127rocblas_gemm_batched_kernelIDF16_Li16ELi16ELi32ELi32ELi8ELi32ELi8ELi8ELi32ELc84ELc78EKPKDF16_S3_KPDF16_EEvlllT_PT11_llS8_llS6_PT12_llPT13_lli ; -- Begin function _ZN12_GLOBAL__N_127rocblas_gemm_batched_kernelIDF16_Li16ELi16ELi32ELi32ELi8ELi32ELi8ELi8ELi32ELc84ELc78EKPKDF16_S3_KPDF16_EEvlllT_PT11_llS8_llS6_PT12_llPT13_lli
	.p2align	8
	.type	_ZN12_GLOBAL__N_127rocblas_gemm_batched_kernelIDF16_Li16ELi16ELi32ELi32ELi8ELi32ELi8ELi8ELi32ELc84ELc78EKPKDF16_S3_KPDF16_EEvlllT_PT11_llS8_llS6_PT12_llPT13_lli,@function
_ZN12_GLOBAL__N_127rocblas_gemm_batched_kernelIDF16_Li16ELi16ELi32ELi32ELi8ELi32ELi8ELi8ELi32ELc84ELc78EKPKDF16_S3_KPDF16_EEvlllT_PT11_llS8_llS6_PT12_llPT13_lli: ; @_ZN12_GLOBAL__N_127rocblas_gemm_batched_kernelIDF16_Li16ELi16ELi32ELi32ELi8ELi32ELi8ELi8ELi32ELc84ELc78EKPKDF16_S3_KPDF16_EEvlllT_PT11_llS8_llS6_PT12_llPT13_lli
; %bb.0:
	s_load_b32 s31, s[0:1], 0x88
	s_lshr_b32 s34, ttmp7, 16
	s_wait_kmcnt 0x0
	s_cmp_ge_i32 s34, s31
	s_cbranch_scc1 .LBB157_11
; %bb.1:
	v_bfe_u32 v1, v0, 10, 10
	s_clause 0x1
	s_load_b96 s[28:30], s[0:1], 0x10
	s_load_b256 s[4:11], s[0:1], 0x20
	v_and_b32_e32 v10, 0x3ff, v0
	s_clause 0x3
	s_load_b128 s[24:27], s[0:1], 0x40
	s_load_b32 s33, s[0:1], 0x50
	s_load_b128 s[20:23], s[0:1], 0x78
	s_load_b256 s[12:19], s[0:1], 0x58
	v_lshlrev_b32_e32 v6, 4, v1
	v_lshlrev_b32_e32 v0, 1, v0
	v_mov_b32_e32 v14, 0
	s_lshl_b32 s0, ttmp7, 5
	s_mov_b32 s2, ttmp9
	v_add_nc_u32_e32 v2, v6, v10
	v_and_b32_e32 v13, 14, v0
	s_and_b32 s35, s0, 0x1fffe0
	s_ashr_i32 s3, ttmp9, 31
	v_add_nc_u32_e32 v9, s35, v1
	v_and_b32_e32 v11, 31, v2
	v_lshrrev_b32_e32 v0, 3, v2
	v_lshrrev_b32_e32 v21, 5, v2
	v_add_nc_u32_e32 v18, 0x200, v6
	s_lshl_b64 s[0:1], s[2:3], 5
	v_lshlrev_b32_e32 v2, 1, v11
	v_lshl_or_b32 v3, v0, 4, v13
	v_add_nc_u32_e32 v8, s35, v0
	s_wait_kmcnt 0x0
	s_cmp_eq_f16 s33, 0
	v_mad_co_u64_u32 v[4:5], null, v9, s14, 0
	v_lshl_or_b32 v15, v21, 6, v2
	v_add_nc_u32_e32 v16, 0x200, v3
	v_mad_co_u64_u32 v[2:3], null, v9, s20, 0
	v_mad_co_u64_u32 v[0:1], null, s24, v8, 0
	s_cselect_b32 s24, -1, 0
	s_lshl_b64 s[2:3], s[20:21], 4
	s_mov_b32 s35, 0
	v_mad_co_u64_u32 v[6:7], null, v9, s21, v[3:4]
	v_mad_co_u64_u32 v[7:8], null, s25, v8, v[1:2]
	v_or_b32_e32 v3, s0, v11
	s_lshl_b64 s[20:21], s[14:15], 4
	s_delay_alu instid0(VALU_DEP_3) | instskip(NEXT) | instid1(VALU_DEP_3)
	v_mad_co_u64_u32 v[8:9], null, v9, s15, v[5:6]
	v_mov_b32_e32 v1, v7
	s_delay_alu instid0(VALU_DEP_3)
	v_mul_lo_u32 v7, s7, v3
	v_mad_co_u64_u32 v[11:12], null, s6, v3, 0
	s_mul_i32 s6, s6, s1
	v_lshlrev_b64_e32 v[0:1], 1, v[0:1]
	v_add_co_u32 v9, s0, s0, v10
	v_lshlrev_b32_e32 v17, 1, v10
	s_wait_alu 0xf1ff
	v_add_co_ci_u32_e64 v10, null, s1, 0, s0
	s_wait_alu 0xfffe
	v_add3_u32 v12, v12, s6, v7
	s_lshl_b64 s[0:1], s[26:27], 1
	v_mov_b32_e32 v3, v6
	s_wait_alu 0xfffe
	v_add_co_u32 v6, vcc_lo, v0, s0
	s_delay_alu instid0(VALU_DEP_1) | instskip(SKIP_1) | instid1(VALU_DEP_3)
	v_add_co_ci_u32_e64 v7, null, s1, v1, vcc_lo
	v_lshlrev_b64_e32 v[0:1], 1, v[11:12]
	v_add_co_u32 v19, vcc_lo, v6, v13
	s_lshl_b64 s[0:1], s[8:9], 1
	s_wait_alu 0xfffd
	v_add_co_ci_u32_e64 v20, null, 0, v7, vcc_lo
	s_wait_alu 0xfffe
	v_add_co_u32 v0, vcc_lo, v0, s0
	v_cmp_gt_i64_e64 s0, s[28:29], 0
	v_dual_mov_b32 v5, v8 :: v_dual_lshlrev_b32 v6, 1, v21
	s_wait_alu 0xfffd
	v_add_co_ci_u32_e64 v1, null, s1, v1, vcc_lo
	v_lshlrev_b64_e32 v[2:3], 1, v[2:3]
	s_wait_alu 0xf1ff
	v_cndmask_b32_e64 v7, 0, 1, s0
	v_add_co_u32 v21, vcc_lo, v0, v6
	v_cndmask_b32_e64 v6, 0, 1, s24
	s_wait_alu 0xfffd
	v_add_co_ci_u32_e64 v22, null, 0, v1, vcc_lo
	v_lshlrev_b64_e32 v[0:1], 1, v[4:5]
	v_lshlrev_b64_e32 v[4:5], 1, v[9:10]
	v_cmp_ne_u32_e64 s0, 1, v7
	v_cmp_ne_u32_e64 s1, 1, v6
	s_lshl_b64 s[6:7], s[22:23], 1
	s_lshl_b64 s[8:9], s[2:3], 1
	s_lshl_b64 s[14:15], s[16:17], 1
	s_lshl_b64 s[16:17], s[20:21], 1
	s_branch .LBB157_3
.LBB157_2:                              ;   in Loop: Header=BB157_3 Depth=1
	s_add_co_i32 s34, s34, 0x10000
	s_wait_alu 0xfffe
	s_cmp_lt_i32 s34, s31
	s_cbranch_scc0 .LBB157_11
.LBB157_3:                              ; =>This Loop Header: Depth=1
                                        ;     Child Loop BB157_5 Depth 2
	s_lshl_b64 s[2:3], s[34:35], 3
	s_and_b32 vcc_lo, exec_lo, s0
	s_wait_alu 0xfffe
	s_add_nc_u64 s[20:21], s[12:13], s[2:3]
	s_add_nc_u64 s[22:23], s[18:19], s[2:3]
	s_clause 0x1
	global_load_b64 v[6:7], v14, s[20:21]
	global_load_b64 v[8:9], v14, s[22:23]
	s_cbranch_vccnz .LBB157_6
; %bb.4:                                ;   in Loop: Header=BB157_3 Depth=1
	s_add_nc_u64 s[20:21], s[10:11], s[2:3]
	s_add_nc_u64 s[2:3], s[4:5], s[2:3]
	s_clause 0x1
	global_load_b64 v[10:11], v14, s[20:21]
	global_load_b64 v[12:13], v14, s[2:3]
	v_dual_mov_b32 v23, 0 :: v_dual_mov_b32 v24, 0
	s_mov_b64 s[20:21], 0
	s_wait_loadcnt 0x1
	v_add_co_u32 v10, vcc_lo, v10, v19
	s_wait_alu 0xfffd
	v_add_co_ci_u32_e64 v11, null, v11, v20, vcc_lo
	s_wait_loadcnt 0x0
	v_add_co_u32 v12, vcc_lo, v12, v21
	s_wait_alu 0xfffd
	v_add_co_ci_u32_e64 v13, null, v13, v22, vcc_lo
.LBB157_5:                              ;   Parent Loop BB157_3 Depth=1
                                        ; =>  This Inner Loop Header: Depth=2
	flat_load_u16 v25, v[12:13]
	s_wait_alu 0xfffe
	s_add_nc_u64 s[20:21], s[20:21], 8
	v_add_co_u32 v12, vcc_lo, v12, 16
	s_wait_alu 0xfffe
	v_cmp_lt_i64_e64 s2, s[20:21], s[28:29]
	s_wait_alu 0xfffd
	v_add_co_ci_u32_e64 v13, null, 0, v13, vcc_lo
	s_and_b32 vcc_lo, exec_lo, s2
	s_wait_loadcnt_dscnt 0x0
	ds_store_b16 v15, v25
	flat_load_u16 v25, v[10:11]
	v_add_co_u32 v10, s2, v10, 16
	s_wait_alu 0xf1ff
	v_add_co_ci_u32_e64 v11, null, 0, v11, s2
	s_wait_loadcnt_dscnt 0x0
	ds_store_b16 v16, v25
	s_wait_dscnt 0x0
	s_barrier_signal -1
	s_barrier_wait -1
	global_inv scope:SCOPE_SE
	ds_load_u16 v33, v17 offset:32
	ds_load_u16 v34, v17 offset:96
	;; [unrolled: 1-line block ×3, first 2 shown]
	ds_load_b128 v[25:28], v18
	ds_load_b128 v[29:32], v18 offset:256
	ds_load_u16 v36, v17 offset:224
	ds_load_u16 v37, v17 offset:288
	;; [unrolled: 1-line block ×5, first 2 shown]
	s_wait_dscnt 0x9
	ds_load_u16_d16_hi v33, v17
	s_wait_dscnt 0x9
	ds_load_u16_d16_hi v34, v17 offset:64
	s_wait_dscnt 0x9
	ds_load_u16_d16_hi v35, v17 offset:128
	;; [unrolled: 2-line block ×7, first 2 shown]
	s_wait_loadcnt_dscnt 0x0
	s_barrier_signal -1
	s_barrier_wait -1
	global_inv scope:SCOPE_SE
	v_pk_fma_f16 v24, v33, v25, v24 op_sel_hi:[1,0,1]
	v_pk_fma_f16 v23, v33, v29, v23 op_sel_hi:[1,0,1]
	s_delay_alu instid0(VALU_DEP_2) | instskip(NEXT) | instid1(VALU_DEP_2)
	v_pk_fma_f16 v24, v34, v25, v24 op_sel:[0,1,0]
	v_pk_fma_f16 v23, v34, v29, v23 op_sel:[0,1,0]
	s_delay_alu instid0(VALU_DEP_2) | instskip(NEXT) | instid1(VALU_DEP_2)
	v_pk_fma_f16 v24, v35, v26, v24 op_sel_hi:[1,0,1]
	v_pk_fma_f16 v23, v35, v30, v23 op_sel_hi:[1,0,1]
	s_delay_alu instid0(VALU_DEP_2) | instskip(NEXT) | instid1(VALU_DEP_2)
	v_pk_fma_f16 v24, v36, v26, v24 op_sel:[0,1,0]
	v_pk_fma_f16 v23, v36, v30, v23 op_sel:[0,1,0]
	s_delay_alu instid0(VALU_DEP_2) | instskip(NEXT) | instid1(VALU_DEP_2)
	;; [unrolled: 6-line block ×3, first 2 shown]
	v_pk_fma_f16 v24, v39, v28, v24 op_sel_hi:[1,0,1]
	v_pk_fma_f16 v23, v39, v32, v23 op_sel_hi:[1,0,1]
	s_delay_alu instid0(VALU_DEP_2) | instskip(NEXT) | instid1(VALU_DEP_2)
	v_pk_fma_f16 v24, v40, v28, v24 op_sel:[0,1,0]
	v_pk_fma_f16 v23, v40, v32, v23 op_sel:[0,1,0]
	s_wait_alu 0xfffe
	s_cbranch_vccnz .LBB157_5
	s_branch .LBB157_7
.LBB157_6:                              ;   in Loop: Header=BB157_3 Depth=1
	v_dual_mov_b32 v24, 0 :: v_dual_mov_b32 v23, 0
.LBB157_7:                              ;   in Loop: Header=BB157_3 Depth=1
	s_wait_loadcnt 0x0
	v_add_co_u32 v10, vcc_lo, v8, s6
	s_wait_alu 0xfffd
	v_add_co_ci_u32_e64 v11, null, s7, v9, vcc_lo
	v_lshrrev_b32_e32 v9, 16, v24
	v_lshrrev_b32_e32 v8, 16, v23
	s_and_b32 vcc_lo, exec_lo, s1
	s_wait_alu 0xfffe
	s_cbranch_vccnz .LBB157_9
; %bb.8:                                ;   in Loop: Header=BB157_3 Depth=1
	v_add_co_u32 v25, vcc_lo, v10, v2
	s_wait_alu 0xfffd
	v_add_co_ci_u32_e64 v26, null, v11, v3, vcc_lo
	v_mul_f16_e32 v27, s30, v9
	s_delay_alu instid0(VALU_DEP_3) | instskip(SKIP_1) | instid1(VALU_DEP_3)
	v_add_co_u32 v12, vcc_lo, v25, v4
	s_wait_alu 0xfffd
	v_add_co_ci_u32_e64 v13, null, v26, v5, vcc_lo
	v_add_co_u32 v25, vcc_lo, v25, s8
	s_wait_alu 0xfffd
	v_add_co_ci_u32_e64 v26, null, s9, v26, vcc_lo
	v_mul_f16_e32 v29, s30, v8
	s_delay_alu instid0(VALU_DEP_3) | instskip(SKIP_1) | instid1(VALU_DEP_3)
	v_add_co_u32 v25, vcc_lo, v25, v4
	s_wait_alu 0xfffd
	v_add_co_ci_u32_e64 v26, null, v26, v5, vcc_lo
	v_mul_f16_e32 v28, s30, v24
	v_mul_f16_e32 v30, s30, v23
	s_clause 0x3
	flat_store_b16 v[12:13], v27
	flat_store_b16 v[12:13], v28 offset:32
	flat_store_b16 v[25:26], v29
	flat_store_b16 v[25:26], v30 offset:32
	s_cbranch_execnz .LBB157_2
	s_branch .LBB157_10
.LBB157_9:                              ;   in Loop: Header=BB157_3 Depth=1
.LBB157_10:                             ;   in Loop: Header=BB157_3 Depth=1
	v_add_co_u32 v6, vcc_lo, v6, s14
	s_wait_alu 0xfffd
	v_add_co_ci_u32_e64 v7, null, s15, v7, vcc_lo
	s_delay_alu instid0(VALU_DEP_2) | instskip(SKIP_1) | instid1(VALU_DEP_2)
	v_add_co_u32 v12, vcc_lo, v6, v0
	s_wait_alu 0xfffd
	v_add_co_ci_u32_e64 v13, null, v7, v1, vcc_lo
	s_delay_alu instid0(VALU_DEP_2) | instskip(SKIP_1) | instid1(VALU_DEP_2)
	v_add_co_u32 v6, vcc_lo, v12, v4
	s_wait_alu 0xfffd
	v_add_co_ci_u32_e64 v7, null, v13, v5, vcc_lo
	v_add_co_u32 v26, vcc_lo, v10, v2
	s_wait_alu 0xfffd
	v_add_co_ci_u32_e64 v27, null, v11, v3, vcc_lo
	flat_load_u16 v25, v[6:7]
	v_add_co_u32 v10, vcc_lo, v26, v4
	s_wait_alu 0xfffd
	v_add_co_ci_u32_e64 v11, null, v27, v5, vcc_lo
	s_wait_loadcnt_dscnt 0x0
	v_mul_f16_e32 v25, s33, v25
	s_delay_alu instid0(VALU_DEP_1)
	v_fmac_f16_e32 v25, s30, v9
	flat_store_b16 v[10:11], v25
	flat_load_u16 v6, v[6:7] offset:32
	s_wait_loadcnt_dscnt 0x0
	v_mul_f16_e32 v9, s33, v6
	v_add_co_u32 v6, vcc_lo, v12, s16
	s_wait_alu 0xfffd
	v_add_co_ci_u32_e64 v7, null, s17, v13, vcc_lo
	s_delay_alu instid0(VALU_DEP_3) | instskip(NEXT) | instid1(VALU_DEP_3)
	v_fmac_f16_e32 v9, s30, v24
	v_add_co_u32 v6, vcc_lo, v6, v4
	s_wait_alu 0xfffd
	s_delay_alu instid0(VALU_DEP_3)
	v_add_co_ci_u32_e64 v7, null, v7, v5, vcc_lo
	flat_store_b16 v[10:11], v9 offset:32
	flat_load_u16 v9, v[6:7]
	s_wait_loadcnt_dscnt 0x0
	v_mul_f16_e32 v10, s33, v9
	v_add_co_u32 v9, vcc_lo, v26, s8
	s_wait_alu 0xfffd
	v_add_co_ci_u32_e64 v11, null, s9, v27, vcc_lo
	s_delay_alu instid0(VALU_DEP_3) | instskip(NEXT) | instid1(VALU_DEP_3)
	v_fmac_f16_e32 v10, s30, v8
	v_add_co_u32 v8, vcc_lo, v9, v4
	s_wait_alu 0xfffd
	s_delay_alu instid0(VALU_DEP_3) | instskip(SKIP_4) | instid1(VALU_DEP_1)
	v_add_co_ci_u32_e64 v9, null, v11, v5, vcc_lo
	flat_store_b16 v[8:9], v10
	flat_load_u16 v6, v[6:7] offset:32
	s_wait_loadcnt_dscnt 0x0
	v_mul_f16_e32 v6, s33, v6
	v_fmac_f16_e32 v6, s30, v23
	flat_store_b16 v[8:9], v6 offset:32
	s_branch .LBB157_2
.LBB157_11:
	s_endpgm
	.section	.rodata,"a",@progbits
	.p2align	6, 0x0
	.amdhsa_kernel _ZN12_GLOBAL__N_127rocblas_gemm_batched_kernelIDF16_Li16ELi16ELi32ELi32ELi8ELi32ELi8ELi8ELi32ELc84ELc78EKPKDF16_S3_KPDF16_EEvlllT_PT11_llS8_llS6_PT12_llPT13_lli
		.amdhsa_group_segment_fixed_size 1024
		.amdhsa_private_segment_fixed_size 0
		.amdhsa_kernarg_size 140
		.amdhsa_user_sgpr_count 2
		.amdhsa_user_sgpr_dispatch_ptr 0
		.amdhsa_user_sgpr_queue_ptr 0
		.amdhsa_user_sgpr_kernarg_segment_ptr 1
		.amdhsa_user_sgpr_dispatch_id 0
		.amdhsa_user_sgpr_private_segment_size 0
		.amdhsa_wavefront_size32 1
		.amdhsa_uses_dynamic_stack 0
		.amdhsa_enable_private_segment 0
		.amdhsa_system_sgpr_workgroup_id_x 1
		.amdhsa_system_sgpr_workgroup_id_y 1
		.amdhsa_system_sgpr_workgroup_id_z 1
		.amdhsa_system_sgpr_workgroup_info 0
		.amdhsa_system_vgpr_workitem_id 1
		.amdhsa_next_free_vgpr 41
		.amdhsa_next_free_sgpr 36
		.amdhsa_reserve_vcc 1
		.amdhsa_float_round_mode_32 0
		.amdhsa_float_round_mode_16_64 0
		.amdhsa_float_denorm_mode_32 3
		.amdhsa_float_denorm_mode_16_64 3
		.amdhsa_fp16_overflow 0
		.amdhsa_workgroup_processor_mode 1
		.amdhsa_memory_ordered 1
		.amdhsa_forward_progress 1
		.amdhsa_inst_pref_size 14
		.amdhsa_round_robin_scheduling 0
		.amdhsa_exception_fp_ieee_invalid_op 0
		.amdhsa_exception_fp_denorm_src 0
		.amdhsa_exception_fp_ieee_div_zero 0
		.amdhsa_exception_fp_ieee_overflow 0
		.amdhsa_exception_fp_ieee_underflow 0
		.amdhsa_exception_fp_ieee_inexact 0
		.amdhsa_exception_int_div_zero 0
	.end_amdhsa_kernel
	.section	.text._ZN12_GLOBAL__N_127rocblas_gemm_batched_kernelIDF16_Li16ELi16ELi32ELi32ELi8ELi32ELi8ELi8ELi32ELc84ELc78EKPKDF16_S3_KPDF16_EEvlllT_PT11_llS8_llS6_PT12_llPT13_lli,"axG",@progbits,_ZN12_GLOBAL__N_127rocblas_gemm_batched_kernelIDF16_Li16ELi16ELi32ELi32ELi8ELi32ELi8ELi8ELi32ELc84ELc78EKPKDF16_S3_KPDF16_EEvlllT_PT11_llS8_llS6_PT12_llPT13_lli,comdat
.Lfunc_end157:
	.size	_ZN12_GLOBAL__N_127rocblas_gemm_batched_kernelIDF16_Li16ELi16ELi32ELi32ELi8ELi32ELi8ELi8ELi32ELc84ELc78EKPKDF16_S3_KPDF16_EEvlllT_PT11_llS8_llS6_PT12_llPT13_lli, .Lfunc_end157-_ZN12_GLOBAL__N_127rocblas_gemm_batched_kernelIDF16_Li16ELi16ELi32ELi32ELi8ELi32ELi8ELi8ELi32ELc84ELc78EKPKDF16_S3_KPDF16_EEvlllT_PT11_llS8_llS6_PT12_llPT13_lli
                                        ; -- End function
	.set _ZN12_GLOBAL__N_127rocblas_gemm_batched_kernelIDF16_Li16ELi16ELi32ELi32ELi8ELi32ELi8ELi8ELi32ELc84ELc78EKPKDF16_S3_KPDF16_EEvlllT_PT11_llS8_llS6_PT12_llPT13_lli.num_vgpr, 41
	.set _ZN12_GLOBAL__N_127rocblas_gemm_batched_kernelIDF16_Li16ELi16ELi32ELi32ELi8ELi32ELi8ELi8ELi32ELc84ELc78EKPKDF16_S3_KPDF16_EEvlllT_PT11_llS8_llS6_PT12_llPT13_lli.num_agpr, 0
	.set _ZN12_GLOBAL__N_127rocblas_gemm_batched_kernelIDF16_Li16ELi16ELi32ELi32ELi8ELi32ELi8ELi8ELi32ELc84ELc78EKPKDF16_S3_KPDF16_EEvlllT_PT11_llS8_llS6_PT12_llPT13_lli.numbered_sgpr, 36
	.set _ZN12_GLOBAL__N_127rocblas_gemm_batched_kernelIDF16_Li16ELi16ELi32ELi32ELi8ELi32ELi8ELi8ELi32ELc84ELc78EKPKDF16_S3_KPDF16_EEvlllT_PT11_llS8_llS6_PT12_llPT13_lli.num_named_barrier, 0
	.set _ZN12_GLOBAL__N_127rocblas_gemm_batched_kernelIDF16_Li16ELi16ELi32ELi32ELi8ELi32ELi8ELi8ELi32ELc84ELc78EKPKDF16_S3_KPDF16_EEvlllT_PT11_llS8_llS6_PT12_llPT13_lli.private_seg_size, 0
	.set _ZN12_GLOBAL__N_127rocblas_gemm_batched_kernelIDF16_Li16ELi16ELi32ELi32ELi8ELi32ELi8ELi8ELi32ELc84ELc78EKPKDF16_S3_KPDF16_EEvlllT_PT11_llS8_llS6_PT12_llPT13_lli.uses_vcc, 1
	.set _ZN12_GLOBAL__N_127rocblas_gemm_batched_kernelIDF16_Li16ELi16ELi32ELi32ELi8ELi32ELi8ELi8ELi32ELc84ELc78EKPKDF16_S3_KPDF16_EEvlllT_PT11_llS8_llS6_PT12_llPT13_lli.uses_flat_scratch, 1
	.set _ZN12_GLOBAL__N_127rocblas_gemm_batched_kernelIDF16_Li16ELi16ELi32ELi32ELi8ELi32ELi8ELi8ELi32ELc84ELc78EKPKDF16_S3_KPDF16_EEvlllT_PT11_llS8_llS6_PT12_llPT13_lli.has_dyn_sized_stack, 0
	.set _ZN12_GLOBAL__N_127rocblas_gemm_batched_kernelIDF16_Li16ELi16ELi32ELi32ELi8ELi32ELi8ELi8ELi32ELc84ELc78EKPKDF16_S3_KPDF16_EEvlllT_PT11_llS8_llS6_PT12_llPT13_lli.has_recursion, 0
	.set _ZN12_GLOBAL__N_127rocblas_gemm_batched_kernelIDF16_Li16ELi16ELi32ELi32ELi8ELi32ELi8ELi8ELi32ELc84ELc78EKPKDF16_S3_KPDF16_EEvlllT_PT11_llS8_llS6_PT12_llPT13_lli.has_indirect_call, 0
	.section	.AMDGPU.csdata,"",@progbits
; Kernel info:
; codeLenInByte = 1780
; TotalNumSgprs: 38
; NumVgprs: 41
; ScratchSize: 0
; MemoryBound: 0
; FloatMode: 240
; IeeeMode: 1
; LDSByteSize: 1024 bytes/workgroup (compile time only)
; SGPRBlocks: 0
; VGPRBlocks: 5
; NumSGPRsForWavesPerEU: 38
; NumVGPRsForWavesPerEU: 41
; Occupancy: 16
; WaveLimiterHint : 1
; COMPUTE_PGM_RSRC2:SCRATCH_EN: 0
; COMPUTE_PGM_RSRC2:USER_SGPR: 2
; COMPUTE_PGM_RSRC2:TRAP_HANDLER: 0
; COMPUTE_PGM_RSRC2:TGID_X_EN: 1
; COMPUTE_PGM_RSRC2:TGID_Y_EN: 1
; COMPUTE_PGM_RSRC2:TGID_Z_EN: 1
; COMPUTE_PGM_RSRC2:TIDIG_COMP_CNT: 1
	.section	.text._ZN12_GLOBAL__N_127rocblas_gemm_batched_kernelIDF16_Li16ELi16ELi32ELi32ELi8ELi32ELi8ELi8ELi32ELc78ELc84EKPKDF16_S3_KPDF16_EEvlllT_PT11_llS8_llS6_PT12_llPT13_lli,"axG",@progbits,_ZN12_GLOBAL__N_127rocblas_gemm_batched_kernelIDF16_Li16ELi16ELi32ELi32ELi8ELi32ELi8ELi8ELi32ELc78ELc84EKPKDF16_S3_KPDF16_EEvlllT_PT11_llS8_llS6_PT12_llPT13_lli,comdat
	.globl	_ZN12_GLOBAL__N_127rocblas_gemm_batched_kernelIDF16_Li16ELi16ELi32ELi32ELi8ELi32ELi8ELi8ELi32ELc78ELc84EKPKDF16_S3_KPDF16_EEvlllT_PT11_llS8_llS6_PT12_llPT13_lli ; -- Begin function _ZN12_GLOBAL__N_127rocblas_gemm_batched_kernelIDF16_Li16ELi16ELi32ELi32ELi8ELi32ELi8ELi8ELi32ELc78ELc84EKPKDF16_S3_KPDF16_EEvlllT_PT11_llS8_llS6_PT12_llPT13_lli
	.p2align	8
	.type	_ZN12_GLOBAL__N_127rocblas_gemm_batched_kernelIDF16_Li16ELi16ELi32ELi32ELi8ELi32ELi8ELi8ELi32ELc78ELc84EKPKDF16_S3_KPDF16_EEvlllT_PT11_llS8_llS6_PT12_llPT13_lli,@function
_ZN12_GLOBAL__N_127rocblas_gemm_batched_kernelIDF16_Li16ELi16ELi32ELi32ELi8ELi32ELi8ELi8ELi32ELc78ELc84EKPKDF16_S3_KPDF16_EEvlllT_PT11_llS8_llS6_PT12_llPT13_lli: ; @_ZN12_GLOBAL__N_127rocblas_gemm_batched_kernelIDF16_Li16ELi16ELi32ELi32ELi8ELi32ELi8ELi8ELi32ELc78ELc84EKPKDF16_S3_KPDF16_EEvlllT_PT11_llS8_llS6_PT12_llPT13_lli
; %bb.0:
	s_load_b32 s31, s[0:1], 0x88
	s_lshr_b32 s34, ttmp7, 16
	s_wait_kmcnt 0x0
	s_cmp_ge_i32 s34, s31
	s_cbranch_scc1 .LBB158_11
; %bb.1:
	v_bfe_u32 v1, v0, 10, 10
	s_load_b128 s[20:23], s[0:1], 0x78
	v_and_b32_e32 v10, 0x3ff, v0
	s_clause 0x4
	s_load_b96 s[28:30], s[0:1], 0x10
	s_load_b256 s[4:11], s[0:1], 0x20
	s_load_b128 s[24:27], s[0:1], 0x40
	s_load_b32 s33, s[0:1], 0x50
	s_load_b256 s[12:19], s[0:1], 0x58
	v_lshlrev_b32_e32 v2, 4, v1
	s_lshl_b32 s0, ttmp7, 5
	v_and_b32_e32 v14, 7, v0
	s_and_b32 s36, s0, 0x1fffe0
	s_mov_b32 s2, ttmp9
	v_dual_mov_b32 v1, 0 :: v_dual_add_nc_u32 v22, s36, v1
	v_add_nc_u32_e32 v3, v2, v10
	v_lshlrev_b32_e32 v4, 1, v14
	v_add_nc_u32_e32 v19, 0x200, v2
	s_ashr_i32 s3, ttmp9, 31
	v_lshlrev_b32_e32 v18, 1, v10
	v_lshrrev_b32_e32 v0, 3, v3
	s_lshl_b64 s[0:1], s[2:3], 5
	s_mov_b32 s35, 0
	v_add_co_u32 v10, s2, s0, v10
	s_delay_alu instid0(VALU_DEP_2) | instskip(SKIP_3) | instid1(VALU_DEP_3)
	v_lshl_or_b32 v6, v0, 4, v4
	s_wait_kmcnt 0x0
	v_mad_co_u64_u32 v[4:5], null, v22, s20, 0
	v_mad_co_u64_u32 v[8:9], null, v22, s14, 0
	v_add_nc_u32_e32 v17, 0x200, v6
	s_cmp_eq_f16 s33, 0
	v_add_co_ci_u32_e64 v11, null, s1, 0, s2
	s_delay_alu instid0(VALU_DEP_4)
	v_mov_b32_e32 v2, v5
	v_and_b32_e32 v20, 31, v3
	v_lshrrev_b32_e32 v21, 5, v3
	s_cselect_b32 s37, -1, 0
	s_lshl_b64 s[2:3], s[20:21], 4
	s_lshl_b64 s[16:17], s[16:17], 1
	v_lshlrev_b32_e32 v3, 1, v20
	v_mad_co_u64_u32 v[12:13], null, s6, v21, s[0:1]
	s_lshl_b64 s[0:1], s[26:27], 1
	v_lshl_or_b32 v16, v21, 6, v3
	v_mad_co_u64_u32 v[2:3], null, v22, s21, v[2:3]
	s_lshl_b64 s[20:21], s[14:15], 4
	s_wait_alu 0xfffe
	s_lshl_b64 s[20:21], s[20:21], 1
	v_mov_b32_e32 v5, v2
	v_mad_co_u64_u32 v[6:7], null, s24, v14, v[0:1]
	v_mov_b32_e32 v2, v9
	s_delay_alu instid0(VALU_DEP_3) | instskip(NEXT) | instid1(VALU_DEP_2)
	v_lshlrev_b64_e32 v[4:5], 1, v[4:5]
	v_mad_co_u64_u32 v[2:3], null, v22, s15, v[2:3]
	s_delay_alu instid0(VALU_DEP_4) | instskip(SKIP_4) | instid1(VALU_DEP_2)
	v_mov_b32_e32 v0, v7
	v_add_co_u32 v6, vcc_lo, v6, s36
	s_lshl_b64 s[14:15], s[24:25], 4
	v_mad_co_u64_u32 v[14:15], null, s25, v14, v[0:1]
	v_dual_mov_b32 v0, v13 :: v_dual_mov_b32 v9, v2
	v_add_co_ci_u32_e64 v7, null, 0, v14, vcc_lo
	s_delay_alu instid0(VALU_DEP_2)
	v_mad_co_u64_u32 v[13:14], null, s7, v21, v[0:1]
	s_lshl_b64 s[6:7], s[6:7], 4
	v_lshlrev_b64_e32 v[2:3], 1, v[6:7]
	v_add_co_u32 v6, vcc_lo, v12, v20
	v_cndmask_b32_e64 v12, 0, 1, s37
	s_wait_alu 0xfffd
	v_add_co_ci_u32_e64 v7, null, 0, v13, vcc_lo
	s_delay_alu instid0(VALU_DEP_4)
	v_add_co_u32 v0, vcc_lo, s0, v2
	s_wait_alu 0xfffd
	v_add_co_ci_u32_e64 v20, null, s1, v3, vcc_lo
	s_lshl_b64 s[0:1], s[8:9], 1
	v_cmp_gt_i64_e64 s8, s[28:29], 0
	v_lshlrev_b64_e32 v[2:3], 1, v[6:7]
	s_delay_alu instid0(VALU_DEP_2) | instskip(SKIP_1) | instid1(VALU_DEP_2)
	v_cndmask_b32_e64 v6, 0, 1, s8
	s_wait_alu 0xfffe
	v_add_co_u32 v21, vcc_lo, s0, v2
	s_wait_alu 0xfffd
	s_delay_alu instid0(VALU_DEP_3)
	v_add_co_ci_u32_e64 v22, null, s1, v3, vcc_lo
	v_cmp_ne_u32_e64 s0, 1, v6
	v_lshlrev_b64_e32 v[2:3], 1, v[8:9]
	v_lshlrev_b64_e32 v[6:7], 1, v[10:11]
	v_cmp_ne_u32_e64 s1, 1, v12
	s_lshl_b64 s[8:9], s[22:23], 1
	s_lshl_b64 s[22:23], s[2:3], 1
	s_branch .LBB158_3
.LBB158_2:                              ;   in Loop: Header=BB158_3 Depth=1
	s_add_co_i32 s34, s34, 0x10000
	s_delay_alu instid0(SALU_CYCLE_1)
	s_cmp_lt_i32 s34, s31
	s_cbranch_scc0 .LBB158_11
.LBB158_3:                              ; =>This Loop Header: Depth=1
                                        ;     Child Loop BB158_5 Depth 2
	s_lshl_b64 s[2:3], s[34:35], 3
	s_and_b32 vcc_lo, exec_lo, s0
	s_wait_alu 0xfffe
	s_add_nc_u64 s[24:25], s[12:13], s[2:3]
	s_add_nc_u64 s[26:27], s[18:19], s[2:3]
	s_clause 0x1
	global_load_b64 v[8:9], v1, s[24:25]
	global_load_b64 v[10:11], v1, s[26:27]
	s_cbranch_vccnz .LBB158_6
; %bb.4:                                ;   in Loop: Header=BB158_3 Depth=1
	s_add_nc_u64 s[24:25], s[10:11], s[2:3]
	s_add_nc_u64 s[2:3], s[4:5], s[2:3]
	s_clause 0x1
	global_load_b64 v[12:13], v1, s[24:25]
	global_load_b64 v[14:15], v1, s[2:3]
	v_dual_mov_b32 v23, 0 :: v_dual_mov_b32 v24, 0
	s_mov_b64 s[24:25], 0
	s_wait_loadcnt 0x1
	v_add_co_u32 v12, vcc_lo, v12, v0
	s_wait_alu 0xfffd
	v_add_co_ci_u32_e64 v13, null, v13, v20, vcc_lo
	s_wait_loadcnt 0x0
	v_add_co_u32 v14, vcc_lo, v14, v21
	s_wait_alu 0xfffd
	v_add_co_ci_u32_e64 v15, null, v15, v22, vcc_lo
.LBB158_5:                              ;   Parent Loop BB158_3 Depth=1
                                        ; =>  This Inner Loop Header: Depth=2
	flat_load_u16 v25, v[14:15]
	s_wait_alu 0xfffe
	s_add_nc_u64 s[24:25], s[24:25], 8
	v_add_co_u32 v14, vcc_lo, v14, s6
	s_wait_alu 0xfffe
	v_cmp_lt_i64_e64 s2, s[24:25], s[28:29]
	s_wait_alu 0xfffd
	v_add_co_ci_u32_e64 v15, null, s7, v15, vcc_lo
	s_and_b32 vcc_lo, exec_lo, s2
	s_wait_loadcnt_dscnt 0x0
	ds_store_b16 v16, v25
	flat_load_u16 v25, v[12:13]
	v_add_co_u32 v12, s2, v12, s14
	s_wait_alu 0xf1ff
	v_add_co_ci_u32_e64 v13, null, s15, v13, s2
	s_wait_loadcnt_dscnt 0x0
	ds_store_b16 v17, v25
	s_wait_dscnt 0x0
	s_barrier_signal -1
	s_barrier_wait -1
	global_inv scope:SCOPE_SE
	ds_load_u16 v33, v18 offset:32
	ds_load_u16 v34, v18 offset:96
	;; [unrolled: 1-line block ×3, first 2 shown]
	ds_load_b128 v[25:28], v19
	ds_load_b128 v[29:32], v19 offset:256
	ds_load_u16 v36, v18 offset:224
	ds_load_u16 v37, v18 offset:288
	;; [unrolled: 1-line block ×5, first 2 shown]
	s_wait_dscnt 0x9
	ds_load_u16_d16_hi v33, v18
	s_wait_dscnt 0x9
	ds_load_u16_d16_hi v34, v18 offset:64
	s_wait_dscnt 0x9
	ds_load_u16_d16_hi v35, v18 offset:128
	;; [unrolled: 2-line block ×7, first 2 shown]
	s_wait_loadcnt_dscnt 0x0
	s_barrier_signal -1
	s_barrier_wait -1
	global_inv scope:SCOPE_SE
	v_pk_fma_f16 v24, v33, v25, v24 op_sel_hi:[1,0,1]
	v_pk_fma_f16 v23, v33, v29, v23 op_sel_hi:[1,0,1]
	s_delay_alu instid0(VALU_DEP_2) | instskip(NEXT) | instid1(VALU_DEP_2)
	v_pk_fma_f16 v24, v34, v25, v24 op_sel:[0,1,0]
	v_pk_fma_f16 v23, v34, v29, v23 op_sel:[0,1,0]
	s_delay_alu instid0(VALU_DEP_2) | instskip(NEXT) | instid1(VALU_DEP_2)
	v_pk_fma_f16 v24, v35, v26, v24 op_sel_hi:[1,0,1]
	v_pk_fma_f16 v23, v35, v30, v23 op_sel_hi:[1,0,1]
	s_delay_alu instid0(VALU_DEP_2) | instskip(NEXT) | instid1(VALU_DEP_2)
	v_pk_fma_f16 v24, v36, v26, v24 op_sel:[0,1,0]
	v_pk_fma_f16 v23, v36, v30, v23 op_sel:[0,1,0]
	s_delay_alu instid0(VALU_DEP_2) | instskip(NEXT) | instid1(VALU_DEP_2)
	;; [unrolled: 6-line block ×3, first 2 shown]
	v_pk_fma_f16 v24, v39, v28, v24 op_sel_hi:[1,0,1]
	v_pk_fma_f16 v23, v39, v32, v23 op_sel_hi:[1,0,1]
	s_delay_alu instid0(VALU_DEP_2) | instskip(NEXT) | instid1(VALU_DEP_2)
	v_pk_fma_f16 v24, v40, v28, v24 op_sel:[0,1,0]
	v_pk_fma_f16 v23, v40, v32, v23 op_sel:[0,1,0]
	s_wait_alu 0xfffe
	s_cbranch_vccnz .LBB158_5
	s_branch .LBB158_7
.LBB158_6:                              ;   in Loop: Header=BB158_3 Depth=1
	v_dual_mov_b32 v24, 0 :: v_dual_mov_b32 v23, 0
.LBB158_7:                              ;   in Loop: Header=BB158_3 Depth=1
	s_wait_loadcnt 0x0
	v_add_co_u32 v12, vcc_lo, v10, s8
	s_wait_alu 0xfffd
	v_add_co_ci_u32_e64 v13, null, s9, v11, vcc_lo
	v_lshrrev_b32_e32 v11, 16, v24
	v_lshrrev_b32_e32 v10, 16, v23
	s_and_b32 vcc_lo, exec_lo, s1
	s_wait_alu 0xfffe
	s_cbranch_vccnz .LBB158_9
; %bb.8:                                ;   in Loop: Header=BB158_3 Depth=1
	v_add_co_u32 v25, vcc_lo, v12, v4
	s_wait_alu 0xfffd
	v_add_co_ci_u32_e64 v26, null, v13, v5, vcc_lo
	v_mul_f16_e32 v27, s30, v11
	s_delay_alu instid0(VALU_DEP_3) | instskip(SKIP_1) | instid1(VALU_DEP_3)
	v_add_co_u32 v14, vcc_lo, v25, v6
	s_wait_alu 0xfffd
	v_add_co_ci_u32_e64 v15, null, v26, v7, vcc_lo
	v_add_co_u32 v25, vcc_lo, v25, s22
	s_wait_alu 0xfffd
	v_add_co_ci_u32_e64 v26, null, s23, v26, vcc_lo
	v_mul_f16_e32 v29, s30, v10
	s_delay_alu instid0(VALU_DEP_3) | instskip(SKIP_1) | instid1(VALU_DEP_3)
	v_add_co_u32 v25, vcc_lo, v25, v6
	s_wait_alu 0xfffd
	v_add_co_ci_u32_e64 v26, null, v26, v7, vcc_lo
	v_mul_f16_e32 v28, s30, v24
	v_mul_f16_e32 v30, s30, v23
	s_clause 0x3
	flat_store_b16 v[14:15], v27
	flat_store_b16 v[14:15], v28 offset:32
	flat_store_b16 v[25:26], v29
	flat_store_b16 v[25:26], v30 offset:32
	s_cbranch_execnz .LBB158_2
	s_branch .LBB158_10
.LBB158_9:                              ;   in Loop: Header=BB158_3 Depth=1
.LBB158_10:                             ;   in Loop: Header=BB158_3 Depth=1
	v_add_co_u32 v8, vcc_lo, v8, s16
	s_wait_alu 0xfffd
	v_add_co_ci_u32_e64 v9, null, s17, v9, vcc_lo
	s_delay_alu instid0(VALU_DEP_2) | instskip(SKIP_1) | instid1(VALU_DEP_2)
	v_add_co_u32 v14, vcc_lo, v8, v2
	s_wait_alu 0xfffd
	v_add_co_ci_u32_e64 v15, null, v9, v3, vcc_lo
	s_delay_alu instid0(VALU_DEP_2) | instskip(SKIP_1) | instid1(VALU_DEP_2)
	v_add_co_u32 v8, vcc_lo, v14, v6
	s_wait_alu 0xfffd
	v_add_co_ci_u32_e64 v9, null, v15, v7, vcc_lo
	v_add_co_u32 v26, vcc_lo, v12, v4
	s_wait_alu 0xfffd
	v_add_co_ci_u32_e64 v27, null, v13, v5, vcc_lo
	flat_load_u16 v25, v[8:9]
	v_add_co_u32 v12, vcc_lo, v26, v6
	s_wait_alu 0xfffd
	v_add_co_ci_u32_e64 v13, null, v27, v7, vcc_lo
	s_wait_loadcnt_dscnt 0x0
	v_mul_f16_e32 v25, s33, v25
	s_delay_alu instid0(VALU_DEP_1)
	v_fmac_f16_e32 v25, s30, v11
	flat_store_b16 v[12:13], v25
	flat_load_u16 v8, v[8:9] offset:32
	s_wait_loadcnt_dscnt 0x0
	v_mul_f16_e32 v11, s33, v8
	v_add_co_u32 v8, vcc_lo, v14, s20
	s_wait_alu 0xfffd
	v_add_co_ci_u32_e64 v9, null, s21, v15, vcc_lo
	s_delay_alu instid0(VALU_DEP_3) | instskip(NEXT) | instid1(VALU_DEP_3)
	v_fmac_f16_e32 v11, s30, v24
	v_add_co_u32 v8, vcc_lo, v8, v6
	s_wait_alu 0xfffd
	s_delay_alu instid0(VALU_DEP_3)
	v_add_co_ci_u32_e64 v9, null, v9, v7, vcc_lo
	flat_store_b16 v[12:13], v11 offset:32
	flat_load_u16 v11, v[8:9]
	s_wait_loadcnt_dscnt 0x0
	v_mul_f16_e32 v12, s33, v11
	v_add_co_u32 v11, vcc_lo, v26, s22
	s_wait_alu 0xfffd
	v_add_co_ci_u32_e64 v13, null, s23, v27, vcc_lo
	s_delay_alu instid0(VALU_DEP_3) | instskip(NEXT) | instid1(VALU_DEP_3)
	v_fmac_f16_e32 v12, s30, v10
	v_add_co_u32 v10, vcc_lo, v11, v6
	s_wait_alu 0xfffd
	s_delay_alu instid0(VALU_DEP_3) | instskip(SKIP_4) | instid1(VALU_DEP_1)
	v_add_co_ci_u32_e64 v11, null, v13, v7, vcc_lo
	flat_store_b16 v[10:11], v12
	flat_load_u16 v8, v[8:9] offset:32
	s_wait_loadcnt_dscnt 0x0
	v_mul_f16_e32 v8, s33, v8
	v_fmac_f16_e32 v8, s30, v23
	flat_store_b16 v[10:11], v8 offset:32
	s_branch .LBB158_2
.LBB158_11:
	s_endpgm
	.section	.rodata,"a",@progbits
	.p2align	6, 0x0
	.amdhsa_kernel _ZN12_GLOBAL__N_127rocblas_gemm_batched_kernelIDF16_Li16ELi16ELi32ELi32ELi8ELi32ELi8ELi8ELi32ELc78ELc84EKPKDF16_S3_KPDF16_EEvlllT_PT11_llS8_llS6_PT12_llPT13_lli
		.amdhsa_group_segment_fixed_size 1024
		.amdhsa_private_segment_fixed_size 0
		.amdhsa_kernarg_size 140
		.amdhsa_user_sgpr_count 2
		.amdhsa_user_sgpr_dispatch_ptr 0
		.amdhsa_user_sgpr_queue_ptr 0
		.amdhsa_user_sgpr_kernarg_segment_ptr 1
		.amdhsa_user_sgpr_dispatch_id 0
		.amdhsa_user_sgpr_private_segment_size 0
		.amdhsa_wavefront_size32 1
		.amdhsa_uses_dynamic_stack 0
		.amdhsa_enable_private_segment 0
		.amdhsa_system_sgpr_workgroup_id_x 1
		.amdhsa_system_sgpr_workgroup_id_y 1
		.amdhsa_system_sgpr_workgroup_id_z 1
		.amdhsa_system_sgpr_workgroup_info 0
		.amdhsa_system_vgpr_workitem_id 1
		.amdhsa_next_free_vgpr 41
		.amdhsa_next_free_sgpr 38
		.amdhsa_reserve_vcc 1
		.amdhsa_float_round_mode_32 0
		.amdhsa_float_round_mode_16_64 0
		.amdhsa_float_denorm_mode_32 3
		.amdhsa_float_denorm_mode_16_64 3
		.amdhsa_fp16_overflow 0
		.amdhsa_workgroup_processor_mode 1
		.amdhsa_memory_ordered 1
		.amdhsa_forward_progress 1
		.amdhsa_inst_pref_size 14
		.amdhsa_round_robin_scheduling 0
		.amdhsa_exception_fp_ieee_invalid_op 0
		.amdhsa_exception_fp_denorm_src 0
		.amdhsa_exception_fp_ieee_div_zero 0
		.amdhsa_exception_fp_ieee_overflow 0
		.amdhsa_exception_fp_ieee_underflow 0
		.amdhsa_exception_fp_ieee_inexact 0
		.amdhsa_exception_int_div_zero 0
	.end_amdhsa_kernel
	.section	.text._ZN12_GLOBAL__N_127rocblas_gemm_batched_kernelIDF16_Li16ELi16ELi32ELi32ELi8ELi32ELi8ELi8ELi32ELc78ELc84EKPKDF16_S3_KPDF16_EEvlllT_PT11_llS8_llS6_PT12_llPT13_lli,"axG",@progbits,_ZN12_GLOBAL__N_127rocblas_gemm_batched_kernelIDF16_Li16ELi16ELi32ELi32ELi8ELi32ELi8ELi8ELi32ELc78ELc84EKPKDF16_S3_KPDF16_EEvlllT_PT11_llS8_llS6_PT12_llPT13_lli,comdat
.Lfunc_end158:
	.size	_ZN12_GLOBAL__N_127rocblas_gemm_batched_kernelIDF16_Li16ELi16ELi32ELi32ELi8ELi32ELi8ELi8ELi32ELc78ELc84EKPKDF16_S3_KPDF16_EEvlllT_PT11_llS8_llS6_PT12_llPT13_lli, .Lfunc_end158-_ZN12_GLOBAL__N_127rocblas_gemm_batched_kernelIDF16_Li16ELi16ELi32ELi32ELi8ELi32ELi8ELi8ELi32ELc78ELc84EKPKDF16_S3_KPDF16_EEvlllT_PT11_llS8_llS6_PT12_llPT13_lli
                                        ; -- End function
	.set _ZN12_GLOBAL__N_127rocblas_gemm_batched_kernelIDF16_Li16ELi16ELi32ELi32ELi8ELi32ELi8ELi8ELi32ELc78ELc84EKPKDF16_S3_KPDF16_EEvlllT_PT11_llS8_llS6_PT12_llPT13_lli.num_vgpr, 41
	.set _ZN12_GLOBAL__N_127rocblas_gemm_batched_kernelIDF16_Li16ELi16ELi32ELi32ELi8ELi32ELi8ELi8ELi32ELc78ELc84EKPKDF16_S3_KPDF16_EEvlllT_PT11_llS8_llS6_PT12_llPT13_lli.num_agpr, 0
	.set _ZN12_GLOBAL__N_127rocblas_gemm_batched_kernelIDF16_Li16ELi16ELi32ELi32ELi8ELi32ELi8ELi8ELi32ELc78ELc84EKPKDF16_S3_KPDF16_EEvlllT_PT11_llS8_llS6_PT12_llPT13_lli.numbered_sgpr, 38
	.set _ZN12_GLOBAL__N_127rocblas_gemm_batched_kernelIDF16_Li16ELi16ELi32ELi32ELi8ELi32ELi8ELi8ELi32ELc78ELc84EKPKDF16_S3_KPDF16_EEvlllT_PT11_llS8_llS6_PT12_llPT13_lli.num_named_barrier, 0
	.set _ZN12_GLOBAL__N_127rocblas_gemm_batched_kernelIDF16_Li16ELi16ELi32ELi32ELi8ELi32ELi8ELi8ELi32ELc78ELc84EKPKDF16_S3_KPDF16_EEvlllT_PT11_llS8_llS6_PT12_llPT13_lli.private_seg_size, 0
	.set _ZN12_GLOBAL__N_127rocblas_gemm_batched_kernelIDF16_Li16ELi16ELi32ELi32ELi8ELi32ELi8ELi8ELi32ELc78ELc84EKPKDF16_S3_KPDF16_EEvlllT_PT11_llS8_llS6_PT12_llPT13_lli.uses_vcc, 1
	.set _ZN12_GLOBAL__N_127rocblas_gemm_batched_kernelIDF16_Li16ELi16ELi32ELi32ELi8ELi32ELi8ELi8ELi32ELc78ELc84EKPKDF16_S3_KPDF16_EEvlllT_PT11_llS8_llS6_PT12_llPT13_lli.uses_flat_scratch, 1
	.set _ZN12_GLOBAL__N_127rocblas_gemm_batched_kernelIDF16_Li16ELi16ELi32ELi32ELi8ELi32ELi8ELi8ELi32ELc78ELc84EKPKDF16_S3_KPDF16_EEvlllT_PT11_llS8_llS6_PT12_llPT13_lli.has_dyn_sized_stack, 0
	.set _ZN12_GLOBAL__N_127rocblas_gemm_batched_kernelIDF16_Li16ELi16ELi32ELi32ELi8ELi32ELi8ELi8ELi32ELc78ELc84EKPKDF16_S3_KPDF16_EEvlllT_PT11_llS8_llS6_PT12_llPT13_lli.has_recursion, 0
	.set _ZN12_GLOBAL__N_127rocblas_gemm_batched_kernelIDF16_Li16ELi16ELi32ELi32ELi8ELi32ELi8ELi8ELi32ELc78ELc84EKPKDF16_S3_KPDF16_EEvlllT_PT11_llS8_llS6_PT12_llPT13_lli.has_indirect_call, 0
	.section	.AMDGPU.csdata,"",@progbits
; Kernel info:
; codeLenInByte = 1780
; TotalNumSgprs: 40
; NumVgprs: 41
; ScratchSize: 0
; MemoryBound: 0
; FloatMode: 240
; IeeeMode: 1
; LDSByteSize: 1024 bytes/workgroup (compile time only)
; SGPRBlocks: 0
; VGPRBlocks: 5
; NumSGPRsForWavesPerEU: 40
; NumVGPRsForWavesPerEU: 41
; Occupancy: 16
; WaveLimiterHint : 1
; COMPUTE_PGM_RSRC2:SCRATCH_EN: 0
; COMPUTE_PGM_RSRC2:USER_SGPR: 2
; COMPUTE_PGM_RSRC2:TRAP_HANDLER: 0
; COMPUTE_PGM_RSRC2:TGID_X_EN: 1
; COMPUTE_PGM_RSRC2:TGID_Y_EN: 1
; COMPUTE_PGM_RSRC2:TGID_Z_EN: 1
; COMPUTE_PGM_RSRC2:TIDIG_COMP_CNT: 1
	.section	.text._ZN12_GLOBAL__N_127rocblas_gemm_batched_kernelIDF16_Li16ELi16ELi32ELi32ELi8ELi32ELi8ELi8ELi32ELc84ELc84EKPKDF16_S3_KPDF16_EEvlllT_PT11_llS8_llS6_PT12_llPT13_lli,"axG",@progbits,_ZN12_GLOBAL__N_127rocblas_gemm_batched_kernelIDF16_Li16ELi16ELi32ELi32ELi8ELi32ELi8ELi8ELi32ELc84ELc84EKPKDF16_S3_KPDF16_EEvlllT_PT11_llS8_llS6_PT12_llPT13_lli,comdat
	.globl	_ZN12_GLOBAL__N_127rocblas_gemm_batched_kernelIDF16_Li16ELi16ELi32ELi32ELi8ELi32ELi8ELi8ELi32ELc84ELc84EKPKDF16_S3_KPDF16_EEvlllT_PT11_llS8_llS6_PT12_llPT13_lli ; -- Begin function _ZN12_GLOBAL__N_127rocblas_gemm_batched_kernelIDF16_Li16ELi16ELi32ELi32ELi8ELi32ELi8ELi8ELi32ELc84ELc84EKPKDF16_S3_KPDF16_EEvlllT_PT11_llS8_llS6_PT12_llPT13_lli
	.p2align	8
	.type	_ZN12_GLOBAL__N_127rocblas_gemm_batched_kernelIDF16_Li16ELi16ELi32ELi32ELi8ELi32ELi8ELi8ELi32ELc84ELc84EKPKDF16_S3_KPDF16_EEvlllT_PT11_llS8_llS6_PT12_llPT13_lli,@function
_ZN12_GLOBAL__N_127rocblas_gemm_batched_kernelIDF16_Li16ELi16ELi32ELi32ELi8ELi32ELi8ELi8ELi32ELc84ELc84EKPKDF16_S3_KPDF16_EEvlllT_PT11_llS8_llS6_PT12_llPT13_lli: ; @_ZN12_GLOBAL__N_127rocblas_gemm_batched_kernelIDF16_Li16ELi16ELi32ELi32ELi8ELi32ELi8ELi8ELi32ELc84ELc84EKPKDF16_S3_KPDF16_EEvlllT_PT11_llS8_llS6_PT12_llPT13_lli
; %bb.0:
	s_load_b32 s31, s[0:1], 0x88
	s_lshr_b32 s34, ttmp7, 16
	s_wait_kmcnt 0x0
	s_cmp_ge_i32 s34, s31
	s_cbranch_scc1 .LBB159_11
; %bb.1:
	s_clause 0x5
	s_load_b96 s[28:30], s[0:1], 0x10
	s_load_b256 s[4:11], s[0:1], 0x20
	s_load_b128 s[20:23], s[0:1], 0x78
	s_load_b128 s[24:27], s[0:1], 0x40
	s_load_b32 s33, s[0:1], 0x50
	s_load_b256 s[12:19], s[0:1], 0x58
	v_bfe_u32 v2, v0, 10, 10
	v_dual_mov_b32 v1, 0 :: v_dual_and_b32 v8, 0x3ff, v0
	s_lshl_b32 s0, ttmp7, 5
	v_and_b32_e32 v12, 7, v0
	s_delay_alu instid0(VALU_DEP_3)
	v_lshlrev_b32_e32 v3, 4, v2
	s_and_b32 s36, s0, 0x1fffe0
	s_mov_b32 s2, ttmp9
	v_add_nc_u32_e32 v14, s36, v2
	v_lshlrev_b32_e32 v5, 1, v12
	v_add_nc_u32_e32 v4, v3, v8
	v_add_nc_u32_e32 v19, 0x200, v3
	s_ashr_i32 s3, ttmp9, 31
	v_lshlrev_b32_e32 v18, 1, v8
	s_lshl_b64 s[0:1], s[2:3], 5
	v_lshrrev_b32_e32 v15, 5, v4
	v_lshrrev_b32_e32 v0, 3, v4
	v_add_co_u32 v8, s2, s0, v8
	s_wait_kmcnt 0x0
	v_mad_co_u64_u32 v[6:7], null, v14, s14, 0
	v_and_b32_e32 v13, 31, v4
	v_lshl_or_b32 v2, v0, 4, v5
	s_cmp_eq_f16 s33, 0
	v_add_co_ci_u32_e64 v9, null, s1, 0, s2
	s_delay_alu instid0(VALU_DEP_3) | instskip(NEXT) | instid1(VALU_DEP_3)
	v_lshlrev_b32_e32 v4, 1, v13
	v_add_nc_u32_e32 v17, 0x200, v2
	v_mad_co_u64_u32 v[2:3], null, s24, v12, v[0:1]
	s_cselect_b32 s37, -1, 0
	v_lshl_or_b32 v16, v15, 6, v4
	v_mad_co_u64_u32 v[4:5], null, v14, s20, 0
	s_lshl_b64 s[2:3], s[20:21], 4
	s_mov_b32 s35, 0
	v_add_co_u32 v2, vcc_lo, v2, s36
	v_mov_b32_e32 v0, v5
	s_delay_alu instid0(VALU_DEP_1)
	v_mad_co_u64_u32 v[10:11], null, v14, s21, v[0:1]
	v_mov_b32_e32 v0, v7
	v_or_b32_e32 v5, s0, v13
	v_mad_co_u64_u32 v[11:12], null, s25, v12, v[3:4]
	s_mul_i32 s0, s6, s1
	v_mad_co_u64_u32 v[12:13], null, v14, s15, v[0:1]
	v_mul_lo_u32 v0, s7, v5
	v_mad_co_u64_u32 v[13:14], null, s6, v5, 0
	v_add_co_ci_u32_e64 v3, null, 0, v11, vcc_lo
	v_mov_b32_e32 v5, v10
	v_mov_b32_e32 v7, v12
	s_lshl_b64 s[20:21], s[14:15], 4
	s_delay_alu instid0(VALU_DEP_3)
	v_lshlrev_b64_e32 v[2:3], 1, v[2:3]
	s_wait_alu 0xfffe
	v_add3_u32 v14, v14, s0, v0
	s_lshl_b64 s[0:1], s[26:27], 1
	v_lshlrev_b64_e32 v[4:5], 1, v[4:5]
	s_lshl_b64 s[6:7], s[24:25], 4
	s_lshl_b64 s[14:15], s[16:17], 1
	v_lshlrev_b64_e32 v[10:11], 1, v[13:14]
	s_wait_alu 0xfffe
	v_add_co_u32 v0, vcc_lo, s0, v2
	s_wait_alu 0xfffd
	v_add_co_ci_u32_e64 v20, null, s1, v3, vcc_lo
	s_lshl_b64 s[0:1], s[8:9], 1
	v_lshlrev_b32_e32 v2, 1, v15
	s_wait_alu 0xfffe
	v_add_co_u32 v3, vcc_lo, v10, s0
	v_cmp_gt_i64_e64 s0, s[28:29], 0
	s_wait_alu 0xfffd
	v_add_co_ci_u32_e64 v10, null, s1, v11, vcc_lo
	s_delay_alu instid0(VALU_DEP_3)
	v_add_co_u32 v21, vcc_lo, v3, v2
	v_lshlrev_b64_e32 v[2:3], 1, v[6:7]
	s_wait_alu 0xf1ff
	v_cndmask_b32_e64 v11, 0, 1, s0
	s_wait_alu 0xfffd
	v_add_co_ci_u32_e64 v22, null, 0, v10, vcc_lo
	v_cndmask_b32_e64 v10, 0, 1, s37
	v_lshlrev_b64_e32 v[6:7], 1, v[8:9]
	v_cmp_ne_u32_e64 s0, 1, v11
	s_lshl_b64 s[8:9], s[22:23], 1
	s_lshl_b64 s[16:17], s[20:21], 1
	v_cmp_ne_u32_e64 s1, 1, v10
	s_lshl_b64 s[20:21], s[2:3], 1
	s_branch .LBB159_3
.LBB159_2:                              ;   in Loop: Header=BB159_3 Depth=1
	s_add_co_i32 s34, s34, 0x10000
	s_delay_alu instid0(SALU_CYCLE_1)
	s_cmp_lt_i32 s34, s31
	s_cbranch_scc0 .LBB159_11
.LBB159_3:                              ; =>This Loop Header: Depth=1
                                        ;     Child Loop BB159_5 Depth 2
	s_lshl_b64 s[2:3], s[34:35], 3
	s_and_b32 vcc_lo, exec_lo, s0
	s_wait_alu 0xfffe
	s_add_nc_u64 s[22:23], s[12:13], s[2:3]
	s_add_nc_u64 s[24:25], s[18:19], s[2:3]
	s_clause 0x1
	global_load_b64 v[8:9], v1, s[22:23]
	global_load_b64 v[10:11], v1, s[24:25]
	s_cbranch_vccnz .LBB159_6
; %bb.4:                                ;   in Loop: Header=BB159_3 Depth=1
	s_add_nc_u64 s[22:23], s[10:11], s[2:3]
	s_add_nc_u64 s[2:3], s[4:5], s[2:3]
	s_clause 0x1
	global_load_b64 v[12:13], v1, s[22:23]
	global_load_b64 v[14:15], v1, s[2:3]
	v_dual_mov_b32 v23, 0 :: v_dual_mov_b32 v24, 0
	s_mov_b64 s[22:23], 0
	s_wait_loadcnt 0x1
	v_add_co_u32 v12, vcc_lo, v12, v0
	s_wait_alu 0xfffd
	v_add_co_ci_u32_e64 v13, null, v13, v20, vcc_lo
	s_wait_loadcnt 0x0
	v_add_co_u32 v14, vcc_lo, v14, v21
	s_wait_alu 0xfffd
	v_add_co_ci_u32_e64 v15, null, v15, v22, vcc_lo
.LBB159_5:                              ;   Parent Loop BB159_3 Depth=1
                                        ; =>  This Inner Loop Header: Depth=2
	flat_load_u16 v25, v[14:15]
	s_wait_alu 0xfffe
	s_add_nc_u64 s[22:23], s[22:23], 8
	v_add_co_u32 v14, vcc_lo, v14, 16
	s_wait_alu 0xfffe
	v_cmp_lt_i64_e64 s2, s[22:23], s[28:29]
	s_wait_alu 0xfffd
	v_add_co_ci_u32_e64 v15, null, 0, v15, vcc_lo
	s_and_b32 vcc_lo, exec_lo, s2
	s_wait_loadcnt_dscnt 0x0
	ds_store_b16 v16, v25
	flat_load_u16 v25, v[12:13]
	v_add_co_u32 v12, s2, v12, s6
	s_wait_alu 0xf1ff
	v_add_co_ci_u32_e64 v13, null, s7, v13, s2
	s_wait_loadcnt_dscnt 0x0
	ds_store_b16 v17, v25
	s_wait_dscnt 0x0
	s_barrier_signal -1
	s_barrier_wait -1
	global_inv scope:SCOPE_SE
	ds_load_u16 v33, v18 offset:32
	ds_load_u16 v34, v18 offset:96
	;; [unrolled: 1-line block ×3, first 2 shown]
	ds_load_b128 v[25:28], v19
	ds_load_b128 v[29:32], v19 offset:256
	ds_load_u16 v36, v18 offset:224
	ds_load_u16 v37, v18 offset:288
	;; [unrolled: 1-line block ×5, first 2 shown]
	s_wait_dscnt 0x9
	ds_load_u16_d16_hi v33, v18
	s_wait_dscnt 0x9
	ds_load_u16_d16_hi v34, v18 offset:64
	s_wait_dscnt 0x9
	ds_load_u16_d16_hi v35, v18 offset:128
	;; [unrolled: 2-line block ×7, first 2 shown]
	s_wait_loadcnt_dscnt 0x0
	s_barrier_signal -1
	s_barrier_wait -1
	global_inv scope:SCOPE_SE
	v_pk_fma_f16 v24, v33, v25, v24 op_sel_hi:[1,0,1]
	v_pk_fma_f16 v23, v33, v29, v23 op_sel_hi:[1,0,1]
	s_delay_alu instid0(VALU_DEP_2) | instskip(NEXT) | instid1(VALU_DEP_2)
	v_pk_fma_f16 v24, v34, v25, v24 op_sel:[0,1,0]
	v_pk_fma_f16 v23, v34, v29, v23 op_sel:[0,1,0]
	s_delay_alu instid0(VALU_DEP_2) | instskip(NEXT) | instid1(VALU_DEP_2)
	v_pk_fma_f16 v24, v35, v26, v24 op_sel_hi:[1,0,1]
	v_pk_fma_f16 v23, v35, v30, v23 op_sel_hi:[1,0,1]
	s_delay_alu instid0(VALU_DEP_2) | instskip(NEXT) | instid1(VALU_DEP_2)
	v_pk_fma_f16 v24, v36, v26, v24 op_sel:[0,1,0]
	v_pk_fma_f16 v23, v36, v30, v23 op_sel:[0,1,0]
	s_delay_alu instid0(VALU_DEP_2) | instskip(NEXT) | instid1(VALU_DEP_2)
	;; [unrolled: 6-line block ×3, first 2 shown]
	v_pk_fma_f16 v24, v39, v28, v24 op_sel_hi:[1,0,1]
	v_pk_fma_f16 v23, v39, v32, v23 op_sel_hi:[1,0,1]
	s_delay_alu instid0(VALU_DEP_2) | instskip(NEXT) | instid1(VALU_DEP_2)
	v_pk_fma_f16 v24, v40, v28, v24 op_sel:[0,1,0]
	v_pk_fma_f16 v23, v40, v32, v23 op_sel:[0,1,0]
	s_wait_alu 0xfffe
	s_cbranch_vccnz .LBB159_5
	s_branch .LBB159_7
.LBB159_6:                              ;   in Loop: Header=BB159_3 Depth=1
	v_dual_mov_b32 v24, 0 :: v_dual_mov_b32 v23, 0
.LBB159_7:                              ;   in Loop: Header=BB159_3 Depth=1
	s_wait_loadcnt 0x0
	v_add_co_u32 v12, vcc_lo, v10, s8
	s_wait_alu 0xfffd
	v_add_co_ci_u32_e64 v13, null, s9, v11, vcc_lo
	v_lshrrev_b32_e32 v11, 16, v24
	v_lshrrev_b32_e32 v10, 16, v23
	s_and_b32 vcc_lo, exec_lo, s1
	s_wait_alu 0xfffe
	s_cbranch_vccnz .LBB159_9
; %bb.8:                                ;   in Loop: Header=BB159_3 Depth=1
	v_add_co_u32 v25, vcc_lo, v12, v4
	s_wait_alu 0xfffd
	v_add_co_ci_u32_e64 v26, null, v13, v5, vcc_lo
	v_mul_f16_e32 v27, s30, v11
	s_delay_alu instid0(VALU_DEP_3) | instskip(SKIP_1) | instid1(VALU_DEP_3)
	v_add_co_u32 v14, vcc_lo, v25, v6
	s_wait_alu 0xfffd
	v_add_co_ci_u32_e64 v15, null, v26, v7, vcc_lo
	v_add_co_u32 v25, vcc_lo, v25, s20
	s_wait_alu 0xfffd
	v_add_co_ci_u32_e64 v26, null, s21, v26, vcc_lo
	v_mul_f16_e32 v29, s30, v10
	s_delay_alu instid0(VALU_DEP_3) | instskip(SKIP_1) | instid1(VALU_DEP_3)
	v_add_co_u32 v25, vcc_lo, v25, v6
	s_wait_alu 0xfffd
	v_add_co_ci_u32_e64 v26, null, v26, v7, vcc_lo
	v_mul_f16_e32 v28, s30, v24
	v_mul_f16_e32 v30, s30, v23
	s_clause 0x3
	flat_store_b16 v[14:15], v27
	flat_store_b16 v[14:15], v28 offset:32
	flat_store_b16 v[25:26], v29
	flat_store_b16 v[25:26], v30 offset:32
	s_cbranch_execnz .LBB159_2
	s_branch .LBB159_10
.LBB159_9:                              ;   in Loop: Header=BB159_3 Depth=1
.LBB159_10:                             ;   in Loop: Header=BB159_3 Depth=1
	v_add_co_u32 v8, vcc_lo, v8, s14
	s_wait_alu 0xfffd
	v_add_co_ci_u32_e64 v9, null, s15, v9, vcc_lo
	s_delay_alu instid0(VALU_DEP_2) | instskip(SKIP_1) | instid1(VALU_DEP_2)
	v_add_co_u32 v14, vcc_lo, v8, v2
	s_wait_alu 0xfffd
	v_add_co_ci_u32_e64 v15, null, v9, v3, vcc_lo
	s_delay_alu instid0(VALU_DEP_2) | instskip(SKIP_1) | instid1(VALU_DEP_2)
	v_add_co_u32 v8, vcc_lo, v14, v6
	s_wait_alu 0xfffd
	v_add_co_ci_u32_e64 v9, null, v15, v7, vcc_lo
	v_add_co_u32 v26, vcc_lo, v12, v4
	s_wait_alu 0xfffd
	v_add_co_ci_u32_e64 v27, null, v13, v5, vcc_lo
	flat_load_u16 v25, v[8:9]
	v_add_co_u32 v12, vcc_lo, v26, v6
	s_wait_alu 0xfffd
	v_add_co_ci_u32_e64 v13, null, v27, v7, vcc_lo
	s_wait_loadcnt_dscnt 0x0
	v_mul_f16_e32 v25, s33, v25
	s_delay_alu instid0(VALU_DEP_1)
	v_fmac_f16_e32 v25, s30, v11
	flat_store_b16 v[12:13], v25
	flat_load_u16 v8, v[8:9] offset:32
	s_wait_loadcnt_dscnt 0x0
	v_mul_f16_e32 v11, s33, v8
	v_add_co_u32 v8, vcc_lo, v14, s16
	s_wait_alu 0xfffd
	v_add_co_ci_u32_e64 v9, null, s17, v15, vcc_lo
	s_delay_alu instid0(VALU_DEP_3) | instskip(NEXT) | instid1(VALU_DEP_3)
	v_fmac_f16_e32 v11, s30, v24
	v_add_co_u32 v8, vcc_lo, v8, v6
	s_wait_alu 0xfffd
	s_delay_alu instid0(VALU_DEP_3)
	v_add_co_ci_u32_e64 v9, null, v9, v7, vcc_lo
	flat_store_b16 v[12:13], v11 offset:32
	flat_load_u16 v11, v[8:9]
	s_wait_loadcnt_dscnt 0x0
	v_mul_f16_e32 v12, s33, v11
	v_add_co_u32 v11, vcc_lo, v26, s20
	s_wait_alu 0xfffd
	v_add_co_ci_u32_e64 v13, null, s21, v27, vcc_lo
	s_delay_alu instid0(VALU_DEP_3) | instskip(NEXT) | instid1(VALU_DEP_3)
	v_fmac_f16_e32 v12, s30, v10
	v_add_co_u32 v10, vcc_lo, v11, v6
	s_wait_alu 0xfffd
	s_delay_alu instid0(VALU_DEP_3) | instskip(SKIP_4) | instid1(VALU_DEP_1)
	v_add_co_ci_u32_e64 v11, null, v13, v7, vcc_lo
	flat_store_b16 v[10:11], v12
	flat_load_u16 v8, v[8:9] offset:32
	s_wait_loadcnt_dscnt 0x0
	v_mul_f16_e32 v8, s33, v8
	v_fmac_f16_e32 v8, s30, v23
	flat_store_b16 v[10:11], v8 offset:32
	s_branch .LBB159_2
.LBB159_11:
	s_endpgm
	.section	.rodata,"a",@progbits
	.p2align	6, 0x0
	.amdhsa_kernel _ZN12_GLOBAL__N_127rocblas_gemm_batched_kernelIDF16_Li16ELi16ELi32ELi32ELi8ELi32ELi8ELi8ELi32ELc84ELc84EKPKDF16_S3_KPDF16_EEvlllT_PT11_llS8_llS6_PT12_llPT13_lli
		.amdhsa_group_segment_fixed_size 1024
		.amdhsa_private_segment_fixed_size 0
		.amdhsa_kernarg_size 140
		.amdhsa_user_sgpr_count 2
		.amdhsa_user_sgpr_dispatch_ptr 0
		.amdhsa_user_sgpr_queue_ptr 0
		.amdhsa_user_sgpr_kernarg_segment_ptr 1
		.amdhsa_user_sgpr_dispatch_id 0
		.amdhsa_user_sgpr_private_segment_size 0
		.amdhsa_wavefront_size32 1
		.amdhsa_uses_dynamic_stack 0
		.amdhsa_enable_private_segment 0
		.amdhsa_system_sgpr_workgroup_id_x 1
		.amdhsa_system_sgpr_workgroup_id_y 1
		.amdhsa_system_sgpr_workgroup_id_z 1
		.amdhsa_system_sgpr_workgroup_info 0
		.amdhsa_system_vgpr_workitem_id 1
		.amdhsa_next_free_vgpr 41
		.amdhsa_next_free_sgpr 38
		.amdhsa_reserve_vcc 1
		.amdhsa_float_round_mode_32 0
		.amdhsa_float_round_mode_16_64 0
		.amdhsa_float_denorm_mode_32 3
		.amdhsa_float_denorm_mode_16_64 3
		.amdhsa_fp16_overflow 0
		.amdhsa_workgroup_processor_mode 1
		.amdhsa_memory_ordered 1
		.amdhsa_forward_progress 1
		.amdhsa_inst_pref_size 14
		.amdhsa_round_robin_scheduling 0
		.amdhsa_exception_fp_ieee_invalid_op 0
		.amdhsa_exception_fp_denorm_src 0
		.amdhsa_exception_fp_ieee_div_zero 0
		.amdhsa_exception_fp_ieee_overflow 0
		.amdhsa_exception_fp_ieee_underflow 0
		.amdhsa_exception_fp_ieee_inexact 0
		.amdhsa_exception_int_div_zero 0
	.end_amdhsa_kernel
	.section	.text._ZN12_GLOBAL__N_127rocblas_gemm_batched_kernelIDF16_Li16ELi16ELi32ELi32ELi8ELi32ELi8ELi8ELi32ELc84ELc84EKPKDF16_S3_KPDF16_EEvlllT_PT11_llS8_llS6_PT12_llPT13_lli,"axG",@progbits,_ZN12_GLOBAL__N_127rocblas_gemm_batched_kernelIDF16_Li16ELi16ELi32ELi32ELi8ELi32ELi8ELi8ELi32ELc84ELc84EKPKDF16_S3_KPDF16_EEvlllT_PT11_llS8_llS6_PT12_llPT13_lli,comdat
.Lfunc_end159:
	.size	_ZN12_GLOBAL__N_127rocblas_gemm_batched_kernelIDF16_Li16ELi16ELi32ELi32ELi8ELi32ELi8ELi8ELi32ELc84ELc84EKPKDF16_S3_KPDF16_EEvlllT_PT11_llS8_llS6_PT12_llPT13_lli, .Lfunc_end159-_ZN12_GLOBAL__N_127rocblas_gemm_batched_kernelIDF16_Li16ELi16ELi32ELi32ELi8ELi32ELi8ELi8ELi32ELc84ELc84EKPKDF16_S3_KPDF16_EEvlllT_PT11_llS8_llS6_PT12_llPT13_lli
                                        ; -- End function
	.set _ZN12_GLOBAL__N_127rocblas_gemm_batched_kernelIDF16_Li16ELi16ELi32ELi32ELi8ELi32ELi8ELi8ELi32ELc84ELc84EKPKDF16_S3_KPDF16_EEvlllT_PT11_llS8_llS6_PT12_llPT13_lli.num_vgpr, 41
	.set _ZN12_GLOBAL__N_127rocblas_gemm_batched_kernelIDF16_Li16ELi16ELi32ELi32ELi8ELi32ELi8ELi8ELi32ELc84ELc84EKPKDF16_S3_KPDF16_EEvlllT_PT11_llS8_llS6_PT12_llPT13_lli.num_agpr, 0
	.set _ZN12_GLOBAL__N_127rocblas_gemm_batched_kernelIDF16_Li16ELi16ELi32ELi32ELi8ELi32ELi8ELi8ELi32ELc84ELc84EKPKDF16_S3_KPDF16_EEvlllT_PT11_llS8_llS6_PT12_llPT13_lli.numbered_sgpr, 38
	.set _ZN12_GLOBAL__N_127rocblas_gemm_batched_kernelIDF16_Li16ELi16ELi32ELi32ELi8ELi32ELi8ELi8ELi32ELc84ELc84EKPKDF16_S3_KPDF16_EEvlllT_PT11_llS8_llS6_PT12_llPT13_lli.num_named_barrier, 0
	.set _ZN12_GLOBAL__N_127rocblas_gemm_batched_kernelIDF16_Li16ELi16ELi32ELi32ELi8ELi32ELi8ELi8ELi32ELc84ELc84EKPKDF16_S3_KPDF16_EEvlllT_PT11_llS8_llS6_PT12_llPT13_lli.private_seg_size, 0
	.set _ZN12_GLOBAL__N_127rocblas_gemm_batched_kernelIDF16_Li16ELi16ELi32ELi32ELi8ELi32ELi8ELi8ELi32ELc84ELc84EKPKDF16_S3_KPDF16_EEvlllT_PT11_llS8_llS6_PT12_llPT13_lli.uses_vcc, 1
	.set _ZN12_GLOBAL__N_127rocblas_gemm_batched_kernelIDF16_Li16ELi16ELi32ELi32ELi8ELi32ELi8ELi8ELi32ELc84ELc84EKPKDF16_S3_KPDF16_EEvlllT_PT11_llS8_llS6_PT12_llPT13_lli.uses_flat_scratch, 1
	.set _ZN12_GLOBAL__N_127rocblas_gemm_batched_kernelIDF16_Li16ELi16ELi32ELi32ELi8ELi32ELi8ELi8ELi32ELc84ELc84EKPKDF16_S3_KPDF16_EEvlllT_PT11_llS8_llS6_PT12_llPT13_lli.has_dyn_sized_stack, 0
	.set _ZN12_GLOBAL__N_127rocblas_gemm_batched_kernelIDF16_Li16ELi16ELi32ELi32ELi8ELi32ELi8ELi8ELi32ELc84ELc84EKPKDF16_S3_KPDF16_EEvlllT_PT11_llS8_llS6_PT12_llPT13_lli.has_recursion, 0
	.set _ZN12_GLOBAL__N_127rocblas_gemm_batched_kernelIDF16_Li16ELi16ELi32ELi32ELi8ELi32ELi8ELi8ELi32ELc84ELc84EKPKDF16_S3_KPDF16_EEvlllT_PT11_llS8_llS6_PT12_llPT13_lli.has_indirect_call, 0
	.section	.AMDGPU.csdata,"",@progbits
; Kernel info:
; codeLenInByte = 1784
; TotalNumSgprs: 40
; NumVgprs: 41
; ScratchSize: 0
; MemoryBound: 0
; FloatMode: 240
; IeeeMode: 1
; LDSByteSize: 1024 bytes/workgroup (compile time only)
; SGPRBlocks: 0
; VGPRBlocks: 5
; NumSGPRsForWavesPerEU: 40
; NumVGPRsForWavesPerEU: 41
; Occupancy: 16
; WaveLimiterHint : 1
; COMPUTE_PGM_RSRC2:SCRATCH_EN: 0
; COMPUTE_PGM_RSRC2:USER_SGPR: 2
; COMPUTE_PGM_RSRC2:TRAP_HANDLER: 0
; COMPUTE_PGM_RSRC2:TGID_X_EN: 1
; COMPUTE_PGM_RSRC2:TGID_Y_EN: 1
; COMPUTE_PGM_RSRC2:TGID_Z_EN: 1
; COMPUTE_PGM_RSRC2:TIDIG_COMP_CNT: 1
	.section	.text._ZN12_GLOBAL__N_127rocblas_gemm_batched_kernelIDF16_Li16ELi16ELi32ELi32ELi8ELi32ELi8ELi8ELi32ELc67ELc67EKPKDF16_S3_KPDF16_EEvlllT_PT11_llS8_llS6_PT12_llPT13_lli,"axG",@progbits,_ZN12_GLOBAL__N_127rocblas_gemm_batched_kernelIDF16_Li16ELi16ELi32ELi32ELi8ELi32ELi8ELi8ELi32ELc67ELc67EKPKDF16_S3_KPDF16_EEvlllT_PT11_llS8_llS6_PT12_llPT13_lli,comdat
	.globl	_ZN12_GLOBAL__N_127rocblas_gemm_batched_kernelIDF16_Li16ELi16ELi32ELi32ELi8ELi32ELi8ELi8ELi32ELc67ELc67EKPKDF16_S3_KPDF16_EEvlllT_PT11_llS8_llS6_PT12_llPT13_lli ; -- Begin function _ZN12_GLOBAL__N_127rocblas_gemm_batched_kernelIDF16_Li16ELi16ELi32ELi32ELi8ELi32ELi8ELi8ELi32ELc67ELc67EKPKDF16_S3_KPDF16_EEvlllT_PT11_llS8_llS6_PT12_llPT13_lli
	.p2align	8
	.type	_ZN12_GLOBAL__N_127rocblas_gemm_batched_kernelIDF16_Li16ELi16ELi32ELi32ELi8ELi32ELi8ELi8ELi32ELc67ELc67EKPKDF16_S3_KPDF16_EEvlllT_PT11_llS8_llS6_PT12_llPT13_lli,@function
_ZN12_GLOBAL__N_127rocblas_gemm_batched_kernelIDF16_Li16ELi16ELi32ELi32ELi8ELi32ELi8ELi8ELi32ELc67ELc67EKPKDF16_S3_KPDF16_EEvlllT_PT11_llS8_llS6_PT12_llPT13_lli: ; @_ZN12_GLOBAL__N_127rocblas_gemm_batched_kernelIDF16_Li16ELi16ELi32ELi32ELi8ELi32ELi8ELi8ELi32ELc67ELc67EKPKDF16_S3_KPDF16_EEvlllT_PT11_llS8_llS6_PT12_llPT13_lli
; %bb.0:
	s_load_b32 s31, s[0:1], 0x88
	s_lshr_b32 s34, ttmp7, 16
	s_wait_kmcnt 0x0
	s_cmp_ge_i32 s34, s31
	s_cbranch_scc1 .LBB160_11
; %bb.1:
	s_clause 0x5
	s_load_b96 s[28:30], s[0:1], 0x10
	s_load_b256 s[4:11], s[0:1], 0x20
	s_load_b128 s[20:23], s[0:1], 0x78
	s_load_b128 s[24:27], s[0:1], 0x40
	s_load_b32 s33, s[0:1], 0x50
	s_load_b256 s[12:19], s[0:1], 0x58
	v_bfe_u32 v2, v0, 10, 10
	v_dual_mov_b32 v1, 0 :: v_dual_and_b32 v8, 0x3ff, v0
	s_lshl_b32 s0, ttmp7, 5
	v_and_b32_e32 v12, 7, v0
	s_delay_alu instid0(VALU_DEP_3)
	v_lshlrev_b32_e32 v3, 4, v2
	s_and_b32 s36, s0, 0x1fffe0
	s_mov_b32 s2, ttmp9
	v_add_nc_u32_e32 v14, s36, v2
	v_lshlrev_b32_e32 v5, 1, v12
	v_add_nc_u32_e32 v4, v3, v8
	v_add_nc_u32_e32 v19, 0x200, v3
	s_ashr_i32 s3, ttmp9, 31
	v_lshlrev_b32_e32 v18, 1, v8
	s_lshl_b64 s[0:1], s[2:3], 5
	v_lshrrev_b32_e32 v15, 5, v4
	v_lshrrev_b32_e32 v0, 3, v4
	v_add_co_u32 v8, s2, s0, v8
	s_wait_kmcnt 0x0
	v_mad_co_u64_u32 v[6:7], null, v14, s14, 0
	v_and_b32_e32 v13, 31, v4
	v_lshl_or_b32 v2, v0, 4, v5
	s_cmp_eq_f16 s33, 0
	v_add_co_ci_u32_e64 v9, null, s1, 0, s2
	s_delay_alu instid0(VALU_DEP_3) | instskip(NEXT) | instid1(VALU_DEP_3)
	v_lshlrev_b32_e32 v4, 1, v13
	v_add_nc_u32_e32 v17, 0x200, v2
	v_mad_co_u64_u32 v[2:3], null, s24, v12, v[0:1]
	s_cselect_b32 s37, -1, 0
	v_lshl_or_b32 v16, v15, 6, v4
	v_mad_co_u64_u32 v[4:5], null, v14, s20, 0
	s_lshl_b64 s[2:3], s[20:21], 4
	s_mov_b32 s35, 0
	v_add_co_u32 v2, vcc_lo, v2, s36
	v_mov_b32_e32 v0, v5
	s_delay_alu instid0(VALU_DEP_1)
	v_mad_co_u64_u32 v[10:11], null, v14, s21, v[0:1]
	v_mov_b32_e32 v0, v7
	v_or_b32_e32 v5, s0, v13
	v_mad_co_u64_u32 v[11:12], null, s25, v12, v[3:4]
	s_mul_i32 s0, s6, s1
	v_mad_co_u64_u32 v[12:13], null, v14, s15, v[0:1]
	v_mul_lo_u32 v0, s7, v5
	v_mad_co_u64_u32 v[13:14], null, s6, v5, 0
	v_add_co_ci_u32_e64 v3, null, 0, v11, vcc_lo
	v_mov_b32_e32 v5, v10
	v_mov_b32_e32 v7, v12
	s_lshl_b64 s[20:21], s[14:15], 4
	s_delay_alu instid0(VALU_DEP_3)
	v_lshlrev_b64_e32 v[2:3], 1, v[2:3]
	s_wait_alu 0xfffe
	v_add3_u32 v14, v14, s0, v0
	s_lshl_b64 s[0:1], s[26:27], 1
	v_lshlrev_b64_e32 v[4:5], 1, v[4:5]
	s_lshl_b64 s[6:7], s[24:25], 4
	s_lshl_b64 s[14:15], s[16:17], 1
	v_lshlrev_b64_e32 v[10:11], 1, v[13:14]
	s_wait_alu 0xfffe
	v_add_co_u32 v0, vcc_lo, s0, v2
	s_wait_alu 0xfffd
	v_add_co_ci_u32_e64 v20, null, s1, v3, vcc_lo
	s_lshl_b64 s[0:1], s[8:9], 1
	v_lshlrev_b32_e32 v2, 1, v15
	s_wait_alu 0xfffe
	v_add_co_u32 v3, vcc_lo, v10, s0
	v_cmp_gt_i64_e64 s0, s[28:29], 0
	s_wait_alu 0xfffd
	v_add_co_ci_u32_e64 v10, null, s1, v11, vcc_lo
	s_delay_alu instid0(VALU_DEP_3)
	v_add_co_u32 v21, vcc_lo, v3, v2
	v_lshlrev_b64_e32 v[2:3], 1, v[6:7]
	s_wait_alu 0xf1ff
	v_cndmask_b32_e64 v11, 0, 1, s0
	s_wait_alu 0xfffd
	v_add_co_ci_u32_e64 v22, null, 0, v10, vcc_lo
	v_cndmask_b32_e64 v10, 0, 1, s37
	v_lshlrev_b64_e32 v[6:7], 1, v[8:9]
	v_cmp_ne_u32_e64 s0, 1, v11
	s_lshl_b64 s[8:9], s[22:23], 1
	s_lshl_b64 s[16:17], s[20:21], 1
	v_cmp_ne_u32_e64 s1, 1, v10
	s_lshl_b64 s[20:21], s[2:3], 1
	s_branch .LBB160_3
.LBB160_2:                              ;   in Loop: Header=BB160_3 Depth=1
	s_add_co_i32 s34, s34, 0x10000
	s_delay_alu instid0(SALU_CYCLE_1)
	s_cmp_lt_i32 s34, s31
	s_cbranch_scc0 .LBB160_11
.LBB160_3:                              ; =>This Loop Header: Depth=1
                                        ;     Child Loop BB160_5 Depth 2
	s_lshl_b64 s[2:3], s[34:35], 3
	s_and_b32 vcc_lo, exec_lo, s0
	s_wait_alu 0xfffe
	s_add_nc_u64 s[22:23], s[12:13], s[2:3]
	s_add_nc_u64 s[24:25], s[18:19], s[2:3]
	s_clause 0x1
	global_load_b64 v[8:9], v1, s[22:23]
	global_load_b64 v[10:11], v1, s[24:25]
	s_cbranch_vccnz .LBB160_6
; %bb.4:                                ;   in Loop: Header=BB160_3 Depth=1
	s_add_nc_u64 s[22:23], s[10:11], s[2:3]
	s_add_nc_u64 s[2:3], s[4:5], s[2:3]
	s_clause 0x1
	global_load_b64 v[12:13], v1, s[22:23]
	global_load_b64 v[14:15], v1, s[2:3]
	v_dual_mov_b32 v23, 0 :: v_dual_mov_b32 v24, 0
	s_mov_b64 s[22:23], 0
	s_wait_loadcnt 0x1
	v_add_co_u32 v12, vcc_lo, v12, v0
	s_wait_alu 0xfffd
	v_add_co_ci_u32_e64 v13, null, v13, v20, vcc_lo
	s_wait_loadcnt 0x0
	v_add_co_u32 v14, vcc_lo, v14, v21
	s_wait_alu 0xfffd
	v_add_co_ci_u32_e64 v15, null, v15, v22, vcc_lo
.LBB160_5:                              ;   Parent Loop BB160_3 Depth=1
                                        ; =>  This Inner Loop Header: Depth=2
	flat_load_u16 v25, v[14:15]
	s_wait_alu 0xfffe
	s_add_nc_u64 s[22:23], s[22:23], 8
	v_add_co_u32 v14, vcc_lo, v14, 16
	s_wait_alu 0xfffe
	v_cmp_lt_i64_e64 s2, s[22:23], s[28:29]
	s_wait_alu 0xfffd
	v_add_co_ci_u32_e64 v15, null, 0, v15, vcc_lo
	s_and_b32 vcc_lo, exec_lo, s2
	s_wait_loadcnt_dscnt 0x0
	ds_store_b16 v16, v25
	flat_load_u16 v25, v[12:13]
	v_add_co_u32 v12, s2, v12, s6
	s_wait_alu 0xf1ff
	v_add_co_ci_u32_e64 v13, null, s7, v13, s2
	s_wait_loadcnt_dscnt 0x0
	ds_store_b16 v17, v25
	s_wait_dscnt 0x0
	s_barrier_signal -1
	s_barrier_wait -1
	global_inv scope:SCOPE_SE
	ds_load_u16 v33, v18 offset:32
	ds_load_u16 v34, v18 offset:96
	;; [unrolled: 1-line block ×3, first 2 shown]
	ds_load_b128 v[25:28], v19
	ds_load_b128 v[29:32], v19 offset:256
	ds_load_u16 v36, v18 offset:224
	ds_load_u16 v37, v18 offset:288
	;; [unrolled: 1-line block ×5, first 2 shown]
	s_wait_dscnt 0x9
	ds_load_u16_d16_hi v33, v18
	s_wait_dscnt 0x9
	ds_load_u16_d16_hi v34, v18 offset:64
	s_wait_dscnt 0x9
	ds_load_u16_d16_hi v35, v18 offset:128
	;; [unrolled: 2-line block ×7, first 2 shown]
	s_wait_loadcnt_dscnt 0x0
	s_barrier_signal -1
	s_barrier_wait -1
	global_inv scope:SCOPE_SE
	v_pk_fma_f16 v24, v33, v25, v24 op_sel_hi:[1,0,1]
	v_pk_fma_f16 v23, v33, v29, v23 op_sel_hi:[1,0,1]
	s_delay_alu instid0(VALU_DEP_2) | instskip(NEXT) | instid1(VALU_DEP_2)
	v_pk_fma_f16 v24, v34, v25, v24 op_sel:[0,1,0]
	v_pk_fma_f16 v23, v34, v29, v23 op_sel:[0,1,0]
	s_delay_alu instid0(VALU_DEP_2) | instskip(NEXT) | instid1(VALU_DEP_2)
	v_pk_fma_f16 v24, v35, v26, v24 op_sel_hi:[1,0,1]
	v_pk_fma_f16 v23, v35, v30, v23 op_sel_hi:[1,0,1]
	s_delay_alu instid0(VALU_DEP_2) | instskip(NEXT) | instid1(VALU_DEP_2)
	v_pk_fma_f16 v24, v36, v26, v24 op_sel:[0,1,0]
	v_pk_fma_f16 v23, v36, v30, v23 op_sel:[0,1,0]
	s_delay_alu instid0(VALU_DEP_2) | instskip(NEXT) | instid1(VALU_DEP_2)
	;; [unrolled: 6-line block ×3, first 2 shown]
	v_pk_fma_f16 v24, v39, v28, v24 op_sel_hi:[1,0,1]
	v_pk_fma_f16 v23, v39, v32, v23 op_sel_hi:[1,0,1]
	s_delay_alu instid0(VALU_DEP_2) | instskip(NEXT) | instid1(VALU_DEP_2)
	v_pk_fma_f16 v24, v40, v28, v24 op_sel:[0,1,0]
	v_pk_fma_f16 v23, v40, v32, v23 op_sel:[0,1,0]
	s_wait_alu 0xfffe
	s_cbranch_vccnz .LBB160_5
	s_branch .LBB160_7
.LBB160_6:                              ;   in Loop: Header=BB160_3 Depth=1
	v_dual_mov_b32 v24, 0 :: v_dual_mov_b32 v23, 0
.LBB160_7:                              ;   in Loop: Header=BB160_3 Depth=1
	s_wait_loadcnt 0x0
	v_add_co_u32 v12, vcc_lo, v10, s8
	s_wait_alu 0xfffd
	v_add_co_ci_u32_e64 v13, null, s9, v11, vcc_lo
	v_lshrrev_b32_e32 v11, 16, v24
	v_lshrrev_b32_e32 v10, 16, v23
	s_and_b32 vcc_lo, exec_lo, s1
	s_wait_alu 0xfffe
	s_cbranch_vccnz .LBB160_9
; %bb.8:                                ;   in Loop: Header=BB160_3 Depth=1
	v_add_co_u32 v25, vcc_lo, v12, v4
	s_wait_alu 0xfffd
	v_add_co_ci_u32_e64 v26, null, v13, v5, vcc_lo
	v_mul_f16_e32 v27, s30, v11
	s_delay_alu instid0(VALU_DEP_3) | instskip(SKIP_1) | instid1(VALU_DEP_3)
	v_add_co_u32 v14, vcc_lo, v25, v6
	s_wait_alu 0xfffd
	v_add_co_ci_u32_e64 v15, null, v26, v7, vcc_lo
	v_add_co_u32 v25, vcc_lo, v25, s20
	s_wait_alu 0xfffd
	v_add_co_ci_u32_e64 v26, null, s21, v26, vcc_lo
	v_mul_f16_e32 v29, s30, v10
	s_delay_alu instid0(VALU_DEP_3) | instskip(SKIP_1) | instid1(VALU_DEP_3)
	v_add_co_u32 v25, vcc_lo, v25, v6
	s_wait_alu 0xfffd
	v_add_co_ci_u32_e64 v26, null, v26, v7, vcc_lo
	v_mul_f16_e32 v28, s30, v24
	v_mul_f16_e32 v30, s30, v23
	s_clause 0x3
	flat_store_b16 v[14:15], v27
	flat_store_b16 v[14:15], v28 offset:32
	flat_store_b16 v[25:26], v29
	flat_store_b16 v[25:26], v30 offset:32
	s_cbranch_execnz .LBB160_2
	s_branch .LBB160_10
.LBB160_9:                              ;   in Loop: Header=BB160_3 Depth=1
.LBB160_10:                             ;   in Loop: Header=BB160_3 Depth=1
	v_add_co_u32 v8, vcc_lo, v8, s14
	s_wait_alu 0xfffd
	v_add_co_ci_u32_e64 v9, null, s15, v9, vcc_lo
	s_delay_alu instid0(VALU_DEP_2) | instskip(SKIP_1) | instid1(VALU_DEP_2)
	v_add_co_u32 v14, vcc_lo, v8, v2
	s_wait_alu 0xfffd
	v_add_co_ci_u32_e64 v15, null, v9, v3, vcc_lo
	s_delay_alu instid0(VALU_DEP_2) | instskip(SKIP_1) | instid1(VALU_DEP_2)
	v_add_co_u32 v8, vcc_lo, v14, v6
	s_wait_alu 0xfffd
	v_add_co_ci_u32_e64 v9, null, v15, v7, vcc_lo
	v_add_co_u32 v26, vcc_lo, v12, v4
	s_wait_alu 0xfffd
	v_add_co_ci_u32_e64 v27, null, v13, v5, vcc_lo
	flat_load_u16 v25, v[8:9]
	v_add_co_u32 v12, vcc_lo, v26, v6
	s_wait_alu 0xfffd
	v_add_co_ci_u32_e64 v13, null, v27, v7, vcc_lo
	s_wait_loadcnt_dscnt 0x0
	v_mul_f16_e32 v25, s33, v25
	s_delay_alu instid0(VALU_DEP_1)
	v_fmac_f16_e32 v25, s30, v11
	flat_store_b16 v[12:13], v25
	flat_load_u16 v8, v[8:9] offset:32
	s_wait_loadcnt_dscnt 0x0
	v_mul_f16_e32 v11, s33, v8
	v_add_co_u32 v8, vcc_lo, v14, s16
	s_wait_alu 0xfffd
	v_add_co_ci_u32_e64 v9, null, s17, v15, vcc_lo
	s_delay_alu instid0(VALU_DEP_3) | instskip(NEXT) | instid1(VALU_DEP_3)
	v_fmac_f16_e32 v11, s30, v24
	v_add_co_u32 v8, vcc_lo, v8, v6
	s_wait_alu 0xfffd
	s_delay_alu instid0(VALU_DEP_3)
	v_add_co_ci_u32_e64 v9, null, v9, v7, vcc_lo
	flat_store_b16 v[12:13], v11 offset:32
	flat_load_u16 v11, v[8:9]
	s_wait_loadcnt_dscnt 0x0
	v_mul_f16_e32 v12, s33, v11
	v_add_co_u32 v11, vcc_lo, v26, s20
	s_wait_alu 0xfffd
	v_add_co_ci_u32_e64 v13, null, s21, v27, vcc_lo
	s_delay_alu instid0(VALU_DEP_3) | instskip(NEXT) | instid1(VALU_DEP_3)
	v_fmac_f16_e32 v12, s30, v10
	v_add_co_u32 v10, vcc_lo, v11, v6
	s_wait_alu 0xfffd
	s_delay_alu instid0(VALU_DEP_3) | instskip(SKIP_4) | instid1(VALU_DEP_1)
	v_add_co_ci_u32_e64 v11, null, v13, v7, vcc_lo
	flat_store_b16 v[10:11], v12
	flat_load_u16 v8, v[8:9] offset:32
	s_wait_loadcnt_dscnt 0x0
	v_mul_f16_e32 v8, s33, v8
	v_fmac_f16_e32 v8, s30, v23
	flat_store_b16 v[10:11], v8 offset:32
	s_branch .LBB160_2
.LBB160_11:
	s_endpgm
	.section	.rodata,"a",@progbits
	.p2align	6, 0x0
	.amdhsa_kernel _ZN12_GLOBAL__N_127rocblas_gemm_batched_kernelIDF16_Li16ELi16ELi32ELi32ELi8ELi32ELi8ELi8ELi32ELc67ELc67EKPKDF16_S3_KPDF16_EEvlllT_PT11_llS8_llS6_PT12_llPT13_lli
		.amdhsa_group_segment_fixed_size 1024
		.amdhsa_private_segment_fixed_size 0
		.amdhsa_kernarg_size 140
		.amdhsa_user_sgpr_count 2
		.amdhsa_user_sgpr_dispatch_ptr 0
		.amdhsa_user_sgpr_queue_ptr 0
		.amdhsa_user_sgpr_kernarg_segment_ptr 1
		.amdhsa_user_sgpr_dispatch_id 0
		.amdhsa_user_sgpr_private_segment_size 0
		.amdhsa_wavefront_size32 1
		.amdhsa_uses_dynamic_stack 0
		.amdhsa_enable_private_segment 0
		.amdhsa_system_sgpr_workgroup_id_x 1
		.amdhsa_system_sgpr_workgroup_id_y 1
		.amdhsa_system_sgpr_workgroup_id_z 1
		.amdhsa_system_sgpr_workgroup_info 0
		.amdhsa_system_vgpr_workitem_id 1
		.amdhsa_next_free_vgpr 41
		.amdhsa_next_free_sgpr 38
		.amdhsa_reserve_vcc 1
		.amdhsa_float_round_mode_32 0
		.amdhsa_float_round_mode_16_64 0
		.amdhsa_float_denorm_mode_32 3
		.amdhsa_float_denorm_mode_16_64 3
		.amdhsa_fp16_overflow 0
		.amdhsa_workgroup_processor_mode 1
		.amdhsa_memory_ordered 1
		.amdhsa_forward_progress 1
		.amdhsa_inst_pref_size 14
		.amdhsa_round_robin_scheduling 0
		.amdhsa_exception_fp_ieee_invalid_op 0
		.amdhsa_exception_fp_denorm_src 0
		.amdhsa_exception_fp_ieee_div_zero 0
		.amdhsa_exception_fp_ieee_overflow 0
		.amdhsa_exception_fp_ieee_underflow 0
		.amdhsa_exception_fp_ieee_inexact 0
		.amdhsa_exception_int_div_zero 0
	.end_amdhsa_kernel
	.section	.text._ZN12_GLOBAL__N_127rocblas_gemm_batched_kernelIDF16_Li16ELi16ELi32ELi32ELi8ELi32ELi8ELi8ELi32ELc67ELc67EKPKDF16_S3_KPDF16_EEvlllT_PT11_llS8_llS6_PT12_llPT13_lli,"axG",@progbits,_ZN12_GLOBAL__N_127rocblas_gemm_batched_kernelIDF16_Li16ELi16ELi32ELi32ELi8ELi32ELi8ELi8ELi32ELc67ELc67EKPKDF16_S3_KPDF16_EEvlllT_PT11_llS8_llS6_PT12_llPT13_lli,comdat
.Lfunc_end160:
	.size	_ZN12_GLOBAL__N_127rocblas_gemm_batched_kernelIDF16_Li16ELi16ELi32ELi32ELi8ELi32ELi8ELi8ELi32ELc67ELc67EKPKDF16_S3_KPDF16_EEvlllT_PT11_llS8_llS6_PT12_llPT13_lli, .Lfunc_end160-_ZN12_GLOBAL__N_127rocblas_gemm_batched_kernelIDF16_Li16ELi16ELi32ELi32ELi8ELi32ELi8ELi8ELi32ELc67ELc67EKPKDF16_S3_KPDF16_EEvlllT_PT11_llS8_llS6_PT12_llPT13_lli
                                        ; -- End function
	.set _ZN12_GLOBAL__N_127rocblas_gemm_batched_kernelIDF16_Li16ELi16ELi32ELi32ELi8ELi32ELi8ELi8ELi32ELc67ELc67EKPKDF16_S3_KPDF16_EEvlllT_PT11_llS8_llS6_PT12_llPT13_lli.num_vgpr, 41
	.set _ZN12_GLOBAL__N_127rocblas_gemm_batched_kernelIDF16_Li16ELi16ELi32ELi32ELi8ELi32ELi8ELi8ELi32ELc67ELc67EKPKDF16_S3_KPDF16_EEvlllT_PT11_llS8_llS6_PT12_llPT13_lli.num_agpr, 0
	.set _ZN12_GLOBAL__N_127rocblas_gemm_batched_kernelIDF16_Li16ELi16ELi32ELi32ELi8ELi32ELi8ELi8ELi32ELc67ELc67EKPKDF16_S3_KPDF16_EEvlllT_PT11_llS8_llS6_PT12_llPT13_lli.numbered_sgpr, 38
	.set _ZN12_GLOBAL__N_127rocblas_gemm_batched_kernelIDF16_Li16ELi16ELi32ELi32ELi8ELi32ELi8ELi8ELi32ELc67ELc67EKPKDF16_S3_KPDF16_EEvlllT_PT11_llS8_llS6_PT12_llPT13_lli.num_named_barrier, 0
	.set _ZN12_GLOBAL__N_127rocblas_gemm_batched_kernelIDF16_Li16ELi16ELi32ELi32ELi8ELi32ELi8ELi8ELi32ELc67ELc67EKPKDF16_S3_KPDF16_EEvlllT_PT11_llS8_llS6_PT12_llPT13_lli.private_seg_size, 0
	.set _ZN12_GLOBAL__N_127rocblas_gemm_batched_kernelIDF16_Li16ELi16ELi32ELi32ELi8ELi32ELi8ELi8ELi32ELc67ELc67EKPKDF16_S3_KPDF16_EEvlllT_PT11_llS8_llS6_PT12_llPT13_lli.uses_vcc, 1
	.set _ZN12_GLOBAL__N_127rocblas_gemm_batched_kernelIDF16_Li16ELi16ELi32ELi32ELi8ELi32ELi8ELi8ELi32ELc67ELc67EKPKDF16_S3_KPDF16_EEvlllT_PT11_llS8_llS6_PT12_llPT13_lli.uses_flat_scratch, 1
	.set _ZN12_GLOBAL__N_127rocblas_gemm_batched_kernelIDF16_Li16ELi16ELi32ELi32ELi8ELi32ELi8ELi8ELi32ELc67ELc67EKPKDF16_S3_KPDF16_EEvlllT_PT11_llS8_llS6_PT12_llPT13_lli.has_dyn_sized_stack, 0
	.set _ZN12_GLOBAL__N_127rocblas_gemm_batched_kernelIDF16_Li16ELi16ELi32ELi32ELi8ELi32ELi8ELi8ELi32ELc67ELc67EKPKDF16_S3_KPDF16_EEvlllT_PT11_llS8_llS6_PT12_llPT13_lli.has_recursion, 0
	.set _ZN12_GLOBAL__N_127rocblas_gemm_batched_kernelIDF16_Li16ELi16ELi32ELi32ELi8ELi32ELi8ELi8ELi32ELc67ELc67EKPKDF16_S3_KPDF16_EEvlllT_PT11_llS8_llS6_PT12_llPT13_lli.has_indirect_call, 0
	.section	.AMDGPU.csdata,"",@progbits
; Kernel info:
; codeLenInByte = 1784
; TotalNumSgprs: 40
; NumVgprs: 41
; ScratchSize: 0
; MemoryBound: 0
; FloatMode: 240
; IeeeMode: 1
; LDSByteSize: 1024 bytes/workgroup (compile time only)
; SGPRBlocks: 0
; VGPRBlocks: 5
; NumSGPRsForWavesPerEU: 40
; NumVGPRsForWavesPerEU: 41
; Occupancy: 16
; WaveLimiterHint : 1
; COMPUTE_PGM_RSRC2:SCRATCH_EN: 0
; COMPUTE_PGM_RSRC2:USER_SGPR: 2
; COMPUTE_PGM_RSRC2:TRAP_HANDLER: 0
; COMPUTE_PGM_RSRC2:TGID_X_EN: 1
; COMPUTE_PGM_RSRC2:TGID_Y_EN: 1
; COMPUTE_PGM_RSRC2:TGID_Z_EN: 1
; COMPUTE_PGM_RSRC2:TIDIG_COMP_CNT: 1
	.section	.text._ZN12_GLOBAL__N_127rocblas_gemm_batched_kernelIDF16_Li16ELi16ELi32ELi32ELi8ELi32ELi8ELi8ELi32ELc67ELc78EKPKDF16_S3_KPDF16_EEvlllT_PT11_llS8_llS6_PT12_llPT13_lli,"axG",@progbits,_ZN12_GLOBAL__N_127rocblas_gemm_batched_kernelIDF16_Li16ELi16ELi32ELi32ELi8ELi32ELi8ELi8ELi32ELc67ELc78EKPKDF16_S3_KPDF16_EEvlllT_PT11_llS8_llS6_PT12_llPT13_lli,comdat
	.globl	_ZN12_GLOBAL__N_127rocblas_gemm_batched_kernelIDF16_Li16ELi16ELi32ELi32ELi8ELi32ELi8ELi8ELi32ELc67ELc78EKPKDF16_S3_KPDF16_EEvlllT_PT11_llS8_llS6_PT12_llPT13_lli ; -- Begin function _ZN12_GLOBAL__N_127rocblas_gemm_batched_kernelIDF16_Li16ELi16ELi32ELi32ELi8ELi32ELi8ELi8ELi32ELc67ELc78EKPKDF16_S3_KPDF16_EEvlllT_PT11_llS8_llS6_PT12_llPT13_lli
	.p2align	8
	.type	_ZN12_GLOBAL__N_127rocblas_gemm_batched_kernelIDF16_Li16ELi16ELi32ELi32ELi8ELi32ELi8ELi8ELi32ELc67ELc78EKPKDF16_S3_KPDF16_EEvlllT_PT11_llS8_llS6_PT12_llPT13_lli,@function
_ZN12_GLOBAL__N_127rocblas_gemm_batched_kernelIDF16_Li16ELi16ELi32ELi32ELi8ELi32ELi8ELi8ELi32ELc67ELc78EKPKDF16_S3_KPDF16_EEvlllT_PT11_llS8_llS6_PT12_llPT13_lli: ; @_ZN12_GLOBAL__N_127rocblas_gemm_batched_kernelIDF16_Li16ELi16ELi32ELi32ELi8ELi32ELi8ELi8ELi32ELc67ELc78EKPKDF16_S3_KPDF16_EEvlllT_PT11_llS8_llS6_PT12_llPT13_lli
; %bb.0:
	s_load_b32 s31, s[0:1], 0x88
	s_lshr_b32 s34, ttmp7, 16
	s_wait_kmcnt 0x0
	s_cmp_ge_i32 s34, s31
	s_cbranch_scc1 .LBB161_11
; %bb.1:
	v_bfe_u32 v1, v0, 10, 10
	s_clause 0x1
	s_load_b96 s[28:30], s[0:1], 0x10
	s_load_b256 s[4:11], s[0:1], 0x20
	v_and_b32_e32 v10, 0x3ff, v0
	s_clause 0x3
	s_load_b128 s[24:27], s[0:1], 0x40
	s_load_b32 s33, s[0:1], 0x50
	s_load_b128 s[20:23], s[0:1], 0x78
	s_load_b256 s[12:19], s[0:1], 0x58
	v_lshlrev_b32_e32 v6, 4, v1
	v_lshlrev_b32_e32 v0, 1, v0
	v_mov_b32_e32 v14, 0
	s_lshl_b32 s0, ttmp7, 5
	s_mov_b32 s2, ttmp9
	v_add_nc_u32_e32 v2, v6, v10
	v_and_b32_e32 v13, 14, v0
	s_and_b32 s35, s0, 0x1fffe0
	s_ashr_i32 s3, ttmp9, 31
	v_add_nc_u32_e32 v9, s35, v1
	v_and_b32_e32 v11, 31, v2
	v_lshrrev_b32_e32 v0, 3, v2
	v_lshrrev_b32_e32 v21, 5, v2
	v_add_nc_u32_e32 v18, 0x200, v6
	s_lshl_b64 s[0:1], s[2:3], 5
	v_lshlrev_b32_e32 v2, 1, v11
	v_lshl_or_b32 v3, v0, 4, v13
	v_add_nc_u32_e32 v8, s35, v0
	s_wait_kmcnt 0x0
	s_cmp_eq_f16 s33, 0
	v_mad_co_u64_u32 v[4:5], null, v9, s14, 0
	v_lshl_or_b32 v15, v21, 6, v2
	v_add_nc_u32_e32 v16, 0x200, v3
	v_mad_co_u64_u32 v[2:3], null, v9, s20, 0
	v_mad_co_u64_u32 v[0:1], null, s24, v8, 0
	s_cselect_b32 s24, -1, 0
	s_lshl_b64 s[2:3], s[20:21], 4
	s_mov_b32 s35, 0
	v_mad_co_u64_u32 v[6:7], null, v9, s21, v[3:4]
	v_mad_co_u64_u32 v[7:8], null, s25, v8, v[1:2]
	v_or_b32_e32 v3, s0, v11
	s_lshl_b64 s[20:21], s[14:15], 4
	s_delay_alu instid0(VALU_DEP_3) | instskip(NEXT) | instid1(VALU_DEP_3)
	v_mad_co_u64_u32 v[8:9], null, v9, s15, v[5:6]
	v_mov_b32_e32 v1, v7
	s_delay_alu instid0(VALU_DEP_3)
	v_mul_lo_u32 v7, s7, v3
	v_mad_co_u64_u32 v[11:12], null, s6, v3, 0
	s_mul_i32 s6, s6, s1
	v_lshlrev_b64_e32 v[0:1], 1, v[0:1]
	v_add_co_u32 v9, s0, s0, v10
	v_lshlrev_b32_e32 v17, 1, v10
	s_wait_alu 0xf1ff
	v_add_co_ci_u32_e64 v10, null, s1, 0, s0
	s_wait_alu 0xfffe
	v_add3_u32 v12, v12, s6, v7
	s_lshl_b64 s[0:1], s[26:27], 1
	v_mov_b32_e32 v3, v6
	s_wait_alu 0xfffe
	v_add_co_u32 v6, vcc_lo, v0, s0
	s_delay_alu instid0(VALU_DEP_1) | instskip(SKIP_1) | instid1(VALU_DEP_3)
	v_add_co_ci_u32_e64 v7, null, s1, v1, vcc_lo
	v_lshlrev_b64_e32 v[0:1], 1, v[11:12]
	v_add_co_u32 v19, vcc_lo, v6, v13
	s_lshl_b64 s[0:1], s[8:9], 1
	s_wait_alu 0xfffd
	v_add_co_ci_u32_e64 v20, null, 0, v7, vcc_lo
	s_wait_alu 0xfffe
	v_add_co_u32 v0, vcc_lo, v0, s0
	v_cmp_gt_i64_e64 s0, s[28:29], 0
	v_dual_mov_b32 v5, v8 :: v_dual_lshlrev_b32 v6, 1, v21
	s_wait_alu 0xfffd
	v_add_co_ci_u32_e64 v1, null, s1, v1, vcc_lo
	v_lshlrev_b64_e32 v[2:3], 1, v[2:3]
	s_wait_alu 0xf1ff
	v_cndmask_b32_e64 v7, 0, 1, s0
	v_add_co_u32 v21, vcc_lo, v0, v6
	v_cndmask_b32_e64 v6, 0, 1, s24
	s_wait_alu 0xfffd
	v_add_co_ci_u32_e64 v22, null, 0, v1, vcc_lo
	v_lshlrev_b64_e32 v[0:1], 1, v[4:5]
	v_lshlrev_b64_e32 v[4:5], 1, v[9:10]
	v_cmp_ne_u32_e64 s0, 1, v7
	v_cmp_ne_u32_e64 s1, 1, v6
	s_lshl_b64 s[6:7], s[22:23], 1
	s_lshl_b64 s[8:9], s[2:3], 1
	;; [unrolled: 1-line block ×4, first 2 shown]
	s_branch .LBB161_3
.LBB161_2:                              ;   in Loop: Header=BB161_3 Depth=1
	s_add_co_i32 s34, s34, 0x10000
	s_wait_alu 0xfffe
	s_cmp_lt_i32 s34, s31
	s_cbranch_scc0 .LBB161_11
.LBB161_3:                              ; =>This Loop Header: Depth=1
                                        ;     Child Loop BB161_5 Depth 2
	s_lshl_b64 s[2:3], s[34:35], 3
	s_and_b32 vcc_lo, exec_lo, s0
	s_wait_alu 0xfffe
	s_add_nc_u64 s[20:21], s[12:13], s[2:3]
	s_add_nc_u64 s[22:23], s[18:19], s[2:3]
	s_clause 0x1
	global_load_b64 v[6:7], v14, s[20:21]
	global_load_b64 v[8:9], v14, s[22:23]
	s_cbranch_vccnz .LBB161_6
; %bb.4:                                ;   in Loop: Header=BB161_3 Depth=1
	s_add_nc_u64 s[20:21], s[10:11], s[2:3]
	s_add_nc_u64 s[2:3], s[4:5], s[2:3]
	s_clause 0x1
	global_load_b64 v[10:11], v14, s[20:21]
	global_load_b64 v[12:13], v14, s[2:3]
	v_dual_mov_b32 v23, 0 :: v_dual_mov_b32 v24, 0
	s_mov_b64 s[20:21], 0
	s_wait_loadcnt 0x1
	v_add_co_u32 v10, vcc_lo, v10, v19
	s_wait_alu 0xfffd
	v_add_co_ci_u32_e64 v11, null, v11, v20, vcc_lo
	s_wait_loadcnt 0x0
	v_add_co_u32 v12, vcc_lo, v12, v21
	s_wait_alu 0xfffd
	v_add_co_ci_u32_e64 v13, null, v13, v22, vcc_lo
.LBB161_5:                              ;   Parent Loop BB161_3 Depth=1
                                        ; =>  This Inner Loop Header: Depth=2
	flat_load_u16 v25, v[12:13]
	s_wait_alu 0xfffe
	s_add_nc_u64 s[20:21], s[20:21], 8
	v_add_co_u32 v12, vcc_lo, v12, 16
	s_wait_alu 0xfffe
	v_cmp_lt_i64_e64 s2, s[20:21], s[28:29]
	s_wait_alu 0xfffd
	v_add_co_ci_u32_e64 v13, null, 0, v13, vcc_lo
	s_and_b32 vcc_lo, exec_lo, s2
	s_wait_loadcnt_dscnt 0x0
	ds_store_b16 v15, v25
	flat_load_u16 v25, v[10:11]
	v_add_co_u32 v10, s2, v10, 16
	s_wait_alu 0xf1ff
	v_add_co_ci_u32_e64 v11, null, 0, v11, s2
	s_wait_loadcnt_dscnt 0x0
	ds_store_b16 v16, v25
	s_wait_dscnt 0x0
	s_barrier_signal -1
	s_barrier_wait -1
	global_inv scope:SCOPE_SE
	ds_load_u16 v33, v17 offset:32
	ds_load_u16 v34, v17 offset:96
	;; [unrolled: 1-line block ×3, first 2 shown]
	ds_load_b128 v[25:28], v18
	ds_load_b128 v[29:32], v18 offset:256
	ds_load_u16 v36, v17 offset:224
	ds_load_u16 v37, v17 offset:288
	;; [unrolled: 1-line block ×5, first 2 shown]
	s_wait_dscnt 0x9
	ds_load_u16_d16_hi v33, v17
	s_wait_dscnt 0x9
	ds_load_u16_d16_hi v34, v17 offset:64
	s_wait_dscnt 0x9
	ds_load_u16_d16_hi v35, v17 offset:128
	;; [unrolled: 2-line block ×7, first 2 shown]
	s_wait_loadcnt_dscnt 0x0
	s_barrier_signal -1
	s_barrier_wait -1
	global_inv scope:SCOPE_SE
	v_pk_fma_f16 v24, v33, v25, v24 op_sel_hi:[1,0,1]
	v_pk_fma_f16 v23, v33, v29, v23 op_sel_hi:[1,0,1]
	s_delay_alu instid0(VALU_DEP_2) | instskip(NEXT) | instid1(VALU_DEP_2)
	v_pk_fma_f16 v24, v34, v25, v24 op_sel:[0,1,0]
	v_pk_fma_f16 v23, v34, v29, v23 op_sel:[0,1,0]
	s_delay_alu instid0(VALU_DEP_2) | instskip(NEXT) | instid1(VALU_DEP_2)
	v_pk_fma_f16 v24, v35, v26, v24 op_sel_hi:[1,0,1]
	v_pk_fma_f16 v23, v35, v30, v23 op_sel_hi:[1,0,1]
	s_delay_alu instid0(VALU_DEP_2) | instskip(NEXT) | instid1(VALU_DEP_2)
	v_pk_fma_f16 v24, v36, v26, v24 op_sel:[0,1,0]
	v_pk_fma_f16 v23, v36, v30, v23 op_sel:[0,1,0]
	s_delay_alu instid0(VALU_DEP_2) | instskip(NEXT) | instid1(VALU_DEP_2)
	;; [unrolled: 6-line block ×3, first 2 shown]
	v_pk_fma_f16 v24, v39, v28, v24 op_sel_hi:[1,0,1]
	v_pk_fma_f16 v23, v39, v32, v23 op_sel_hi:[1,0,1]
	s_delay_alu instid0(VALU_DEP_2) | instskip(NEXT) | instid1(VALU_DEP_2)
	v_pk_fma_f16 v24, v40, v28, v24 op_sel:[0,1,0]
	v_pk_fma_f16 v23, v40, v32, v23 op_sel:[0,1,0]
	s_wait_alu 0xfffe
	s_cbranch_vccnz .LBB161_5
	s_branch .LBB161_7
.LBB161_6:                              ;   in Loop: Header=BB161_3 Depth=1
	v_dual_mov_b32 v24, 0 :: v_dual_mov_b32 v23, 0
.LBB161_7:                              ;   in Loop: Header=BB161_3 Depth=1
	s_wait_loadcnt 0x0
	v_add_co_u32 v10, vcc_lo, v8, s6
	s_wait_alu 0xfffd
	v_add_co_ci_u32_e64 v11, null, s7, v9, vcc_lo
	v_lshrrev_b32_e32 v9, 16, v24
	v_lshrrev_b32_e32 v8, 16, v23
	s_and_b32 vcc_lo, exec_lo, s1
	s_wait_alu 0xfffe
	s_cbranch_vccnz .LBB161_9
; %bb.8:                                ;   in Loop: Header=BB161_3 Depth=1
	v_add_co_u32 v25, vcc_lo, v10, v2
	s_wait_alu 0xfffd
	v_add_co_ci_u32_e64 v26, null, v11, v3, vcc_lo
	v_mul_f16_e32 v27, s30, v9
	s_delay_alu instid0(VALU_DEP_3) | instskip(SKIP_1) | instid1(VALU_DEP_3)
	v_add_co_u32 v12, vcc_lo, v25, v4
	s_wait_alu 0xfffd
	v_add_co_ci_u32_e64 v13, null, v26, v5, vcc_lo
	v_add_co_u32 v25, vcc_lo, v25, s8
	s_wait_alu 0xfffd
	v_add_co_ci_u32_e64 v26, null, s9, v26, vcc_lo
	v_mul_f16_e32 v29, s30, v8
	s_delay_alu instid0(VALU_DEP_3) | instskip(SKIP_1) | instid1(VALU_DEP_3)
	v_add_co_u32 v25, vcc_lo, v25, v4
	s_wait_alu 0xfffd
	v_add_co_ci_u32_e64 v26, null, v26, v5, vcc_lo
	v_mul_f16_e32 v28, s30, v24
	v_mul_f16_e32 v30, s30, v23
	s_clause 0x3
	flat_store_b16 v[12:13], v27
	flat_store_b16 v[12:13], v28 offset:32
	flat_store_b16 v[25:26], v29
	flat_store_b16 v[25:26], v30 offset:32
	s_cbranch_execnz .LBB161_2
	s_branch .LBB161_10
.LBB161_9:                              ;   in Loop: Header=BB161_3 Depth=1
.LBB161_10:                             ;   in Loop: Header=BB161_3 Depth=1
	v_add_co_u32 v6, vcc_lo, v6, s14
	s_wait_alu 0xfffd
	v_add_co_ci_u32_e64 v7, null, s15, v7, vcc_lo
	s_delay_alu instid0(VALU_DEP_2) | instskip(SKIP_1) | instid1(VALU_DEP_2)
	v_add_co_u32 v12, vcc_lo, v6, v0
	s_wait_alu 0xfffd
	v_add_co_ci_u32_e64 v13, null, v7, v1, vcc_lo
	s_delay_alu instid0(VALU_DEP_2) | instskip(SKIP_1) | instid1(VALU_DEP_2)
	v_add_co_u32 v6, vcc_lo, v12, v4
	s_wait_alu 0xfffd
	v_add_co_ci_u32_e64 v7, null, v13, v5, vcc_lo
	v_add_co_u32 v26, vcc_lo, v10, v2
	s_wait_alu 0xfffd
	v_add_co_ci_u32_e64 v27, null, v11, v3, vcc_lo
	flat_load_u16 v25, v[6:7]
	v_add_co_u32 v10, vcc_lo, v26, v4
	s_wait_alu 0xfffd
	v_add_co_ci_u32_e64 v11, null, v27, v5, vcc_lo
	s_wait_loadcnt_dscnt 0x0
	v_mul_f16_e32 v25, s33, v25
	s_delay_alu instid0(VALU_DEP_1)
	v_fmac_f16_e32 v25, s30, v9
	flat_store_b16 v[10:11], v25
	flat_load_u16 v6, v[6:7] offset:32
	s_wait_loadcnt_dscnt 0x0
	v_mul_f16_e32 v9, s33, v6
	v_add_co_u32 v6, vcc_lo, v12, s16
	s_wait_alu 0xfffd
	v_add_co_ci_u32_e64 v7, null, s17, v13, vcc_lo
	s_delay_alu instid0(VALU_DEP_3) | instskip(NEXT) | instid1(VALU_DEP_3)
	v_fmac_f16_e32 v9, s30, v24
	v_add_co_u32 v6, vcc_lo, v6, v4
	s_wait_alu 0xfffd
	s_delay_alu instid0(VALU_DEP_3)
	v_add_co_ci_u32_e64 v7, null, v7, v5, vcc_lo
	flat_store_b16 v[10:11], v9 offset:32
	flat_load_u16 v9, v[6:7]
	s_wait_loadcnt_dscnt 0x0
	v_mul_f16_e32 v10, s33, v9
	v_add_co_u32 v9, vcc_lo, v26, s8
	s_wait_alu 0xfffd
	v_add_co_ci_u32_e64 v11, null, s9, v27, vcc_lo
	s_delay_alu instid0(VALU_DEP_3) | instskip(NEXT) | instid1(VALU_DEP_3)
	v_fmac_f16_e32 v10, s30, v8
	v_add_co_u32 v8, vcc_lo, v9, v4
	s_wait_alu 0xfffd
	s_delay_alu instid0(VALU_DEP_3) | instskip(SKIP_4) | instid1(VALU_DEP_1)
	v_add_co_ci_u32_e64 v9, null, v11, v5, vcc_lo
	flat_store_b16 v[8:9], v10
	flat_load_u16 v6, v[6:7] offset:32
	s_wait_loadcnt_dscnt 0x0
	v_mul_f16_e32 v6, s33, v6
	v_fmac_f16_e32 v6, s30, v23
	flat_store_b16 v[8:9], v6 offset:32
	s_branch .LBB161_2
.LBB161_11:
	s_endpgm
	.section	.rodata,"a",@progbits
	.p2align	6, 0x0
	.amdhsa_kernel _ZN12_GLOBAL__N_127rocblas_gemm_batched_kernelIDF16_Li16ELi16ELi32ELi32ELi8ELi32ELi8ELi8ELi32ELc67ELc78EKPKDF16_S3_KPDF16_EEvlllT_PT11_llS8_llS6_PT12_llPT13_lli
		.amdhsa_group_segment_fixed_size 1024
		.amdhsa_private_segment_fixed_size 0
		.amdhsa_kernarg_size 140
		.amdhsa_user_sgpr_count 2
		.amdhsa_user_sgpr_dispatch_ptr 0
		.amdhsa_user_sgpr_queue_ptr 0
		.amdhsa_user_sgpr_kernarg_segment_ptr 1
		.amdhsa_user_sgpr_dispatch_id 0
		.amdhsa_user_sgpr_private_segment_size 0
		.amdhsa_wavefront_size32 1
		.amdhsa_uses_dynamic_stack 0
		.amdhsa_enable_private_segment 0
		.amdhsa_system_sgpr_workgroup_id_x 1
		.amdhsa_system_sgpr_workgroup_id_y 1
		.amdhsa_system_sgpr_workgroup_id_z 1
		.amdhsa_system_sgpr_workgroup_info 0
		.amdhsa_system_vgpr_workitem_id 1
		.amdhsa_next_free_vgpr 41
		.amdhsa_next_free_sgpr 36
		.amdhsa_reserve_vcc 1
		.amdhsa_float_round_mode_32 0
		.amdhsa_float_round_mode_16_64 0
		.amdhsa_float_denorm_mode_32 3
		.amdhsa_float_denorm_mode_16_64 3
		.amdhsa_fp16_overflow 0
		.amdhsa_workgroup_processor_mode 1
		.amdhsa_memory_ordered 1
		.amdhsa_forward_progress 1
		.amdhsa_inst_pref_size 14
		.amdhsa_round_robin_scheduling 0
		.amdhsa_exception_fp_ieee_invalid_op 0
		.amdhsa_exception_fp_denorm_src 0
		.amdhsa_exception_fp_ieee_div_zero 0
		.amdhsa_exception_fp_ieee_overflow 0
		.amdhsa_exception_fp_ieee_underflow 0
		.amdhsa_exception_fp_ieee_inexact 0
		.amdhsa_exception_int_div_zero 0
	.end_amdhsa_kernel
	.section	.text._ZN12_GLOBAL__N_127rocblas_gemm_batched_kernelIDF16_Li16ELi16ELi32ELi32ELi8ELi32ELi8ELi8ELi32ELc67ELc78EKPKDF16_S3_KPDF16_EEvlllT_PT11_llS8_llS6_PT12_llPT13_lli,"axG",@progbits,_ZN12_GLOBAL__N_127rocblas_gemm_batched_kernelIDF16_Li16ELi16ELi32ELi32ELi8ELi32ELi8ELi8ELi32ELc67ELc78EKPKDF16_S3_KPDF16_EEvlllT_PT11_llS8_llS6_PT12_llPT13_lli,comdat
.Lfunc_end161:
	.size	_ZN12_GLOBAL__N_127rocblas_gemm_batched_kernelIDF16_Li16ELi16ELi32ELi32ELi8ELi32ELi8ELi8ELi32ELc67ELc78EKPKDF16_S3_KPDF16_EEvlllT_PT11_llS8_llS6_PT12_llPT13_lli, .Lfunc_end161-_ZN12_GLOBAL__N_127rocblas_gemm_batched_kernelIDF16_Li16ELi16ELi32ELi32ELi8ELi32ELi8ELi8ELi32ELc67ELc78EKPKDF16_S3_KPDF16_EEvlllT_PT11_llS8_llS6_PT12_llPT13_lli
                                        ; -- End function
	.set _ZN12_GLOBAL__N_127rocblas_gemm_batched_kernelIDF16_Li16ELi16ELi32ELi32ELi8ELi32ELi8ELi8ELi32ELc67ELc78EKPKDF16_S3_KPDF16_EEvlllT_PT11_llS8_llS6_PT12_llPT13_lli.num_vgpr, 41
	.set _ZN12_GLOBAL__N_127rocblas_gemm_batched_kernelIDF16_Li16ELi16ELi32ELi32ELi8ELi32ELi8ELi8ELi32ELc67ELc78EKPKDF16_S3_KPDF16_EEvlllT_PT11_llS8_llS6_PT12_llPT13_lli.num_agpr, 0
	.set _ZN12_GLOBAL__N_127rocblas_gemm_batched_kernelIDF16_Li16ELi16ELi32ELi32ELi8ELi32ELi8ELi8ELi32ELc67ELc78EKPKDF16_S3_KPDF16_EEvlllT_PT11_llS8_llS6_PT12_llPT13_lli.numbered_sgpr, 36
	.set _ZN12_GLOBAL__N_127rocblas_gemm_batched_kernelIDF16_Li16ELi16ELi32ELi32ELi8ELi32ELi8ELi8ELi32ELc67ELc78EKPKDF16_S3_KPDF16_EEvlllT_PT11_llS8_llS6_PT12_llPT13_lli.num_named_barrier, 0
	.set _ZN12_GLOBAL__N_127rocblas_gemm_batched_kernelIDF16_Li16ELi16ELi32ELi32ELi8ELi32ELi8ELi8ELi32ELc67ELc78EKPKDF16_S3_KPDF16_EEvlllT_PT11_llS8_llS6_PT12_llPT13_lli.private_seg_size, 0
	.set _ZN12_GLOBAL__N_127rocblas_gemm_batched_kernelIDF16_Li16ELi16ELi32ELi32ELi8ELi32ELi8ELi8ELi32ELc67ELc78EKPKDF16_S3_KPDF16_EEvlllT_PT11_llS8_llS6_PT12_llPT13_lli.uses_vcc, 1
	.set _ZN12_GLOBAL__N_127rocblas_gemm_batched_kernelIDF16_Li16ELi16ELi32ELi32ELi8ELi32ELi8ELi8ELi32ELc67ELc78EKPKDF16_S3_KPDF16_EEvlllT_PT11_llS8_llS6_PT12_llPT13_lli.uses_flat_scratch, 1
	.set _ZN12_GLOBAL__N_127rocblas_gemm_batched_kernelIDF16_Li16ELi16ELi32ELi32ELi8ELi32ELi8ELi8ELi32ELc67ELc78EKPKDF16_S3_KPDF16_EEvlllT_PT11_llS8_llS6_PT12_llPT13_lli.has_dyn_sized_stack, 0
	.set _ZN12_GLOBAL__N_127rocblas_gemm_batched_kernelIDF16_Li16ELi16ELi32ELi32ELi8ELi32ELi8ELi8ELi32ELc67ELc78EKPKDF16_S3_KPDF16_EEvlllT_PT11_llS8_llS6_PT12_llPT13_lli.has_recursion, 0
	.set _ZN12_GLOBAL__N_127rocblas_gemm_batched_kernelIDF16_Li16ELi16ELi32ELi32ELi8ELi32ELi8ELi8ELi32ELc67ELc78EKPKDF16_S3_KPDF16_EEvlllT_PT11_llS8_llS6_PT12_llPT13_lli.has_indirect_call, 0
	.section	.AMDGPU.csdata,"",@progbits
; Kernel info:
; codeLenInByte = 1780
; TotalNumSgprs: 38
; NumVgprs: 41
; ScratchSize: 0
; MemoryBound: 0
; FloatMode: 240
; IeeeMode: 1
; LDSByteSize: 1024 bytes/workgroup (compile time only)
; SGPRBlocks: 0
; VGPRBlocks: 5
; NumSGPRsForWavesPerEU: 38
; NumVGPRsForWavesPerEU: 41
; Occupancy: 16
; WaveLimiterHint : 1
; COMPUTE_PGM_RSRC2:SCRATCH_EN: 0
; COMPUTE_PGM_RSRC2:USER_SGPR: 2
; COMPUTE_PGM_RSRC2:TRAP_HANDLER: 0
; COMPUTE_PGM_RSRC2:TGID_X_EN: 1
; COMPUTE_PGM_RSRC2:TGID_Y_EN: 1
; COMPUTE_PGM_RSRC2:TGID_Z_EN: 1
; COMPUTE_PGM_RSRC2:TIDIG_COMP_CNT: 1
	.section	.text._ZN12_GLOBAL__N_127rocblas_gemm_batched_kernelIDF16_Li16ELi16ELi32ELi32ELi8ELi32ELi8ELi8ELi32ELc67ELc84EKPKDF16_S3_KPDF16_EEvlllT_PT11_llS8_llS6_PT12_llPT13_lli,"axG",@progbits,_ZN12_GLOBAL__N_127rocblas_gemm_batched_kernelIDF16_Li16ELi16ELi32ELi32ELi8ELi32ELi8ELi8ELi32ELc67ELc84EKPKDF16_S3_KPDF16_EEvlllT_PT11_llS8_llS6_PT12_llPT13_lli,comdat
	.globl	_ZN12_GLOBAL__N_127rocblas_gemm_batched_kernelIDF16_Li16ELi16ELi32ELi32ELi8ELi32ELi8ELi8ELi32ELc67ELc84EKPKDF16_S3_KPDF16_EEvlllT_PT11_llS8_llS6_PT12_llPT13_lli ; -- Begin function _ZN12_GLOBAL__N_127rocblas_gemm_batched_kernelIDF16_Li16ELi16ELi32ELi32ELi8ELi32ELi8ELi8ELi32ELc67ELc84EKPKDF16_S3_KPDF16_EEvlllT_PT11_llS8_llS6_PT12_llPT13_lli
	.p2align	8
	.type	_ZN12_GLOBAL__N_127rocblas_gemm_batched_kernelIDF16_Li16ELi16ELi32ELi32ELi8ELi32ELi8ELi8ELi32ELc67ELc84EKPKDF16_S3_KPDF16_EEvlllT_PT11_llS8_llS6_PT12_llPT13_lli,@function
_ZN12_GLOBAL__N_127rocblas_gemm_batched_kernelIDF16_Li16ELi16ELi32ELi32ELi8ELi32ELi8ELi8ELi32ELc67ELc84EKPKDF16_S3_KPDF16_EEvlllT_PT11_llS8_llS6_PT12_llPT13_lli: ; @_ZN12_GLOBAL__N_127rocblas_gemm_batched_kernelIDF16_Li16ELi16ELi32ELi32ELi8ELi32ELi8ELi8ELi32ELc67ELc84EKPKDF16_S3_KPDF16_EEvlllT_PT11_llS8_llS6_PT12_llPT13_lli
; %bb.0:
	s_load_b32 s31, s[0:1], 0x88
	s_lshr_b32 s34, ttmp7, 16
	s_wait_kmcnt 0x0
	s_cmp_ge_i32 s34, s31
	s_cbranch_scc1 .LBB162_11
; %bb.1:
	s_clause 0x5
	s_load_b96 s[28:30], s[0:1], 0x10
	s_load_b256 s[4:11], s[0:1], 0x20
	s_load_b128 s[20:23], s[0:1], 0x78
	s_load_b128 s[24:27], s[0:1], 0x40
	s_load_b32 s33, s[0:1], 0x50
	s_load_b256 s[12:19], s[0:1], 0x58
	v_bfe_u32 v2, v0, 10, 10
	v_dual_mov_b32 v1, 0 :: v_dual_and_b32 v8, 0x3ff, v0
	s_lshl_b32 s0, ttmp7, 5
	v_and_b32_e32 v12, 7, v0
	s_delay_alu instid0(VALU_DEP_3)
	v_lshlrev_b32_e32 v3, 4, v2
	s_and_b32 s36, s0, 0x1fffe0
	s_mov_b32 s2, ttmp9
	v_add_nc_u32_e32 v14, s36, v2
	v_lshlrev_b32_e32 v5, 1, v12
	v_add_nc_u32_e32 v4, v3, v8
	v_add_nc_u32_e32 v19, 0x200, v3
	s_ashr_i32 s3, ttmp9, 31
	v_lshlrev_b32_e32 v18, 1, v8
	s_lshl_b64 s[0:1], s[2:3], 5
	v_lshrrev_b32_e32 v15, 5, v4
	v_lshrrev_b32_e32 v0, 3, v4
	v_add_co_u32 v8, s2, s0, v8
	s_wait_kmcnt 0x0
	v_mad_co_u64_u32 v[6:7], null, v14, s14, 0
	v_and_b32_e32 v13, 31, v4
	v_lshl_or_b32 v2, v0, 4, v5
	s_cmp_eq_f16 s33, 0
	v_add_co_ci_u32_e64 v9, null, s1, 0, s2
	s_delay_alu instid0(VALU_DEP_3) | instskip(NEXT) | instid1(VALU_DEP_3)
	v_lshlrev_b32_e32 v4, 1, v13
	v_add_nc_u32_e32 v17, 0x200, v2
	v_mad_co_u64_u32 v[2:3], null, s24, v12, v[0:1]
	s_cselect_b32 s37, -1, 0
	v_lshl_or_b32 v16, v15, 6, v4
	v_mad_co_u64_u32 v[4:5], null, v14, s20, 0
	s_lshl_b64 s[2:3], s[20:21], 4
	s_mov_b32 s35, 0
	v_add_co_u32 v2, vcc_lo, v2, s36
	v_mov_b32_e32 v0, v5
	s_delay_alu instid0(VALU_DEP_1)
	v_mad_co_u64_u32 v[10:11], null, v14, s21, v[0:1]
	v_mov_b32_e32 v0, v7
	v_or_b32_e32 v5, s0, v13
	v_mad_co_u64_u32 v[11:12], null, s25, v12, v[3:4]
	s_mul_i32 s0, s6, s1
	v_mad_co_u64_u32 v[12:13], null, v14, s15, v[0:1]
	v_mul_lo_u32 v0, s7, v5
	v_mad_co_u64_u32 v[13:14], null, s6, v5, 0
	v_add_co_ci_u32_e64 v3, null, 0, v11, vcc_lo
	v_mov_b32_e32 v5, v10
	v_mov_b32_e32 v7, v12
	s_lshl_b64 s[20:21], s[14:15], 4
	s_delay_alu instid0(VALU_DEP_3)
	v_lshlrev_b64_e32 v[2:3], 1, v[2:3]
	s_wait_alu 0xfffe
	v_add3_u32 v14, v14, s0, v0
	s_lshl_b64 s[0:1], s[26:27], 1
	v_lshlrev_b64_e32 v[4:5], 1, v[4:5]
	s_lshl_b64 s[6:7], s[24:25], 4
	s_lshl_b64 s[14:15], s[16:17], 1
	v_lshlrev_b64_e32 v[10:11], 1, v[13:14]
	s_wait_alu 0xfffe
	v_add_co_u32 v0, vcc_lo, s0, v2
	s_wait_alu 0xfffd
	v_add_co_ci_u32_e64 v20, null, s1, v3, vcc_lo
	s_lshl_b64 s[0:1], s[8:9], 1
	v_lshlrev_b32_e32 v2, 1, v15
	s_wait_alu 0xfffe
	v_add_co_u32 v3, vcc_lo, v10, s0
	v_cmp_gt_i64_e64 s0, s[28:29], 0
	s_wait_alu 0xfffd
	v_add_co_ci_u32_e64 v10, null, s1, v11, vcc_lo
	s_delay_alu instid0(VALU_DEP_3)
	v_add_co_u32 v21, vcc_lo, v3, v2
	v_lshlrev_b64_e32 v[2:3], 1, v[6:7]
	s_wait_alu 0xf1ff
	v_cndmask_b32_e64 v11, 0, 1, s0
	s_wait_alu 0xfffd
	v_add_co_ci_u32_e64 v22, null, 0, v10, vcc_lo
	v_cndmask_b32_e64 v10, 0, 1, s37
	v_lshlrev_b64_e32 v[6:7], 1, v[8:9]
	v_cmp_ne_u32_e64 s0, 1, v11
	s_lshl_b64 s[8:9], s[22:23], 1
	s_lshl_b64 s[16:17], s[20:21], 1
	v_cmp_ne_u32_e64 s1, 1, v10
	s_lshl_b64 s[20:21], s[2:3], 1
	s_branch .LBB162_3
.LBB162_2:                              ;   in Loop: Header=BB162_3 Depth=1
	s_add_co_i32 s34, s34, 0x10000
	s_delay_alu instid0(SALU_CYCLE_1)
	s_cmp_lt_i32 s34, s31
	s_cbranch_scc0 .LBB162_11
.LBB162_3:                              ; =>This Loop Header: Depth=1
                                        ;     Child Loop BB162_5 Depth 2
	s_lshl_b64 s[2:3], s[34:35], 3
	s_and_b32 vcc_lo, exec_lo, s0
	s_wait_alu 0xfffe
	s_add_nc_u64 s[22:23], s[12:13], s[2:3]
	s_add_nc_u64 s[24:25], s[18:19], s[2:3]
	s_clause 0x1
	global_load_b64 v[8:9], v1, s[22:23]
	global_load_b64 v[10:11], v1, s[24:25]
	s_cbranch_vccnz .LBB162_6
; %bb.4:                                ;   in Loop: Header=BB162_3 Depth=1
	s_add_nc_u64 s[22:23], s[10:11], s[2:3]
	s_add_nc_u64 s[2:3], s[4:5], s[2:3]
	s_clause 0x1
	global_load_b64 v[12:13], v1, s[22:23]
	global_load_b64 v[14:15], v1, s[2:3]
	v_dual_mov_b32 v23, 0 :: v_dual_mov_b32 v24, 0
	s_mov_b64 s[22:23], 0
	s_wait_loadcnt 0x1
	v_add_co_u32 v12, vcc_lo, v12, v0
	s_wait_alu 0xfffd
	v_add_co_ci_u32_e64 v13, null, v13, v20, vcc_lo
	s_wait_loadcnt 0x0
	v_add_co_u32 v14, vcc_lo, v14, v21
	s_wait_alu 0xfffd
	v_add_co_ci_u32_e64 v15, null, v15, v22, vcc_lo
.LBB162_5:                              ;   Parent Loop BB162_3 Depth=1
                                        ; =>  This Inner Loop Header: Depth=2
	flat_load_u16 v25, v[14:15]
	s_wait_alu 0xfffe
	s_add_nc_u64 s[22:23], s[22:23], 8
	v_add_co_u32 v14, vcc_lo, v14, 16
	s_wait_alu 0xfffe
	v_cmp_lt_i64_e64 s2, s[22:23], s[28:29]
	s_wait_alu 0xfffd
	v_add_co_ci_u32_e64 v15, null, 0, v15, vcc_lo
	s_and_b32 vcc_lo, exec_lo, s2
	s_wait_loadcnt_dscnt 0x0
	ds_store_b16 v16, v25
	flat_load_u16 v25, v[12:13]
	v_add_co_u32 v12, s2, v12, s6
	s_wait_alu 0xf1ff
	v_add_co_ci_u32_e64 v13, null, s7, v13, s2
	s_wait_loadcnt_dscnt 0x0
	ds_store_b16 v17, v25
	s_wait_dscnt 0x0
	s_barrier_signal -1
	s_barrier_wait -1
	global_inv scope:SCOPE_SE
	ds_load_u16 v33, v18 offset:32
	ds_load_u16 v34, v18 offset:96
	;; [unrolled: 1-line block ×3, first 2 shown]
	ds_load_b128 v[25:28], v19
	ds_load_b128 v[29:32], v19 offset:256
	ds_load_u16 v36, v18 offset:224
	ds_load_u16 v37, v18 offset:288
	;; [unrolled: 1-line block ×5, first 2 shown]
	s_wait_dscnt 0x9
	ds_load_u16_d16_hi v33, v18
	s_wait_dscnt 0x9
	ds_load_u16_d16_hi v34, v18 offset:64
	s_wait_dscnt 0x9
	ds_load_u16_d16_hi v35, v18 offset:128
	;; [unrolled: 2-line block ×7, first 2 shown]
	s_wait_loadcnt_dscnt 0x0
	s_barrier_signal -1
	s_barrier_wait -1
	global_inv scope:SCOPE_SE
	v_pk_fma_f16 v24, v33, v25, v24 op_sel_hi:[1,0,1]
	v_pk_fma_f16 v23, v33, v29, v23 op_sel_hi:[1,0,1]
	s_delay_alu instid0(VALU_DEP_2) | instskip(NEXT) | instid1(VALU_DEP_2)
	v_pk_fma_f16 v24, v34, v25, v24 op_sel:[0,1,0]
	v_pk_fma_f16 v23, v34, v29, v23 op_sel:[0,1,0]
	s_delay_alu instid0(VALU_DEP_2) | instskip(NEXT) | instid1(VALU_DEP_2)
	v_pk_fma_f16 v24, v35, v26, v24 op_sel_hi:[1,0,1]
	v_pk_fma_f16 v23, v35, v30, v23 op_sel_hi:[1,0,1]
	s_delay_alu instid0(VALU_DEP_2) | instskip(NEXT) | instid1(VALU_DEP_2)
	v_pk_fma_f16 v24, v36, v26, v24 op_sel:[0,1,0]
	v_pk_fma_f16 v23, v36, v30, v23 op_sel:[0,1,0]
	s_delay_alu instid0(VALU_DEP_2) | instskip(NEXT) | instid1(VALU_DEP_2)
	;; [unrolled: 6-line block ×3, first 2 shown]
	v_pk_fma_f16 v24, v39, v28, v24 op_sel_hi:[1,0,1]
	v_pk_fma_f16 v23, v39, v32, v23 op_sel_hi:[1,0,1]
	s_delay_alu instid0(VALU_DEP_2) | instskip(NEXT) | instid1(VALU_DEP_2)
	v_pk_fma_f16 v24, v40, v28, v24 op_sel:[0,1,0]
	v_pk_fma_f16 v23, v40, v32, v23 op_sel:[0,1,0]
	s_wait_alu 0xfffe
	s_cbranch_vccnz .LBB162_5
	s_branch .LBB162_7
.LBB162_6:                              ;   in Loop: Header=BB162_3 Depth=1
	v_dual_mov_b32 v24, 0 :: v_dual_mov_b32 v23, 0
.LBB162_7:                              ;   in Loop: Header=BB162_3 Depth=1
	s_wait_loadcnt 0x0
	v_add_co_u32 v12, vcc_lo, v10, s8
	s_wait_alu 0xfffd
	v_add_co_ci_u32_e64 v13, null, s9, v11, vcc_lo
	v_lshrrev_b32_e32 v11, 16, v24
	v_lshrrev_b32_e32 v10, 16, v23
	s_and_b32 vcc_lo, exec_lo, s1
	s_wait_alu 0xfffe
	s_cbranch_vccnz .LBB162_9
; %bb.8:                                ;   in Loop: Header=BB162_3 Depth=1
	v_add_co_u32 v25, vcc_lo, v12, v4
	s_wait_alu 0xfffd
	v_add_co_ci_u32_e64 v26, null, v13, v5, vcc_lo
	v_mul_f16_e32 v27, s30, v11
	s_delay_alu instid0(VALU_DEP_3) | instskip(SKIP_1) | instid1(VALU_DEP_3)
	v_add_co_u32 v14, vcc_lo, v25, v6
	s_wait_alu 0xfffd
	v_add_co_ci_u32_e64 v15, null, v26, v7, vcc_lo
	v_add_co_u32 v25, vcc_lo, v25, s20
	s_wait_alu 0xfffd
	v_add_co_ci_u32_e64 v26, null, s21, v26, vcc_lo
	v_mul_f16_e32 v29, s30, v10
	s_delay_alu instid0(VALU_DEP_3) | instskip(SKIP_1) | instid1(VALU_DEP_3)
	v_add_co_u32 v25, vcc_lo, v25, v6
	s_wait_alu 0xfffd
	v_add_co_ci_u32_e64 v26, null, v26, v7, vcc_lo
	v_mul_f16_e32 v28, s30, v24
	v_mul_f16_e32 v30, s30, v23
	s_clause 0x3
	flat_store_b16 v[14:15], v27
	flat_store_b16 v[14:15], v28 offset:32
	flat_store_b16 v[25:26], v29
	flat_store_b16 v[25:26], v30 offset:32
	s_cbranch_execnz .LBB162_2
	s_branch .LBB162_10
.LBB162_9:                              ;   in Loop: Header=BB162_3 Depth=1
.LBB162_10:                             ;   in Loop: Header=BB162_3 Depth=1
	v_add_co_u32 v8, vcc_lo, v8, s14
	s_wait_alu 0xfffd
	v_add_co_ci_u32_e64 v9, null, s15, v9, vcc_lo
	s_delay_alu instid0(VALU_DEP_2) | instskip(SKIP_1) | instid1(VALU_DEP_2)
	v_add_co_u32 v14, vcc_lo, v8, v2
	s_wait_alu 0xfffd
	v_add_co_ci_u32_e64 v15, null, v9, v3, vcc_lo
	s_delay_alu instid0(VALU_DEP_2) | instskip(SKIP_1) | instid1(VALU_DEP_2)
	v_add_co_u32 v8, vcc_lo, v14, v6
	s_wait_alu 0xfffd
	v_add_co_ci_u32_e64 v9, null, v15, v7, vcc_lo
	v_add_co_u32 v26, vcc_lo, v12, v4
	s_wait_alu 0xfffd
	v_add_co_ci_u32_e64 v27, null, v13, v5, vcc_lo
	flat_load_u16 v25, v[8:9]
	v_add_co_u32 v12, vcc_lo, v26, v6
	s_wait_alu 0xfffd
	v_add_co_ci_u32_e64 v13, null, v27, v7, vcc_lo
	s_wait_loadcnt_dscnt 0x0
	v_mul_f16_e32 v25, s33, v25
	s_delay_alu instid0(VALU_DEP_1)
	v_fmac_f16_e32 v25, s30, v11
	flat_store_b16 v[12:13], v25
	flat_load_u16 v8, v[8:9] offset:32
	s_wait_loadcnt_dscnt 0x0
	v_mul_f16_e32 v11, s33, v8
	v_add_co_u32 v8, vcc_lo, v14, s16
	s_wait_alu 0xfffd
	v_add_co_ci_u32_e64 v9, null, s17, v15, vcc_lo
	s_delay_alu instid0(VALU_DEP_3) | instskip(NEXT) | instid1(VALU_DEP_3)
	v_fmac_f16_e32 v11, s30, v24
	v_add_co_u32 v8, vcc_lo, v8, v6
	s_wait_alu 0xfffd
	s_delay_alu instid0(VALU_DEP_3)
	v_add_co_ci_u32_e64 v9, null, v9, v7, vcc_lo
	flat_store_b16 v[12:13], v11 offset:32
	flat_load_u16 v11, v[8:9]
	s_wait_loadcnt_dscnt 0x0
	v_mul_f16_e32 v12, s33, v11
	v_add_co_u32 v11, vcc_lo, v26, s20
	s_wait_alu 0xfffd
	v_add_co_ci_u32_e64 v13, null, s21, v27, vcc_lo
	s_delay_alu instid0(VALU_DEP_3) | instskip(NEXT) | instid1(VALU_DEP_3)
	v_fmac_f16_e32 v12, s30, v10
	v_add_co_u32 v10, vcc_lo, v11, v6
	s_wait_alu 0xfffd
	s_delay_alu instid0(VALU_DEP_3) | instskip(SKIP_4) | instid1(VALU_DEP_1)
	v_add_co_ci_u32_e64 v11, null, v13, v7, vcc_lo
	flat_store_b16 v[10:11], v12
	flat_load_u16 v8, v[8:9] offset:32
	s_wait_loadcnt_dscnt 0x0
	v_mul_f16_e32 v8, s33, v8
	v_fmac_f16_e32 v8, s30, v23
	flat_store_b16 v[10:11], v8 offset:32
	s_branch .LBB162_2
.LBB162_11:
	s_endpgm
	.section	.rodata,"a",@progbits
	.p2align	6, 0x0
	.amdhsa_kernel _ZN12_GLOBAL__N_127rocblas_gemm_batched_kernelIDF16_Li16ELi16ELi32ELi32ELi8ELi32ELi8ELi8ELi32ELc67ELc84EKPKDF16_S3_KPDF16_EEvlllT_PT11_llS8_llS6_PT12_llPT13_lli
		.amdhsa_group_segment_fixed_size 1024
		.amdhsa_private_segment_fixed_size 0
		.amdhsa_kernarg_size 140
		.amdhsa_user_sgpr_count 2
		.amdhsa_user_sgpr_dispatch_ptr 0
		.amdhsa_user_sgpr_queue_ptr 0
		.amdhsa_user_sgpr_kernarg_segment_ptr 1
		.amdhsa_user_sgpr_dispatch_id 0
		.amdhsa_user_sgpr_private_segment_size 0
		.amdhsa_wavefront_size32 1
		.amdhsa_uses_dynamic_stack 0
		.amdhsa_enable_private_segment 0
		.amdhsa_system_sgpr_workgroup_id_x 1
		.amdhsa_system_sgpr_workgroup_id_y 1
		.amdhsa_system_sgpr_workgroup_id_z 1
		.amdhsa_system_sgpr_workgroup_info 0
		.amdhsa_system_vgpr_workitem_id 1
		.amdhsa_next_free_vgpr 41
		.amdhsa_next_free_sgpr 38
		.amdhsa_reserve_vcc 1
		.amdhsa_float_round_mode_32 0
		.amdhsa_float_round_mode_16_64 0
		.amdhsa_float_denorm_mode_32 3
		.amdhsa_float_denorm_mode_16_64 3
		.amdhsa_fp16_overflow 0
		.amdhsa_workgroup_processor_mode 1
		.amdhsa_memory_ordered 1
		.amdhsa_forward_progress 1
		.amdhsa_inst_pref_size 14
		.amdhsa_round_robin_scheduling 0
		.amdhsa_exception_fp_ieee_invalid_op 0
		.amdhsa_exception_fp_denorm_src 0
		.amdhsa_exception_fp_ieee_div_zero 0
		.amdhsa_exception_fp_ieee_overflow 0
		.amdhsa_exception_fp_ieee_underflow 0
		.amdhsa_exception_fp_ieee_inexact 0
		.amdhsa_exception_int_div_zero 0
	.end_amdhsa_kernel
	.section	.text._ZN12_GLOBAL__N_127rocblas_gemm_batched_kernelIDF16_Li16ELi16ELi32ELi32ELi8ELi32ELi8ELi8ELi32ELc67ELc84EKPKDF16_S3_KPDF16_EEvlllT_PT11_llS8_llS6_PT12_llPT13_lli,"axG",@progbits,_ZN12_GLOBAL__N_127rocblas_gemm_batched_kernelIDF16_Li16ELi16ELi32ELi32ELi8ELi32ELi8ELi8ELi32ELc67ELc84EKPKDF16_S3_KPDF16_EEvlllT_PT11_llS8_llS6_PT12_llPT13_lli,comdat
.Lfunc_end162:
	.size	_ZN12_GLOBAL__N_127rocblas_gemm_batched_kernelIDF16_Li16ELi16ELi32ELi32ELi8ELi32ELi8ELi8ELi32ELc67ELc84EKPKDF16_S3_KPDF16_EEvlllT_PT11_llS8_llS6_PT12_llPT13_lli, .Lfunc_end162-_ZN12_GLOBAL__N_127rocblas_gemm_batched_kernelIDF16_Li16ELi16ELi32ELi32ELi8ELi32ELi8ELi8ELi32ELc67ELc84EKPKDF16_S3_KPDF16_EEvlllT_PT11_llS8_llS6_PT12_llPT13_lli
                                        ; -- End function
	.set _ZN12_GLOBAL__N_127rocblas_gemm_batched_kernelIDF16_Li16ELi16ELi32ELi32ELi8ELi32ELi8ELi8ELi32ELc67ELc84EKPKDF16_S3_KPDF16_EEvlllT_PT11_llS8_llS6_PT12_llPT13_lli.num_vgpr, 41
	.set _ZN12_GLOBAL__N_127rocblas_gemm_batched_kernelIDF16_Li16ELi16ELi32ELi32ELi8ELi32ELi8ELi8ELi32ELc67ELc84EKPKDF16_S3_KPDF16_EEvlllT_PT11_llS8_llS6_PT12_llPT13_lli.num_agpr, 0
	.set _ZN12_GLOBAL__N_127rocblas_gemm_batched_kernelIDF16_Li16ELi16ELi32ELi32ELi8ELi32ELi8ELi8ELi32ELc67ELc84EKPKDF16_S3_KPDF16_EEvlllT_PT11_llS8_llS6_PT12_llPT13_lli.numbered_sgpr, 38
	.set _ZN12_GLOBAL__N_127rocblas_gemm_batched_kernelIDF16_Li16ELi16ELi32ELi32ELi8ELi32ELi8ELi8ELi32ELc67ELc84EKPKDF16_S3_KPDF16_EEvlllT_PT11_llS8_llS6_PT12_llPT13_lli.num_named_barrier, 0
	.set _ZN12_GLOBAL__N_127rocblas_gemm_batched_kernelIDF16_Li16ELi16ELi32ELi32ELi8ELi32ELi8ELi8ELi32ELc67ELc84EKPKDF16_S3_KPDF16_EEvlllT_PT11_llS8_llS6_PT12_llPT13_lli.private_seg_size, 0
	.set _ZN12_GLOBAL__N_127rocblas_gemm_batched_kernelIDF16_Li16ELi16ELi32ELi32ELi8ELi32ELi8ELi8ELi32ELc67ELc84EKPKDF16_S3_KPDF16_EEvlllT_PT11_llS8_llS6_PT12_llPT13_lli.uses_vcc, 1
	.set _ZN12_GLOBAL__N_127rocblas_gemm_batched_kernelIDF16_Li16ELi16ELi32ELi32ELi8ELi32ELi8ELi8ELi32ELc67ELc84EKPKDF16_S3_KPDF16_EEvlllT_PT11_llS8_llS6_PT12_llPT13_lli.uses_flat_scratch, 1
	.set _ZN12_GLOBAL__N_127rocblas_gemm_batched_kernelIDF16_Li16ELi16ELi32ELi32ELi8ELi32ELi8ELi8ELi32ELc67ELc84EKPKDF16_S3_KPDF16_EEvlllT_PT11_llS8_llS6_PT12_llPT13_lli.has_dyn_sized_stack, 0
	.set _ZN12_GLOBAL__N_127rocblas_gemm_batched_kernelIDF16_Li16ELi16ELi32ELi32ELi8ELi32ELi8ELi8ELi32ELc67ELc84EKPKDF16_S3_KPDF16_EEvlllT_PT11_llS8_llS6_PT12_llPT13_lli.has_recursion, 0
	.set _ZN12_GLOBAL__N_127rocblas_gemm_batched_kernelIDF16_Li16ELi16ELi32ELi32ELi8ELi32ELi8ELi8ELi32ELc67ELc84EKPKDF16_S3_KPDF16_EEvlllT_PT11_llS8_llS6_PT12_llPT13_lli.has_indirect_call, 0
	.section	.AMDGPU.csdata,"",@progbits
; Kernel info:
; codeLenInByte = 1784
; TotalNumSgprs: 40
; NumVgprs: 41
; ScratchSize: 0
; MemoryBound: 0
; FloatMode: 240
; IeeeMode: 1
; LDSByteSize: 1024 bytes/workgroup (compile time only)
; SGPRBlocks: 0
; VGPRBlocks: 5
; NumSGPRsForWavesPerEU: 40
; NumVGPRsForWavesPerEU: 41
; Occupancy: 16
; WaveLimiterHint : 1
; COMPUTE_PGM_RSRC2:SCRATCH_EN: 0
; COMPUTE_PGM_RSRC2:USER_SGPR: 2
; COMPUTE_PGM_RSRC2:TRAP_HANDLER: 0
; COMPUTE_PGM_RSRC2:TGID_X_EN: 1
; COMPUTE_PGM_RSRC2:TGID_Y_EN: 1
; COMPUTE_PGM_RSRC2:TGID_Z_EN: 1
; COMPUTE_PGM_RSRC2:TIDIG_COMP_CNT: 1
	.section	.text._ZN12_GLOBAL__N_127rocblas_gemm_batched_kernelIDF16_Li16ELi16ELi32ELi32ELi8ELi32ELi8ELi8ELi32ELc78ELc67EKPKDF16_S3_KPDF16_EEvlllT_PT11_llS8_llS6_PT12_llPT13_lli,"axG",@progbits,_ZN12_GLOBAL__N_127rocblas_gemm_batched_kernelIDF16_Li16ELi16ELi32ELi32ELi8ELi32ELi8ELi8ELi32ELc78ELc67EKPKDF16_S3_KPDF16_EEvlllT_PT11_llS8_llS6_PT12_llPT13_lli,comdat
	.globl	_ZN12_GLOBAL__N_127rocblas_gemm_batched_kernelIDF16_Li16ELi16ELi32ELi32ELi8ELi32ELi8ELi8ELi32ELc78ELc67EKPKDF16_S3_KPDF16_EEvlllT_PT11_llS8_llS6_PT12_llPT13_lli ; -- Begin function _ZN12_GLOBAL__N_127rocblas_gemm_batched_kernelIDF16_Li16ELi16ELi32ELi32ELi8ELi32ELi8ELi8ELi32ELc78ELc67EKPKDF16_S3_KPDF16_EEvlllT_PT11_llS8_llS6_PT12_llPT13_lli
	.p2align	8
	.type	_ZN12_GLOBAL__N_127rocblas_gemm_batched_kernelIDF16_Li16ELi16ELi32ELi32ELi8ELi32ELi8ELi8ELi32ELc78ELc67EKPKDF16_S3_KPDF16_EEvlllT_PT11_llS8_llS6_PT12_llPT13_lli,@function
_ZN12_GLOBAL__N_127rocblas_gemm_batched_kernelIDF16_Li16ELi16ELi32ELi32ELi8ELi32ELi8ELi8ELi32ELc78ELc67EKPKDF16_S3_KPDF16_EEvlllT_PT11_llS8_llS6_PT12_llPT13_lli: ; @_ZN12_GLOBAL__N_127rocblas_gemm_batched_kernelIDF16_Li16ELi16ELi32ELi32ELi8ELi32ELi8ELi8ELi32ELc78ELc67EKPKDF16_S3_KPDF16_EEvlllT_PT11_llS8_llS6_PT12_llPT13_lli
; %bb.0:
	s_load_b32 s31, s[0:1], 0x88
	s_lshr_b32 s34, ttmp7, 16
	s_wait_kmcnt 0x0
	s_cmp_ge_i32 s34, s31
	s_cbranch_scc1 .LBB163_11
; %bb.1:
	v_bfe_u32 v1, v0, 10, 10
	s_load_b128 s[20:23], s[0:1], 0x78
	v_and_b32_e32 v10, 0x3ff, v0
	s_clause 0x4
	s_load_b96 s[28:30], s[0:1], 0x10
	s_load_b256 s[4:11], s[0:1], 0x20
	s_load_b128 s[24:27], s[0:1], 0x40
	s_load_b32 s33, s[0:1], 0x50
	s_load_b256 s[12:19], s[0:1], 0x58
	v_lshlrev_b32_e32 v2, 4, v1
	s_lshl_b32 s0, ttmp7, 5
	v_and_b32_e32 v14, 7, v0
	s_and_b32 s36, s0, 0x1fffe0
	s_mov_b32 s2, ttmp9
	v_dual_mov_b32 v1, 0 :: v_dual_add_nc_u32 v22, s36, v1
	v_add_nc_u32_e32 v3, v2, v10
	v_lshlrev_b32_e32 v4, 1, v14
	v_add_nc_u32_e32 v19, 0x200, v2
	s_ashr_i32 s3, ttmp9, 31
	v_lshlrev_b32_e32 v18, 1, v10
	v_lshrrev_b32_e32 v0, 3, v3
	s_lshl_b64 s[0:1], s[2:3], 5
	s_mov_b32 s35, 0
	v_add_co_u32 v10, s2, s0, v10
	s_delay_alu instid0(VALU_DEP_2) | instskip(SKIP_3) | instid1(VALU_DEP_3)
	v_lshl_or_b32 v6, v0, 4, v4
	s_wait_kmcnt 0x0
	v_mad_co_u64_u32 v[4:5], null, v22, s20, 0
	v_mad_co_u64_u32 v[8:9], null, v22, s14, 0
	v_add_nc_u32_e32 v17, 0x200, v6
	s_cmp_eq_f16 s33, 0
	v_add_co_ci_u32_e64 v11, null, s1, 0, s2
	s_delay_alu instid0(VALU_DEP_4)
	v_mov_b32_e32 v2, v5
	v_and_b32_e32 v20, 31, v3
	v_lshrrev_b32_e32 v21, 5, v3
	s_cselect_b32 s37, -1, 0
	s_lshl_b64 s[2:3], s[20:21], 4
	s_lshl_b64 s[16:17], s[16:17], 1
	v_lshlrev_b32_e32 v3, 1, v20
	v_mad_co_u64_u32 v[12:13], null, s6, v21, s[0:1]
	s_lshl_b64 s[0:1], s[26:27], 1
	v_lshl_or_b32 v16, v21, 6, v3
	v_mad_co_u64_u32 v[2:3], null, v22, s21, v[2:3]
	s_lshl_b64 s[20:21], s[14:15], 4
	s_wait_alu 0xfffe
	s_lshl_b64 s[20:21], s[20:21], 1
	v_mov_b32_e32 v5, v2
	v_mad_co_u64_u32 v[6:7], null, s24, v14, v[0:1]
	v_mov_b32_e32 v2, v9
	s_delay_alu instid0(VALU_DEP_3) | instskip(NEXT) | instid1(VALU_DEP_2)
	v_lshlrev_b64_e32 v[4:5], 1, v[4:5]
	v_mad_co_u64_u32 v[2:3], null, v22, s15, v[2:3]
	s_delay_alu instid0(VALU_DEP_4) | instskip(SKIP_4) | instid1(VALU_DEP_2)
	v_mov_b32_e32 v0, v7
	v_add_co_u32 v6, vcc_lo, v6, s36
	s_lshl_b64 s[14:15], s[24:25], 4
	v_mad_co_u64_u32 v[14:15], null, s25, v14, v[0:1]
	v_dual_mov_b32 v0, v13 :: v_dual_mov_b32 v9, v2
	v_add_co_ci_u32_e64 v7, null, 0, v14, vcc_lo
	s_delay_alu instid0(VALU_DEP_2)
	v_mad_co_u64_u32 v[13:14], null, s7, v21, v[0:1]
	s_lshl_b64 s[6:7], s[6:7], 4
	v_lshlrev_b64_e32 v[2:3], 1, v[6:7]
	v_add_co_u32 v6, vcc_lo, v12, v20
	v_cndmask_b32_e64 v12, 0, 1, s37
	s_wait_alu 0xfffd
	v_add_co_ci_u32_e64 v7, null, 0, v13, vcc_lo
	s_delay_alu instid0(VALU_DEP_4)
	v_add_co_u32 v0, vcc_lo, s0, v2
	s_wait_alu 0xfffd
	v_add_co_ci_u32_e64 v20, null, s1, v3, vcc_lo
	s_lshl_b64 s[0:1], s[8:9], 1
	v_cmp_gt_i64_e64 s8, s[28:29], 0
	v_lshlrev_b64_e32 v[2:3], 1, v[6:7]
	s_delay_alu instid0(VALU_DEP_2) | instskip(SKIP_1) | instid1(VALU_DEP_2)
	v_cndmask_b32_e64 v6, 0, 1, s8
	s_wait_alu 0xfffe
	v_add_co_u32 v21, vcc_lo, s0, v2
	s_wait_alu 0xfffd
	s_delay_alu instid0(VALU_DEP_3)
	v_add_co_ci_u32_e64 v22, null, s1, v3, vcc_lo
	v_cmp_ne_u32_e64 s0, 1, v6
	v_lshlrev_b64_e32 v[2:3], 1, v[8:9]
	v_lshlrev_b64_e32 v[6:7], 1, v[10:11]
	v_cmp_ne_u32_e64 s1, 1, v12
	s_lshl_b64 s[8:9], s[22:23], 1
	s_lshl_b64 s[22:23], s[2:3], 1
	s_branch .LBB163_3
.LBB163_2:                              ;   in Loop: Header=BB163_3 Depth=1
	s_add_co_i32 s34, s34, 0x10000
	s_delay_alu instid0(SALU_CYCLE_1)
	s_cmp_lt_i32 s34, s31
	s_cbranch_scc0 .LBB163_11
.LBB163_3:                              ; =>This Loop Header: Depth=1
                                        ;     Child Loop BB163_5 Depth 2
	s_lshl_b64 s[2:3], s[34:35], 3
	s_and_b32 vcc_lo, exec_lo, s0
	s_wait_alu 0xfffe
	s_add_nc_u64 s[24:25], s[12:13], s[2:3]
	s_add_nc_u64 s[26:27], s[18:19], s[2:3]
	s_clause 0x1
	global_load_b64 v[8:9], v1, s[24:25]
	global_load_b64 v[10:11], v1, s[26:27]
	s_cbranch_vccnz .LBB163_6
; %bb.4:                                ;   in Loop: Header=BB163_3 Depth=1
	s_add_nc_u64 s[24:25], s[10:11], s[2:3]
	s_add_nc_u64 s[2:3], s[4:5], s[2:3]
	s_clause 0x1
	global_load_b64 v[12:13], v1, s[24:25]
	global_load_b64 v[14:15], v1, s[2:3]
	v_dual_mov_b32 v23, 0 :: v_dual_mov_b32 v24, 0
	s_mov_b64 s[24:25], 0
	s_wait_loadcnt 0x1
	v_add_co_u32 v12, vcc_lo, v12, v0
	s_wait_alu 0xfffd
	v_add_co_ci_u32_e64 v13, null, v13, v20, vcc_lo
	s_wait_loadcnt 0x0
	v_add_co_u32 v14, vcc_lo, v14, v21
	s_wait_alu 0xfffd
	v_add_co_ci_u32_e64 v15, null, v15, v22, vcc_lo
.LBB163_5:                              ;   Parent Loop BB163_3 Depth=1
                                        ; =>  This Inner Loop Header: Depth=2
	flat_load_u16 v25, v[14:15]
	s_wait_alu 0xfffe
	s_add_nc_u64 s[24:25], s[24:25], 8
	v_add_co_u32 v14, vcc_lo, v14, s6
	s_wait_alu 0xfffe
	v_cmp_lt_i64_e64 s2, s[24:25], s[28:29]
	s_wait_alu 0xfffd
	v_add_co_ci_u32_e64 v15, null, s7, v15, vcc_lo
	s_and_b32 vcc_lo, exec_lo, s2
	s_wait_loadcnt_dscnt 0x0
	ds_store_b16 v16, v25
	flat_load_u16 v25, v[12:13]
	v_add_co_u32 v12, s2, v12, s14
	s_wait_alu 0xf1ff
	v_add_co_ci_u32_e64 v13, null, s15, v13, s2
	s_wait_loadcnt_dscnt 0x0
	ds_store_b16 v17, v25
	s_wait_dscnt 0x0
	s_barrier_signal -1
	s_barrier_wait -1
	global_inv scope:SCOPE_SE
	ds_load_u16 v33, v18 offset:32
	ds_load_u16 v34, v18 offset:96
	;; [unrolled: 1-line block ×3, first 2 shown]
	ds_load_b128 v[25:28], v19
	ds_load_b128 v[29:32], v19 offset:256
	ds_load_u16 v36, v18 offset:224
	ds_load_u16 v37, v18 offset:288
	;; [unrolled: 1-line block ×5, first 2 shown]
	s_wait_dscnt 0x9
	ds_load_u16_d16_hi v33, v18
	s_wait_dscnt 0x9
	ds_load_u16_d16_hi v34, v18 offset:64
	s_wait_dscnt 0x9
	ds_load_u16_d16_hi v35, v18 offset:128
	;; [unrolled: 2-line block ×7, first 2 shown]
	s_wait_loadcnt_dscnt 0x0
	s_barrier_signal -1
	s_barrier_wait -1
	global_inv scope:SCOPE_SE
	v_pk_fma_f16 v24, v33, v25, v24 op_sel_hi:[1,0,1]
	v_pk_fma_f16 v23, v33, v29, v23 op_sel_hi:[1,0,1]
	s_delay_alu instid0(VALU_DEP_2) | instskip(NEXT) | instid1(VALU_DEP_2)
	v_pk_fma_f16 v24, v34, v25, v24 op_sel:[0,1,0]
	v_pk_fma_f16 v23, v34, v29, v23 op_sel:[0,1,0]
	s_delay_alu instid0(VALU_DEP_2) | instskip(NEXT) | instid1(VALU_DEP_2)
	v_pk_fma_f16 v24, v35, v26, v24 op_sel_hi:[1,0,1]
	v_pk_fma_f16 v23, v35, v30, v23 op_sel_hi:[1,0,1]
	s_delay_alu instid0(VALU_DEP_2) | instskip(NEXT) | instid1(VALU_DEP_2)
	v_pk_fma_f16 v24, v36, v26, v24 op_sel:[0,1,0]
	v_pk_fma_f16 v23, v36, v30, v23 op_sel:[0,1,0]
	s_delay_alu instid0(VALU_DEP_2) | instskip(NEXT) | instid1(VALU_DEP_2)
	;; [unrolled: 6-line block ×3, first 2 shown]
	v_pk_fma_f16 v24, v39, v28, v24 op_sel_hi:[1,0,1]
	v_pk_fma_f16 v23, v39, v32, v23 op_sel_hi:[1,0,1]
	s_delay_alu instid0(VALU_DEP_2) | instskip(NEXT) | instid1(VALU_DEP_2)
	v_pk_fma_f16 v24, v40, v28, v24 op_sel:[0,1,0]
	v_pk_fma_f16 v23, v40, v32, v23 op_sel:[0,1,0]
	s_wait_alu 0xfffe
	s_cbranch_vccnz .LBB163_5
	s_branch .LBB163_7
.LBB163_6:                              ;   in Loop: Header=BB163_3 Depth=1
	v_dual_mov_b32 v24, 0 :: v_dual_mov_b32 v23, 0
.LBB163_7:                              ;   in Loop: Header=BB163_3 Depth=1
	s_wait_loadcnt 0x0
	v_add_co_u32 v12, vcc_lo, v10, s8
	s_wait_alu 0xfffd
	v_add_co_ci_u32_e64 v13, null, s9, v11, vcc_lo
	v_lshrrev_b32_e32 v11, 16, v24
	v_lshrrev_b32_e32 v10, 16, v23
	s_and_b32 vcc_lo, exec_lo, s1
	s_wait_alu 0xfffe
	s_cbranch_vccnz .LBB163_9
; %bb.8:                                ;   in Loop: Header=BB163_3 Depth=1
	v_add_co_u32 v25, vcc_lo, v12, v4
	s_wait_alu 0xfffd
	v_add_co_ci_u32_e64 v26, null, v13, v5, vcc_lo
	v_mul_f16_e32 v27, s30, v11
	s_delay_alu instid0(VALU_DEP_3) | instskip(SKIP_1) | instid1(VALU_DEP_3)
	v_add_co_u32 v14, vcc_lo, v25, v6
	s_wait_alu 0xfffd
	v_add_co_ci_u32_e64 v15, null, v26, v7, vcc_lo
	v_add_co_u32 v25, vcc_lo, v25, s22
	s_wait_alu 0xfffd
	v_add_co_ci_u32_e64 v26, null, s23, v26, vcc_lo
	v_mul_f16_e32 v29, s30, v10
	s_delay_alu instid0(VALU_DEP_3) | instskip(SKIP_1) | instid1(VALU_DEP_3)
	v_add_co_u32 v25, vcc_lo, v25, v6
	s_wait_alu 0xfffd
	v_add_co_ci_u32_e64 v26, null, v26, v7, vcc_lo
	v_mul_f16_e32 v28, s30, v24
	v_mul_f16_e32 v30, s30, v23
	s_clause 0x3
	flat_store_b16 v[14:15], v27
	flat_store_b16 v[14:15], v28 offset:32
	flat_store_b16 v[25:26], v29
	flat_store_b16 v[25:26], v30 offset:32
	s_cbranch_execnz .LBB163_2
	s_branch .LBB163_10
.LBB163_9:                              ;   in Loop: Header=BB163_3 Depth=1
.LBB163_10:                             ;   in Loop: Header=BB163_3 Depth=1
	v_add_co_u32 v8, vcc_lo, v8, s16
	s_wait_alu 0xfffd
	v_add_co_ci_u32_e64 v9, null, s17, v9, vcc_lo
	s_delay_alu instid0(VALU_DEP_2) | instskip(SKIP_1) | instid1(VALU_DEP_2)
	v_add_co_u32 v14, vcc_lo, v8, v2
	s_wait_alu 0xfffd
	v_add_co_ci_u32_e64 v15, null, v9, v3, vcc_lo
	s_delay_alu instid0(VALU_DEP_2) | instskip(SKIP_1) | instid1(VALU_DEP_2)
	v_add_co_u32 v8, vcc_lo, v14, v6
	s_wait_alu 0xfffd
	v_add_co_ci_u32_e64 v9, null, v15, v7, vcc_lo
	v_add_co_u32 v26, vcc_lo, v12, v4
	s_wait_alu 0xfffd
	v_add_co_ci_u32_e64 v27, null, v13, v5, vcc_lo
	flat_load_u16 v25, v[8:9]
	v_add_co_u32 v12, vcc_lo, v26, v6
	s_wait_alu 0xfffd
	v_add_co_ci_u32_e64 v13, null, v27, v7, vcc_lo
	s_wait_loadcnt_dscnt 0x0
	v_mul_f16_e32 v25, s33, v25
	s_delay_alu instid0(VALU_DEP_1)
	v_fmac_f16_e32 v25, s30, v11
	flat_store_b16 v[12:13], v25
	flat_load_u16 v8, v[8:9] offset:32
	s_wait_loadcnt_dscnt 0x0
	v_mul_f16_e32 v11, s33, v8
	v_add_co_u32 v8, vcc_lo, v14, s20
	s_wait_alu 0xfffd
	v_add_co_ci_u32_e64 v9, null, s21, v15, vcc_lo
	s_delay_alu instid0(VALU_DEP_3) | instskip(NEXT) | instid1(VALU_DEP_3)
	v_fmac_f16_e32 v11, s30, v24
	v_add_co_u32 v8, vcc_lo, v8, v6
	s_wait_alu 0xfffd
	s_delay_alu instid0(VALU_DEP_3)
	v_add_co_ci_u32_e64 v9, null, v9, v7, vcc_lo
	flat_store_b16 v[12:13], v11 offset:32
	flat_load_u16 v11, v[8:9]
	s_wait_loadcnt_dscnt 0x0
	v_mul_f16_e32 v12, s33, v11
	v_add_co_u32 v11, vcc_lo, v26, s22
	s_wait_alu 0xfffd
	v_add_co_ci_u32_e64 v13, null, s23, v27, vcc_lo
	s_delay_alu instid0(VALU_DEP_3) | instskip(NEXT) | instid1(VALU_DEP_3)
	v_fmac_f16_e32 v12, s30, v10
	v_add_co_u32 v10, vcc_lo, v11, v6
	s_wait_alu 0xfffd
	s_delay_alu instid0(VALU_DEP_3) | instskip(SKIP_4) | instid1(VALU_DEP_1)
	v_add_co_ci_u32_e64 v11, null, v13, v7, vcc_lo
	flat_store_b16 v[10:11], v12
	flat_load_u16 v8, v[8:9] offset:32
	s_wait_loadcnt_dscnt 0x0
	v_mul_f16_e32 v8, s33, v8
	v_fmac_f16_e32 v8, s30, v23
	flat_store_b16 v[10:11], v8 offset:32
	s_branch .LBB163_2
.LBB163_11:
	s_endpgm
	.section	.rodata,"a",@progbits
	.p2align	6, 0x0
	.amdhsa_kernel _ZN12_GLOBAL__N_127rocblas_gemm_batched_kernelIDF16_Li16ELi16ELi32ELi32ELi8ELi32ELi8ELi8ELi32ELc78ELc67EKPKDF16_S3_KPDF16_EEvlllT_PT11_llS8_llS6_PT12_llPT13_lli
		.amdhsa_group_segment_fixed_size 1024
		.amdhsa_private_segment_fixed_size 0
		.amdhsa_kernarg_size 140
		.amdhsa_user_sgpr_count 2
		.amdhsa_user_sgpr_dispatch_ptr 0
		.amdhsa_user_sgpr_queue_ptr 0
		.amdhsa_user_sgpr_kernarg_segment_ptr 1
		.amdhsa_user_sgpr_dispatch_id 0
		.amdhsa_user_sgpr_private_segment_size 0
		.amdhsa_wavefront_size32 1
		.amdhsa_uses_dynamic_stack 0
		.amdhsa_enable_private_segment 0
		.amdhsa_system_sgpr_workgroup_id_x 1
		.amdhsa_system_sgpr_workgroup_id_y 1
		.amdhsa_system_sgpr_workgroup_id_z 1
		.amdhsa_system_sgpr_workgroup_info 0
		.amdhsa_system_vgpr_workitem_id 1
		.amdhsa_next_free_vgpr 41
		.amdhsa_next_free_sgpr 38
		.amdhsa_reserve_vcc 1
		.amdhsa_float_round_mode_32 0
		.amdhsa_float_round_mode_16_64 0
		.amdhsa_float_denorm_mode_32 3
		.amdhsa_float_denorm_mode_16_64 3
		.amdhsa_fp16_overflow 0
		.amdhsa_workgroup_processor_mode 1
		.amdhsa_memory_ordered 1
		.amdhsa_forward_progress 1
		.amdhsa_inst_pref_size 14
		.amdhsa_round_robin_scheduling 0
		.amdhsa_exception_fp_ieee_invalid_op 0
		.amdhsa_exception_fp_denorm_src 0
		.amdhsa_exception_fp_ieee_div_zero 0
		.amdhsa_exception_fp_ieee_overflow 0
		.amdhsa_exception_fp_ieee_underflow 0
		.amdhsa_exception_fp_ieee_inexact 0
		.amdhsa_exception_int_div_zero 0
	.end_amdhsa_kernel
	.section	.text._ZN12_GLOBAL__N_127rocblas_gemm_batched_kernelIDF16_Li16ELi16ELi32ELi32ELi8ELi32ELi8ELi8ELi32ELc78ELc67EKPKDF16_S3_KPDF16_EEvlllT_PT11_llS8_llS6_PT12_llPT13_lli,"axG",@progbits,_ZN12_GLOBAL__N_127rocblas_gemm_batched_kernelIDF16_Li16ELi16ELi32ELi32ELi8ELi32ELi8ELi8ELi32ELc78ELc67EKPKDF16_S3_KPDF16_EEvlllT_PT11_llS8_llS6_PT12_llPT13_lli,comdat
.Lfunc_end163:
	.size	_ZN12_GLOBAL__N_127rocblas_gemm_batched_kernelIDF16_Li16ELi16ELi32ELi32ELi8ELi32ELi8ELi8ELi32ELc78ELc67EKPKDF16_S3_KPDF16_EEvlllT_PT11_llS8_llS6_PT12_llPT13_lli, .Lfunc_end163-_ZN12_GLOBAL__N_127rocblas_gemm_batched_kernelIDF16_Li16ELi16ELi32ELi32ELi8ELi32ELi8ELi8ELi32ELc78ELc67EKPKDF16_S3_KPDF16_EEvlllT_PT11_llS8_llS6_PT12_llPT13_lli
                                        ; -- End function
	.set _ZN12_GLOBAL__N_127rocblas_gemm_batched_kernelIDF16_Li16ELi16ELi32ELi32ELi8ELi32ELi8ELi8ELi32ELc78ELc67EKPKDF16_S3_KPDF16_EEvlllT_PT11_llS8_llS6_PT12_llPT13_lli.num_vgpr, 41
	.set _ZN12_GLOBAL__N_127rocblas_gemm_batched_kernelIDF16_Li16ELi16ELi32ELi32ELi8ELi32ELi8ELi8ELi32ELc78ELc67EKPKDF16_S3_KPDF16_EEvlllT_PT11_llS8_llS6_PT12_llPT13_lli.num_agpr, 0
	.set _ZN12_GLOBAL__N_127rocblas_gemm_batched_kernelIDF16_Li16ELi16ELi32ELi32ELi8ELi32ELi8ELi8ELi32ELc78ELc67EKPKDF16_S3_KPDF16_EEvlllT_PT11_llS8_llS6_PT12_llPT13_lli.numbered_sgpr, 38
	.set _ZN12_GLOBAL__N_127rocblas_gemm_batched_kernelIDF16_Li16ELi16ELi32ELi32ELi8ELi32ELi8ELi8ELi32ELc78ELc67EKPKDF16_S3_KPDF16_EEvlllT_PT11_llS8_llS6_PT12_llPT13_lli.num_named_barrier, 0
	.set _ZN12_GLOBAL__N_127rocblas_gemm_batched_kernelIDF16_Li16ELi16ELi32ELi32ELi8ELi32ELi8ELi8ELi32ELc78ELc67EKPKDF16_S3_KPDF16_EEvlllT_PT11_llS8_llS6_PT12_llPT13_lli.private_seg_size, 0
	.set _ZN12_GLOBAL__N_127rocblas_gemm_batched_kernelIDF16_Li16ELi16ELi32ELi32ELi8ELi32ELi8ELi8ELi32ELc78ELc67EKPKDF16_S3_KPDF16_EEvlllT_PT11_llS8_llS6_PT12_llPT13_lli.uses_vcc, 1
	.set _ZN12_GLOBAL__N_127rocblas_gemm_batched_kernelIDF16_Li16ELi16ELi32ELi32ELi8ELi32ELi8ELi8ELi32ELc78ELc67EKPKDF16_S3_KPDF16_EEvlllT_PT11_llS8_llS6_PT12_llPT13_lli.uses_flat_scratch, 1
	.set _ZN12_GLOBAL__N_127rocblas_gemm_batched_kernelIDF16_Li16ELi16ELi32ELi32ELi8ELi32ELi8ELi8ELi32ELc78ELc67EKPKDF16_S3_KPDF16_EEvlllT_PT11_llS8_llS6_PT12_llPT13_lli.has_dyn_sized_stack, 0
	.set _ZN12_GLOBAL__N_127rocblas_gemm_batched_kernelIDF16_Li16ELi16ELi32ELi32ELi8ELi32ELi8ELi8ELi32ELc78ELc67EKPKDF16_S3_KPDF16_EEvlllT_PT11_llS8_llS6_PT12_llPT13_lli.has_recursion, 0
	.set _ZN12_GLOBAL__N_127rocblas_gemm_batched_kernelIDF16_Li16ELi16ELi32ELi32ELi8ELi32ELi8ELi8ELi32ELc78ELc67EKPKDF16_S3_KPDF16_EEvlllT_PT11_llS8_llS6_PT12_llPT13_lli.has_indirect_call, 0
	.section	.AMDGPU.csdata,"",@progbits
; Kernel info:
; codeLenInByte = 1780
; TotalNumSgprs: 40
; NumVgprs: 41
; ScratchSize: 0
; MemoryBound: 0
; FloatMode: 240
; IeeeMode: 1
; LDSByteSize: 1024 bytes/workgroup (compile time only)
; SGPRBlocks: 0
; VGPRBlocks: 5
; NumSGPRsForWavesPerEU: 40
; NumVGPRsForWavesPerEU: 41
; Occupancy: 16
; WaveLimiterHint : 1
; COMPUTE_PGM_RSRC2:SCRATCH_EN: 0
; COMPUTE_PGM_RSRC2:USER_SGPR: 2
; COMPUTE_PGM_RSRC2:TRAP_HANDLER: 0
; COMPUTE_PGM_RSRC2:TGID_X_EN: 1
; COMPUTE_PGM_RSRC2:TGID_Y_EN: 1
; COMPUTE_PGM_RSRC2:TGID_Z_EN: 1
; COMPUTE_PGM_RSRC2:TIDIG_COMP_CNT: 1
	.section	.text._ZN12_GLOBAL__N_127rocblas_gemm_batched_kernelIDF16_Li16ELi16ELi32ELi32ELi8ELi32ELi8ELi8ELi32ELc84ELc67EKPKDF16_S3_KPDF16_EEvlllT_PT11_llS8_llS6_PT12_llPT13_lli,"axG",@progbits,_ZN12_GLOBAL__N_127rocblas_gemm_batched_kernelIDF16_Li16ELi16ELi32ELi32ELi8ELi32ELi8ELi8ELi32ELc84ELc67EKPKDF16_S3_KPDF16_EEvlllT_PT11_llS8_llS6_PT12_llPT13_lli,comdat
	.globl	_ZN12_GLOBAL__N_127rocblas_gemm_batched_kernelIDF16_Li16ELi16ELi32ELi32ELi8ELi32ELi8ELi8ELi32ELc84ELc67EKPKDF16_S3_KPDF16_EEvlllT_PT11_llS8_llS6_PT12_llPT13_lli ; -- Begin function _ZN12_GLOBAL__N_127rocblas_gemm_batched_kernelIDF16_Li16ELi16ELi32ELi32ELi8ELi32ELi8ELi8ELi32ELc84ELc67EKPKDF16_S3_KPDF16_EEvlllT_PT11_llS8_llS6_PT12_llPT13_lli
	.p2align	8
	.type	_ZN12_GLOBAL__N_127rocblas_gemm_batched_kernelIDF16_Li16ELi16ELi32ELi32ELi8ELi32ELi8ELi8ELi32ELc84ELc67EKPKDF16_S3_KPDF16_EEvlllT_PT11_llS8_llS6_PT12_llPT13_lli,@function
_ZN12_GLOBAL__N_127rocblas_gemm_batched_kernelIDF16_Li16ELi16ELi32ELi32ELi8ELi32ELi8ELi8ELi32ELc84ELc67EKPKDF16_S3_KPDF16_EEvlllT_PT11_llS8_llS6_PT12_llPT13_lli: ; @_ZN12_GLOBAL__N_127rocblas_gemm_batched_kernelIDF16_Li16ELi16ELi32ELi32ELi8ELi32ELi8ELi8ELi32ELc84ELc67EKPKDF16_S3_KPDF16_EEvlllT_PT11_llS8_llS6_PT12_llPT13_lli
; %bb.0:
	s_load_b32 s31, s[0:1], 0x88
	s_lshr_b32 s34, ttmp7, 16
	s_wait_kmcnt 0x0
	s_cmp_ge_i32 s34, s31
	s_cbranch_scc1 .LBB164_11
; %bb.1:
	s_clause 0x5
	s_load_b96 s[28:30], s[0:1], 0x10
	s_load_b256 s[4:11], s[0:1], 0x20
	s_load_b128 s[20:23], s[0:1], 0x78
	s_load_b128 s[24:27], s[0:1], 0x40
	s_load_b32 s33, s[0:1], 0x50
	s_load_b256 s[12:19], s[0:1], 0x58
	v_bfe_u32 v2, v0, 10, 10
	v_dual_mov_b32 v1, 0 :: v_dual_and_b32 v8, 0x3ff, v0
	s_lshl_b32 s0, ttmp7, 5
	v_and_b32_e32 v12, 7, v0
	s_delay_alu instid0(VALU_DEP_3)
	v_lshlrev_b32_e32 v3, 4, v2
	s_and_b32 s36, s0, 0x1fffe0
	s_mov_b32 s2, ttmp9
	v_add_nc_u32_e32 v14, s36, v2
	v_lshlrev_b32_e32 v5, 1, v12
	v_add_nc_u32_e32 v4, v3, v8
	v_add_nc_u32_e32 v19, 0x200, v3
	s_ashr_i32 s3, ttmp9, 31
	v_lshlrev_b32_e32 v18, 1, v8
	s_lshl_b64 s[0:1], s[2:3], 5
	v_lshrrev_b32_e32 v15, 5, v4
	v_lshrrev_b32_e32 v0, 3, v4
	v_add_co_u32 v8, s2, s0, v8
	s_wait_kmcnt 0x0
	v_mad_co_u64_u32 v[6:7], null, v14, s14, 0
	v_and_b32_e32 v13, 31, v4
	v_lshl_or_b32 v2, v0, 4, v5
	s_cmp_eq_f16 s33, 0
	v_add_co_ci_u32_e64 v9, null, s1, 0, s2
	s_delay_alu instid0(VALU_DEP_3) | instskip(NEXT) | instid1(VALU_DEP_3)
	v_lshlrev_b32_e32 v4, 1, v13
	v_add_nc_u32_e32 v17, 0x200, v2
	v_mad_co_u64_u32 v[2:3], null, s24, v12, v[0:1]
	s_cselect_b32 s37, -1, 0
	v_lshl_or_b32 v16, v15, 6, v4
	v_mad_co_u64_u32 v[4:5], null, v14, s20, 0
	s_lshl_b64 s[2:3], s[20:21], 4
	s_mov_b32 s35, 0
	v_add_co_u32 v2, vcc_lo, v2, s36
	v_mov_b32_e32 v0, v5
	s_delay_alu instid0(VALU_DEP_1)
	v_mad_co_u64_u32 v[10:11], null, v14, s21, v[0:1]
	v_mov_b32_e32 v0, v7
	v_or_b32_e32 v5, s0, v13
	v_mad_co_u64_u32 v[11:12], null, s25, v12, v[3:4]
	s_mul_i32 s0, s6, s1
	v_mad_co_u64_u32 v[12:13], null, v14, s15, v[0:1]
	v_mul_lo_u32 v0, s7, v5
	v_mad_co_u64_u32 v[13:14], null, s6, v5, 0
	v_add_co_ci_u32_e64 v3, null, 0, v11, vcc_lo
	v_mov_b32_e32 v5, v10
	v_mov_b32_e32 v7, v12
	s_lshl_b64 s[20:21], s[14:15], 4
	s_delay_alu instid0(VALU_DEP_3)
	v_lshlrev_b64_e32 v[2:3], 1, v[2:3]
	s_wait_alu 0xfffe
	v_add3_u32 v14, v14, s0, v0
	s_lshl_b64 s[0:1], s[26:27], 1
	v_lshlrev_b64_e32 v[4:5], 1, v[4:5]
	s_lshl_b64 s[6:7], s[24:25], 4
	s_lshl_b64 s[14:15], s[16:17], 1
	v_lshlrev_b64_e32 v[10:11], 1, v[13:14]
	s_wait_alu 0xfffe
	v_add_co_u32 v0, vcc_lo, s0, v2
	s_wait_alu 0xfffd
	v_add_co_ci_u32_e64 v20, null, s1, v3, vcc_lo
	s_lshl_b64 s[0:1], s[8:9], 1
	v_lshlrev_b32_e32 v2, 1, v15
	s_wait_alu 0xfffe
	v_add_co_u32 v3, vcc_lo, v10, s0
	v_cmp_gt_i64_e64 s0, s[28:29], 0
	s_wait_alu 0xfffd
	v_add_co_ci_u32_e64 v10, null, s1, v11, vcc_lo
	s_delay_alu instid0(VALU_DEP_3)
	v_add_co_u32 v21, vcc_lo, v3, v2
	v_lshlrev_b64_e32 v[2:3], 1, v[6:7]
	s_wait_alu 0xf1ff
	v_cndmask_b32_e64 v11, 0, 1, s0
	s_wait_alu 0xfffd
	v_add_co_ci_u32_e64 v22, null, 0, v10, vcc_lo
	v_cndmask_b32_e64 v10, 0, 1, s37
	v_lshlrev_b64_e32 v[6:7], 1, v[8:9]
	v_cmp_ne_u32_e64 s0, 1, v11
	s_lshl_b64 s[8:9], s[22:23], 1
	s_lshl_b64 s[16:17], s[20:21], 1
	v_cmp_ne_u32_e64 s1, 1, v10
	s_lshl_b64 s[20:21], s[2:3], 1
	s_branch .LBB164_3
.LBB164_2:                              ;   in Loop: Header=BB164_3 Depth=1
	s_add_co_i32 s34, s34, 0x10000
	s_delay_alu instid0(SALU_CYCLE_1)
	s_cmp_lt_i32 s34, s31
	s_cbranch_scc0 .LBB164_11
.LBB164_3:                              ; =>This Loop Header: Depth=1
                                        ;     Child Loop BB164_5 Depth 2
	s_lshl_b64 s[2:3], s[34:35], 3
	s_and_b32 vcc_lo, exec_lo, s0
	s_wait_alu 0xfffe
	s_add_nc_u64 s[22:23], s[12:13], s[2:3]
	s_add_nc_u64 s[24:25], s[18:19], s[2:3]
	s_clause 0x1
	global_load_b64 v[8:9], v1, s[22:23]
	global_load_b64 v[10:11], v1, s[24:25]
	s_cbranch_vccnz .LBB164_6
; %bb.4:                                ;   in Loop: Header=BB164_3 Depth=1
	s_add_nc_u64 s[22:23], s[10:11], s[2:3]
	s_add_nc_u64 s[2:3], s[4:5], s[2:3]
	s_clause 0x1
	global_load_b64 v[12:13], v1, s[22:23]
	global_load_b64 v[14:15], v1, s[2:3]
	v_dual_mov_b32 v23, 0 :: v_dual_mov_b32 v24, 0
	s_mov_b64 s[22:23], 0
	s_wait_loadcnt 0x1
	v_add_co_u32 v12, vcc_lo, v12, v0
	s_wait_alu 0xfffd
	v_add_co_ci_u32_e64 v13, null, v13, v20, vcc_lo
	s_wait_loadcnt 0x0
	v_add_co_u32 v14, vcc_lo, v14, v21
	s_wait_alu 0xfffd
	v_add_co_ci_u32_e64 v15, null, v15, v22, vcc_lo
.LBB164_5:                              ;   Parent Loop BB164_3 Depth=1
                                        ; =>  This Inner Loop Header: Depth=2
	flat_load_u16 v25, v[14:15]
	s_wait_alu 0xfffe
	s_add_nc_u64 s[22:23], s[22:23], 8
	v_add_co_u32 v14, vcc_lo, v14, 16
	s_wait_alu 0xfffe
	v_cmp_lt_i64_e64 s2, s[22:23], s[28:29]
	s_wait_alu 0xfffd
	v_add_co_ci_u32_e64 v15, null, 0, v15, vcc_lo
	s_and_b32 vcc_lo, exec_lo, s2
	s_wait_loadcnt_dscnt 0x0
	ds_store_b16 v16, v25
	flat_load_u16 v25, v[12:13]
	v_add_co_u32 v12, s2, v12, s6
	s_wait_alu 0xf1ff
	v_add_co_ci_u32_e64 v13, null, s7, v13, s2
	s_wait_loadcnt_dscnt 0x0
	ds_store_b16 v17, v25
	s_wait_dscnt 0x0
	s_barrier_signal -1
	s_barrier_wait -1
	global_inv scope:SCOPE_SE
	ds_load_u16 v33, v18 offset:32
	ds_load_u16 v34, v18 offset:96
	;; [unrolled: 1-line block ×3, first 2 shown]
	ds_load_b128 v[25:28], v19
	ds_load_b128 v[29:32], v19 offset:256
	ds_load_u16 v36, v18 offset:224
	ds_load_u16 v37, v18 offset:288
	;; [unrolled: 1-line block ×5, first 2 shown]
	s_wait_dscnt 0x9
	ds_load_u16_d16_hi v33, v18
	s_wait_dscnt 0x9
	ds_load_u16_d16_hi v34, v18 offset:64
	s_wait_dscnt 0x9
	ds_load_u16_d16_hi v35, v18 offset:128
	;; [unrolled: 2-line block ×7, first 2 shown]
	s_wait_loadcnt_dscnt 0x0
	s_barrier_signal -1
	s_barrier_wait -1
	global_inv scope:SCOPE_SE
	v_pk_fma_f16 v24, v33, v25, v24 op_sel_hi:[1,0,1]
	v_pk_fma_f16 v23, v33, v29, v23 op_sel_hi:[1,0,1]
	s_delay_alu instid0(VALU_DEP_2) | instskip(NEXT) | instid1(VALU_DEP_2)
	v_pk_fma_f16 v24, v34, v25, v24 op_sel:[0,1,0]
	v_pk_fma_f16 v23, v34, v29, v23 op_sel:[0,1,0]
	s_delay_alu instid0(VALU_DEP_2) | instskip(NEXT) | instid1(VALU_DEP_2)
	v_pk_fma_f16 v24, v35, v26, v24 op_sel_hi:[1,0,1]
	v_pk_fma_f16 v23, v35, v30, v23 op_sel_hi:[1,0,1]
	s_delay_alu instid0(VALU_DEP_2) | instskip(NEXT) | instid1(VALU_DEP_2)
	v_pk_fma_f16 v24, v36, v26, v24 op_sel:[0,1,0]
	v_pk_fma_f16 v23, v36, v30, v23 op_sel:[0,1,0]
	s_delay_alu instid0(VALU_DEP_2) | instskip(NEXT) | instid1(VALU_DEP_2)
	;; [unrolled: 6-line block ×3, first 2 shown]
	v_pk_fma_f16 v24, v39, v28, v24 op_sel_hi:[1,0,1]
	v_pk_fma_f16 v23, v39, v32, v23 op_sel_hi:[1,0,1]
	s_delay_alu instid0(VALU_DEP_2) | instskip(NEXT) | instid1(VALU_DEP_2)
	v_pk_fma_f16 v24, v40, v28, v24 op_sel:[0,1,0]
	v_pk_fma_f16 v23, v40, v32, v23 op_sel:[0,1,0]
	s_wait_alu 0xfffe
	s_cbranch_vccnz .LBB164_5
	s_branch .LBB164_7
.LBB164_6:                              ;   in Loop: Header=BB164_3 Depth=1
	v_dual_mov_b32 v24, 0 :: v_dual_mov_b32 v23, 0
.LBB164_7:                              ;   in Loop: Header=BB164_3 Depth=1
	s_wait_loadcnt 0x0
	v_add_co_u32 v12, vcc_lo, v10, s8
	s_wait_alu 0xfffd
	v_add_co_ci_u32_e64 v13, null, s9, v11, vcc_lo
	v_lshrrev_b32_e32 v11, 16, v24
	v_lshrrev_b32_e32 v10, 16, v23
	s_and_b32 vcc_lo, exec_lo, s1
	s_wait_alu 0xfffe
	s_cbranch_vccnz .LBB164_9
; %bb.8:                                ;   in Loop: Header=BB164_3 Depth=1
	v_add_co_u32 v25, vcc_lo, v12, v4
	s_wait_alu 0xfffd
	v_add_co_ci_u32_e64 v26, null, v13, v5, vcc_lo
	v_mul_f16_e32 v27, s30, v11
	s_delay_alu instid0(VALU_DEP_3) | instskip(SKIP_1) | instid1(VALU_DEP_3)
	v_add_co_u32 v14, vcc_lo, v25, v6
	s_wait_alu 0xfffd
	v_add_co_ci_u32_e64 v15, null, v26, v7, vcc_lo
	v_add_co_u32 v25, vcc_lo, v25, s20
	s_wait_alu 0xfffd
	v_add_co_ci_u32_e64 v26, null, s21, v26, vcc_lo
	v_mul_f16_e32 v29, s30, v10
	s_delay_alu instid0(VALU_DEP_3) | instskip(SKIP_1) | instid1(VALU_DEP_3)
	v_add_co_u32 v25, vcc_lo, v25, v6
	s_wait_alu 0xfffd
	v_add_co_ci_u32_e64 v26, null, v26, v7, vcc_lo
	v_mul_f16_e32 v28, s30, v24
	v_mul_f16_e32 v30, s30, v23
	s_clause 0x3
	flat_store_b16 v[14:15], v27
	flat_store_b16 v[14:15], v28 offset:32
	flat_store_b16 v[25:26], v29
	flat_store_b16 v[25:26], v30 offset:32
	s_cbranch_execnz .LBB164_2
	s_branch .LBB164_10
.LBB164_9:                              ;   in Loop: Header=BB164_3 Depth=1
.LBB164_10:                             ;   in Loop: Header=BB164_3 Depth=1
	v_add_co_u32 v8, vcc_lo, v8, s14
	s_wait_alu 0xfffd
	v_add_co_ci_u32_e64 v9, null, s15, v9, vcc_lo
	s_delay_alu instid0(VALU_DEP_2) | instskip(SKIP_1) | instid1(VALU_DEP_2)
	v_add_co_u32 v14, vcc_lo, v8, v2
	s_wait_alu 0xfffd
	v_add_co_ci_u32_e64 v15, null, v9, v3, vcc_lo
	s_delay_alu instid0(VALU_DEP_2) | instskip(SKIP_1) | instid1(VALU_DEP_2)
	v_add_co_u32 v8, vcc_lo, v14, v6
	s_wait_alu 0xfffd
	v_add_co_ci_u32_e64 v9, null, v15, v7, vcc_lo
	v_add_co_u32 v26, vcc_lo, v12, v4
	s_wait_alu 0xfffd
	v_add_co_ci_u32_e64 v27, null, v13, v5, vcc_lo
	flat_load_u16 v25, v[8:9]
	v_add_co_u32 v12, vcc_lo, v26, v6
	s_wait_alu 0xfffd
	v_add_co_ci_u32_e64 v13, null, v27, v7, vcc_lo
	s_wait_loadcnt_dscnt 0x0
	v_mul_f16_e32 v25, s33, v25
	s_delay_alu instid0(VALU_DEP_1)
	v_fmac_f16_e32 v25, s30, v11
	flat_store_b16 v[12:13], v25
	flat_load_u16 v8, v[8:9] offset:32
	s_wait_loadcnt_dscnt 0x0
	v_mul_f16_e32 v11, s33, v8
	v_add_co_u32 v8, vcc_lo, v14, s16
	s_wait_alu 0xfffd
	v_add_co_ci_u32_e64 v9, null, s17, v15, vcc_lo
	s_delay_alu instid0(VALU_DEP_3) | instskip(NEXT) | instid1(VALU_DEP_3)
	v_fmac_f16_e32 v11, s30, v24
	v_add_co_u32 v8, vcc_lo, v8, v6
	s_wait_alu 0xfffd
	s_delay_alu instid0(VALU_DEP_3)
	v_add_co_ci_u32_e64 v9, null, v9, v7, vcc_lo
	flat_store_b16 v[12:13], v11 offset:32
	flat_load_u16 v11, v[8:9]
	s_wait_loadcnt_dscnt 0x0
	v_mul_f16_e32 v12, s33, v11
	v_add_co_u32 v11, vcc_lo, v26, s20
	s_wait_alu 0xfffd
	v_add_co_ci_u32_e64 v13, null, s21, v27, vcc_lo
	s_delay_alu instid0(VALU_DEP_3) | instskip(NEXT) | instid1(VALU_DEP_3)
	v_fmac_f16_e32 v12, s30, v10
	v_add_co_u32 v10, vcc_lo, v11, v6
	s_wait_alu 0xfffd
	s_delay_alu instid0(VALU_DEP_3) | instskip(SKIP_4) | instid1(VALU_DEP_1)
	v_add_co_ci_u32_e64 v11, null, v13, v7, vcc_lo
	flat_store_b16 v[10:11], v12
	flat_load_u16 v8, v[8:9] offset:32
	s_wait_loadcnt_dscnt 0x0
	v_mul_f16_e32 v8, s33, v8
	v_fmac_f16_e32 v8, s30, v23
	flat_store_b16 v[10:11], v8 offset:32
	s_branch .LBB164_2
.LBB164_11:
	s_endpgm
	.section	.rodata,"a",@progbits
	.p2align	6, 0x0
	.amdhsa_kernel _ZN12_GLOBAL__N_127rocblas_gemm_batched_kernelIDF16_Li16ELi16ELi32ELi32ELi8ELi32ELi8ELi8ELi32ELc84ELc67EKPKDF16_S3_KPDF16_EEvlllT_PT11_llS8_llS6_PT12_llPT13_lli
		.amdhsa_group_segment_fixed_size 1024
		.amdhsa_private_segment_fixed_size 0
		.amdhsa_kernarg_size 140
		.amdhsa_user_sgpr_count 2
		.amdhsa_user_sgpr_dispatch_ptr 0
		.amdhsa_user_sgpr_queue_ptr 0
		.amdhsa_user_sgpr_kernarg_segment_ptr 1
		.amdhsa_user_sgpr_dispatch_id 0
		.amdhsa_user_sgpr_private_segment_size 0
		.amdhsa_wavefront_size32 1
		.amdhsa_uses_dynamic_stack 0
		.amdhsa_enable_private_segment 0
		.amdhsa_system_sgpr_workgroup_id_x 1
		.amdhsa_system_sgpr_workgroup_id_y 1
		.amdhsa_system_sgpr_workgroup_id_z 1
		.amdhsa_system_sgpr_workgroup_info 0
		.amdhsa_system_vgpr_workitem_id 1
		.amdhsa_next_free_vgpr 41
		.amdhsa_next_free_sgpr 38
		.amdhsa_reserve_vcc 1
		.amdhsa_float_round_mode_32 0
		.amdhsa_float_round_mode_16_64 0
		.amdhsa_float_denorm_mode_32 3
		.amdhsa_float_denorm_mode_16_64 3
		.amdhsa_fp16_overflow 0
		.amdhsa_workgroup_processor_mode 1
		.amdhsa_memory_ordered 1
		.amdhsa_forward_progress 1
		.amdhsa_inst_pref_size 14
		.amdhsa_round_robin_scheduling 0
		.amdhsa_exception_fp_ieee_invalid_op 0
		.amdhsa_exception_fp_denorm_src 0
		.amdhsa_exception_fp_ieee_div_zero 0
		.amdhsa_exception_fp_ieee_overflow 0
		.amdhsa_exception_fp_ieee_underflow 0
		.amdhsa_exception_fp_ieee_inexact 0
		.amdhsa_exception_int_div_zero 0
	.end_amdhsa_kernel
	.section	.text._ZN12_GLOBAL__N_127rocblas_gemm_batched_kernelIDF16_Li16ELi16ELi32ELi32ELi8ELi32ELi8ELi8ELi32ELc84ELc67EKPKDF16_S3_KPDF16_EEvlllT_PT11_llS8_llS6_PT12_llPT13_lli,"axG",@progbits,_ZN12_GLOBAL__N_127rocblas_gemm_batched_kernelIDF16_Li16ELi16ELi32ELi32ELi8ELi32ELi8ELi8ELi32ELc84ELc67EKPKDF16_S3_KPDF16_EEvlllT_PT11_llS8_llS6_PT12_llPT13_lli,comdat
.Lfunc_end164:
	.size	_ZN12_GLOBAL__N_127rocblas_gemm_batched_kernelIDF16_Li16ELi16ELi32ELi32ELi8ELi32ELi8ELi8ELi32ELc84ELc67EKPKDF16_S3_KPDF16_EEvlllT_PT11_llS8_llS6_PT12_llPT13_lli, .Lfunc_end164-_ZN12_GLOBAL__N_127rocblas_gemm_batched_kernelIDF16_Li16ELi16ELi32ELi32ELi8ELi32ELi8ELi8ELi32ELc84ELc67EKPKDF16_S3_KPDF16_EEvlllT_PT11_llS8_llS6_PT12_llPT13_lli
                                        ; -- End function
	.set _ZN12_GLOBAL__N_127rocblas_gemm_batched_kernelIDF16_Li16ELi16ELi32ELi32ELi8ELi32ELi8ELi8ELi32ELc84ELc67EKPKDF16_S3_KPDF16_EEvlllT_PT11_llS8_llS6_PT12_llPT13_lli.num_vgpr, 41
	.set _ZN12_GLOBAL__N_127rocblas_gemm_batched_kernelIDF16_Li16ELi16ELi32ELi32ELi8ELi32ELi8ELi8ELi32ELc84ELc67EKPKDF16_S3_KPDF16_EEvlllT_PT11_llS8_llS6_PT12_llPT13_lli.num_agpr, 0
	.set _ZN12_GLOBAL__N_127rocblas_gemm_batched_kernelIDF16_Li16ELi16ELi32ELi32ELi8ELi32ELi8ELi8ELi32ELc84ELc67EKPKDF16_S3_KPDF16_EEvlllT_PT11_llS8_llS6_PT12_llPT13_lli.numbered_sgpr, 38
	.set _ZN12_GLOBAL__N_127rocblas_gemm_batched_kernelIDF16_Li16ELi16ELi32ELi32ELi8ELi32ELi8ELi8ELi32ELc84ELc67EKPKDF16_S3_KPDF16_EEvlllT_PT11_llS8_llS6_PT12_llPT13_lli.num_named_barrier, 0
	.set _ZN12_GLOBAL__N_127rocblas_gemm_batched_kernelIDF16_Li16ELi16ELi32ELi32ELi8ELi32ELi8ELi8ELi32ELc84ELc67EKPKDF16_S3_KPDF16_EEvlllT_PT11_llS8_llS6_PT12_llPT13_lli.private_seg_size, 0
	.set _ZN12_GLOBAL__N_127rocblas_gemm_batched_kernelIDF16_Li16ELi16ELi32ELi32ELi8ELi32ELi8ELi8ELi32ELc84ELc67EKPKDF16_S3_KPDF16_EEvlllT_PT11_llS8_llS6_PT12_llPT13_lli.uses_vcc, 1
	.set _ZN12_GLOBAL__N_127rocblas_gemm_batched_kernelIDF16_Li16ELi16ELi32ELi32ELi8ELi32ELi8ELi8ELi32ELc84ELc67EKPKDF16_S3_KPDF16_EEvlllT_PT11_llS8_llS6_PT12_llPT13_lli.uses_flat_scratch, 1
	.set _ZN12_GLOBAL__N_127rocblas_gemm_batched_kernelIDF16_Li16ELi16ELi32ELi32ELi8ELi32ELi8ELi8ELi32ELc84ELc67EKPKDF16_S3_KPDF16_EEvlllT_PT11_llS8_llS6_PT12_llPT13_lli.has_dyn_sized_stack, 0
	.set _ZN12_GLOBAL__N_127rocblas_gemm_batched_kernelIDF16_Li16ELi16ELi32ELi32ELi8ELi32ELi8ELi8ELi32ELc84ELc67EKPKDF16_S3_KPDF16_EEvlllT_PT11_llS8_llS6_PT12_llPT13_lli.has_recursion, 0
	.set _ZN12_GLOBAL__N_127rocblas_gemm_batched_kernelIDF16_Li16ELi16ELi32ELi32ELi8ELi32ELi8ELi8ELi32ELc84ELc67EKPKDF16_S3_KPDF16_EEvlllT_PT11_llS8_llS6_PT12_llPT13_lli.has_indirect_call, 0
	.section	.AMDGPU.csdata,"",@progbits
; Kernel info:
; codeLenInByte = 1784
; TotalNumSgprs: 40
; NumVgprs: 41
; ScratchSize: 0
; MemoryBound: 0
; FloatMode: 240
; IeeeMode: 1
; LDSByteSize: 1024 bytes/workgroup (compile time only)
; SGPRBlocks: 0
; VGPRBlocks: 5
; NumSGPRsForWavesPerEU: 40
; NumVGPRsForWavesPerEU: 41
; Occupancy: 16
; WaveLimiterHint : 1
; COMPUTE_PGM_RSRC2:SCRATCH_EN: 0
; COMPUTE_PGM_RSRC2:USER_SGPR: 2
; COMPUTE_PGM_RSRC2:TRAP_HANDLER: 0
; COMPUTE_PGM_RSRC2:TGID_X_EN: 1
; COMPUTE_PGM_RSRC2:TGID_Y_EN: 1
; COMPUTE_PGM_RSRC2:TGID_Z_EN: 1
; COMPUTE_PGM_RSRC2:TIDIG_COMP_CNT: 1
	.section	.text._ZN12_GLOBAL__N_135rocblas_gemm_batched_general_kernelIDF16_Li16ELi16ELi32ELi32ELi8ELi32ELi8ELi8ELi32ELc78ELc78EKPKDF16_S3_KPDF16_EEvlllT_PT11_llS8_llS6_PT12_llPT13_lli,"axG",@progbits,_ZN12_GLOBAL__N_135rocblas_gemm_batched_general_kernelIDF16_Li16ELi16ELi32ELi32ELi8ELi32ELi8ELi8ELi32ELc78ELc78EKPKDF16_S3_KPDF16_EEvlllT_PT11_llS8_llS6_PT12_llPT13_lli,comdat
	.globl	_ZN12_GLOBAL__N_135rocblas_gemm_batched_general_kernelIDF16_Li16ELi16ELi32ELi32ELi8ELi32ELi8ELi8ELi32ELc78ELc78EKPKDF16_S3_KPDF16_EEvlllT_PT11_llS8_llS6_PT12_llPT13_lli ; -- Begin function _ZN12_GLOBAL__N_135rocblas_gemm_batched_general_kernelIDF16_Li16ELi16ELi32ELi32ELi8ELi32ELi8ELi8ELi32ELc78ELc78EKPKDF16_S3_KPDF16_EEvlllT_PT11_llS8_llS6_PT12_llPT13_lli
	.p2align	8
	.type	_ZN12_GLOBAL__N_135rocblas_gemm_batched_general_kernelIDF16_Li16ELi16ELi32ELi32ELi8ELi32ELi8ELi8ELi32ELc78ELc78EKPKDF16_S3_KPDF16_EEvlllT_PT11_llS8_llS6_PT12_llPT13_lli,@function
_ZN12_GLOBAL__N_135rocblas_gemm_batched_general_kernelIDF16_Li16ELi16ELi32ELi32ELi8ELi32ELi8ELi8ELi32ELc78ELc78EKPKDF16_S3_KPDF16_EEvlllT_PT11_llS8_llS6_PT12_llPT13_lli: ; @_ZN12_GLOBAL__N_135rocblas_gemm_batched_general_kernelIDF16_Li16ELi16ELi32ELi32ELi8ELi32ELi8ELi8ELi32ELc78ELc78EKPKDF16_S3_KPDF16_EEvlllT_PT11_llS8_llS6_PT12_llPT13_lli
; %bb.0:
	s_load_b32 s33, s[0:1], 0x88
	s_lshr_b32 s34, ttmp7, 16
	s_wait_kmcnt 0x0
	s_cmp_ge_i32 s34, s33
	s_cbranch_scc1 .LBB165_35
; %bb.1:
	v_bfe_u32 v2, v0, 10, 10
	s_mov_b32 s40, ttmp9
	s_ashr_i32 s41, ttmp9, 31
	v_dual_mov_b32 v16, 0 :: v_dual_and_b32 v3, 0x3ff, v0
	s_lshl_b64 s[2:3], s[40:41], 5
	v_lshlrev_b32_e32 v6, 4, v2
	s_clause 0x6
	s_load_b128 s[28:31], s[0:1], 0x0
	s_load_b96 s[36:38], s[0:1], 0x10
	s_load_b256 s[8:15], s[0:1], 0x20
	s_load_b128 s[4:7], s[0:1], 0x40
	s_load_b32 s39, s[0:1], 0x50
	s_load_b128 s[24:27], s[0:1], 0x78
	s_load_b256 s[16:23], s[0:1], 0x58
	s_and_b32 s0, ttmp7, 0xffff
	v_add_nc_u32_e32 v1, v6, v3
	s_lshl_b32 s42, s0, 5
	v_and_b32_e32 v14, 7, v0
	v_lshlrev_b32_e32 v19, 1, v3
	s_mov_b32 s35, 0
	v_and_b32_e32 v4, 31, v1
	v_lshrrev_b32_e32 v7, 3, v1
	v_lshrrev_b32_e32 v15, 5, v1
	v_dual_mov_b32 v1, s3 :: v_dual_add_nc_u32 v20, 0x200, v6
	s_delay_alu instid0(VALU_DEP_4) | instskip(SKIP_2) | instid1(VALU_DEP_1)
	v_or_b32_e32 v0, s2, v4
	v_lshlrev_b32_e32 v28, 1, v4
	v_add_co_u32 v4, s0, v7, s42
	v_add_co_ci_u32_e64 v5, null, 0, 0, s0
	s_wait_kmcnt 0x0
	v_cmp_gt_i64_e64 s0, s[28:29], v[0:1]
	v_add_co_u32 v0, s2, s2, v3
	s_delay_alu instid0(VALU_DEP_3) | instskip(SKIP_3) | instid1(VALU_DEP_3)
	v_cmp_gt_i64_e64 s1, s[30:31], v[4:5]
	v_add_co_u32 v5, s42, s42, v2
	v_mad_co_u64_u32 v[9:10], null, s4, v4, 0
	v_mad_co_u64_u32 v[21:22], null, s10, v15, 0
	v_mad_co_u64_u32 v[2:3], null, v5, s24, 0
	s_wait_alu 0xf1ff
	v_add_co_ci_u32_e64 v1, null, s3, 0, s2
	v_mad_co_u64_u32 v[11:12], null, v5, s18, 0
	v_add_co_ci_u32_e64 v6, null, 0, 0, s42
	s_delay_alu instid0(VALU_DEP_4) | instskip(SKIP_2) | instid1(VALU_DEP_4)
	v_mad_co_u64_u32 v[23:24], null, v5, s25, v[3:4]
	v_mov_b32_e32 v3, v10
	v_lshlrev_b32_e32 v29, 1, v14
	v_cmp_gt_i64_e64 s2, s[30:31], v[5:6]
	v_mov_b32_e32 v10, v12
	s_cmp_eq_f16 s39, 0
	v_mad_co_u64_u32 v[12:13], null, s5, v4, v[3:4]
	v_lshl_or_b32 v7, v7, 4, v29
	s_cselect_b32 s42, -1, 0
	s_lshl_b64 s[6:7], s[6:7], 1
	v_cmp_gt_i64_e64 s3, s[28:29], v[0:1]
	s_lshl_b64 s[12:13], s[12:13], 1
	v_add_nc_u32_e32 v18, 0x200, v7
	v_add_co_u32 v7, vcc_lo, v0, 16
	s_delay_alu instid0(VALU_DEP_1)
	v_add_co_ci_u32_e64 v8, null, 0, v1, vcc_lo
	v_add_co_u32 v24, vcc_lo, v5, 16
	s_wait_alu 0xfffd
	v_add_co_ci_u32_e64 v25, null, 0, v6, vcc_lo
	v_mov_b32_e32 v6, v22
	v_mad_co_u64_u32 v[4:5], null, v5, s19, v[10:11]
	v_mov_b32_e32 v10, v12
	v_cmp_gt_i64_e64 s4, s[28:29], v[7:8]
	s_delay_alu instid0(VALU_DEP_4)
	v_mad_co_u64_u32 v[26:27], null, s11, v15, v[6:7]
	s_lshl_b64 s[28:29], s[40:41], 6
	v_dual_mov_b32 v3, v23 :: v_dual_mov_b32 v12, v4
	v_lshlrev_b64_e32 v[4:5], 1, v[9:10]
	v_cmp_gt_i64_e64 s5, s[30:31], v[24:25]
	v_lshl_or_b32 v17, v15, 6, v28
	v_mov_b32_e32 v22, v26
	s_lshl_b64 s[18:19], s[18:19], 4
	s_lshl_b64 s[24:25], s[24:25], 4
	v_add_co_u32 v4, vcc_lo, v4, s6
	s_delay_alu instid0(VALU_DEP_2)
	v_lshlrev_b64_e32 v[6:7], 1, v[21:22]
	s_wait_alu 0xfffd
	v_add_co_ci_u32_e64 v5, null, s7, v5, vcc_lo
	s_wait_alu 0xfffe
	s_add_nc_u64 s[6:7], s[12:13], s[28:29]
	v_cmp_gt_i64_e64 s28, s[36:37], 0
	s_lshl_b64 s[12:13], s[20:21], 1
	s_wait_alu 0xfffe
	v_add_co_u32 v6, vcc_lo, s6, v6
	s_wait_alu 0xfffd
	v_add_co_ci_u32_e64 v7, null, s7, v7, vcc_lo
	v_add_co_u32 v21, vcc_lo, v4, v29
	s_wait_alu 0xfffd
	v_add_co_ci_u32_e64 v22, null, 0, v5, vcc_lo
	v_add_co_u32 v23, vcc_lo, v6, v28
	v_lshlrev_b64_e32 v[4:5], 1, v[11:12]
	s_wait_alu 0xfffd
	v_add_co_ci_u32_e64 v24, null, 0, v7, vcc_lo
	s_lshl_b64 s[6:7], s[10:11], 4
	s_lshl_b64 s[10:11], s[26:27], 1
	;; [unrolled: 1-line block ×3, first 2 shown]
	s_branch .LBB165_4
.LBB165_2:                              ;   in Loop: Header=BB165_4 Depth=1
	s_wait_alu 0xfffe
	s_or_b32 exec_lo, exec_lo, s20
.LBB165_3:                              ;   in Loop: Header=BB165_4 Depth=1
	s_add_co_i32 s34, s34, 0x10000
	s_delay_alu instid0(SALU_CYCLE_1)
	s_cmp_lt_i32 s34, s33
	s_cbranch_scc0 .LBB165_35
.LBB165_4:                              ; =>This Loop Header: Depth=1
                                        ;     Child Loop BB165_7 Depth 2
	s_lshl_b64 s[20:21], s[34:35], 3
	s_and_not1_b32 vcc_lo, exec_lo, s28
	s_wait_alu 0xfffe
	s_add_nc_u64 s[26:27], s[16:17], s[20:21]
	s_add_nc_u64 s[30:31], s[22:23], s[20:21]
	s_clause 0x1
	global_load_b64 v[6:7], v16, s[26:27]
	global_load_b64 v[8:9], v16, s[30:31]
	s_cbranch_vccnz .LBB165_11
; %bb.5:                                ;   in Loop: Header=BB165_4 Depth=1
	s_add_nc_u64 s[26:27], s[14:15], s[20:21]
	s_add_nc_u64 s[20:21], s[8:9], s[20:21]
	s_clause 0x1
	global_load_b64 v[10:11], v16, s[26:27]
	global_load_b64 v[12:13], v16, s[20:21]
	v_dual_mov_b32 v26, 0 :: v_dual_mov_b32 v25, 0
	s_mov_b64 s[20:21], 0
	s_wait_loadcnt 0x1
	v_add_co_u32 v10, vcc_lo, v10, v21
	s_wait_alu 0xfffd
	v_add_co_ci_u32_e64 v11, null, v11, v22, vcc_lo
	s_wait_loadcnt 0x0
	v_add_co_u32 v12, vcc_lo, v12, v23
	s_wait_alu 0xfffd
	v_add_co_ci_u32_e64 v13, null, v13, v24, vcc_lo
	s_branch .LBB165_7
.LBB165_6:                              ;   in Loop: Header=BB165_7 Depth=2
	s_wait_alu 0xfffe
	s_or_b32 exec_lo, exec_lo, s26
	s_wait_loadcnt_dscnt 0x0
	ds_store_b16 v18, v28
	s_wait_dscnt 0x0
	s_barrier_signal -1
	s_barrier_wait -1
	global_inv scope:SCOPE_SE
	ds_load_u16 v35, v19
	ds_load_u16 v36, v19 offset:64
	ds_load_u16 v37, v19 offset:128
	;; [unrolled: 1-line block ×7, first 2 shown]
	s_add_nc_u64 s[20:21], s[20:21], 8
	v_add_co_u32 v10, vcc_lo, v10, 16
	s_wait_alu 0xfffe
	v_cmp_lt_i64_e64 s26, s[20:21], s[36:37]
	s_wait_alu 0xfffd
	v_add_co_ci_u32_e64 v11, null, 0, v11, vcc_lo
	v_add_co_u32 v12, vcc_lo, v12, s6
	s_wait_alu 0xfffd
	v_add_co_ci_u32_e64 v13, null, s7, v13, vcc_lo
	s_and_b32 vcc_lo, exec_lo, s26
	s_wait_dscnt 0x7
	ds_load_u16_d16_hi v35, v19 offset:32
	ds_load_b128 v[27:30], v20
	ds_load_b128 v[31:34], v20 offset:256
	s_wait_dscnt 0x9
	ds_load_u16_d16_hi v36, v19 offset:96
	s_wait_dscnt 0x9
	ds_load_u16_d16_hi v37, v19 offset:160
	;; [unrolled: 2-line block ×7, first 2 shown]
	s_wait_loadcnt_dscnt 0x0
	s_barrier_signal -1
	s_barrier_wait -1
	global_inv scope:SCOPE_SE
	v_pk_fma_f16 v26, v35, v27, v26 op_sel_hi:[1,0,1]
	v_pk_fma_f16 v25, v35, v31, v25 op_sel_hi:[1,0,1]
	s_delay_alu instid0(VALU_DEP_2) | instskip(NEXT) | instid1(VALU_DEP_2)
	v_pk_fma_f16 v26, v36, v27, v26 op_sel:[0,1,0]
	v_pk_fma_f16 v25, v36, v31, v25 op_sel:[0,1,0]
	s_delay_alu instid0(VALU_DEP_2) | instskip(NEXT) | instid1(VALU_DEP_2)
	v_pk_fma_f16 v26, v37, v28, v26 op_sel_hi:[1,0,1]
	v_pk_fma_f16 v25, v37, v32, v25 op_sel_hi:[1,0,1]
	s_delay_alu instid0(VALU_DEP_2) | instskip(NEXT) | instid1(VALU_DEP_2)
	v_pk_fma_f16 v26, v38, v28, v26 op_sel:[0,1,0]
	v_pk_fma_f16 v25, v38, v32, v25 op_sel:[0,1,0]
	s_delay_alu instid0(VALU_DEP_2) | instskip(NEXT) | instid1(VALU_DEP_2)
	;; [unrolled: 6-line block ×3, first 2 shown]
	v_pk_fma_f16 v26, v41, v30, v26 op_sel_hi:[1,0,1]
	v_pk_fma_f16 v25, v41, v34, v25 op_sel_hi:[1,0,1]
	s_delay_alu instid0(VALU_DEP_2) | instskip(NEXT) | instid1(VALU_DEP_2)
	v_pk_fma_f16 v26, v42, v30, v26 op_sel:[0,1,0]
	v_pk_fma_f16 v25, v42, v34, v25 op_sel:[0,1,0]
	s_wait_alu 0xfffe
	s_cbranch_vccz .LBB165_12
.LBB165_7:                              ;   Parent Loop BB165_4 Depth=1
                                        ; =>  This Inner Loop Header: Depth=2
	s_wait_alu 0xfffe
	v_add_co_u32 v27, s26, v15, s20
	s_wait_alu 0xf1ff
	v_add_co_ci_u32_e64 v28, null, 0, s21, s26
	s_delay_alu instid0(VALU_DEP_1)
	v_cmp_gt_i64_e32 vcc_lo, s[36:37], v[27:28]
	v_mov_b32_e32 v27, 0
	s_and_b32 s27, s0, vcc_lo
	s_wait_alu 0xfffe
	s_and_saveexec_b32 s26, s27
	s_cbranch_execz .LBB165_9
; %bb.8:                                ;   in Loop: Header=BB165_7 Depth=2
	flat_load_u16 v27, v[12:13]
.LBB165_9:                              ;   in Loop: Header=BB165_7 Depth=2
	s_wait_alu 0xfffe
	s_or_b32 exec_lo, exec_lo, s26
	v_add_co_u32 v28, s26, v14, s20
	s_wait_alu 0xf1ff
	v_add_co_ci_u32_e64 v29, null, 0, s21, s26
	s_wait_loadcnt_dscnt 0x0
	ds_store_b16 v17, v27
	v_cmp_gt_i64_e32 vcc_lo, s[36:37], v[28:29]
	v_mov_b32_e32 v28, 0
	s_and_b32 s27, vcc_lo, s1
	s_wait_alu 0xfffe
	s_and_saveexec_b32 s26, s27
	s_cbranch_execz .LBB165_6
; %bb.10:                               ;   in Loop: Header=BB165_7 Depth=2
	flat_load_u16 v28, v[10:11]
	s_branch .LBB165_6
.LBB165_11:                             ;   in Loop: Header=BB165_4 Depth=1
	v_dual_mov_b32 v26, 0 :: v_dual_mov_b32 v25, 0
.LBB165_12:                             ;   in Loop: Header=BB165_4 Depth=1
	s_wait_loadcnt 0x0
	v_add_co_u32 v10, vcc_lo, v8, s10
	s_wait_alu 0xfffd
	v_add_co_ci_u32_e64 v11, null, s11, v9, vcc_lo
	s_and_not1_b32 vcc_lo, exec_lo, s42
	s_wait_alu 0xfffe
	s_cbranch_vccnz .LBB165_17
; %bb.13:                               ;   in Loop: Header=BB165_4 Depth=1
	s_and_saveexec_b32 s20, s2
	s_cbranch_execz .LBB165_24
; %bb.14:                               ;   in Loop: Header=BB165_4 Depth=1
	v_lshlrev_b64_e32 v[8:9], 1, v[2:3]
	s_delay_alu instid0(VALU_DEP_1) | instskip(SKIP_1) | instid1(VALU_DEP_2)
	v_add_co_u32 v8, vcc_lo, v10, v8
	s_wait_alu 0xfffd
	v_add_co_ci_u32_e64 v9, null, v11, v9, vcc_lo
	s_and_saveexec_b32 s21, s3
	s_cbranch_execnz .LBB165_18
; %bb.15:                               ;   in Loop: Header=BB165_4 Depth=1
	s_wait_alu 0xfffe
	s_or_b32 exec_lo, exec_lo, s21
	s_and_saveexec_b32 s21, s4
	s_cbranch_execnz .LBB165_19
.LBB165_16:                             ;   in Loop: Header=BB165_4 Depth=1
	s_wait_alu 0xfffe
	s_or_b32 exec_lo, exec_lo, s21
	s_delay_alu instid0(SALU_CYCLE_1)
	s_and_b32 exec_lo, exec_lo, s5
	s_cbranch_execnz .LBB165_20
	s_branch .LBB165_24
.LBB165_17:                             ;   in Loop: Header=BB165_4 Depth=1
	s_branch .LBB165_25
.LBB165_18:                             ;   in Loop: Header=BB165_4 Depth=1
	v_lshlrev_b64_e32 v[12:13], 1, v[0:1]
	v_mul_f16_e32 v27, s38, v26
	s_delay_alu instid0(VALU_DEP_2) | instskip(SKIP_1) | instid1(VALU_DEP_3)
	v_add_co_u32 v12, vcc_lo, v8, v12
	s_wait_alu 0xfffd
	v_add_co_ci_u32_e64 v13, null, v9, v13, vcc_lo
	flat_store_b16 v[12:13], v27
	s_wait_alu 0xfffe
	s_or_b32 exec_lo, exec_lo, s21
	s_and_saveexec_b32 s21, s4
	s_cbranch_execz .LBB165_16
.LBB165_19:                             ;   in Loop: Header=BB165_4 Depth=1
	v_lshlrev_b64_e32 v[12:13], 1, v[0:1]
	v_lshrrev_b32_e32 v27, 16, v26
	s_delay_alu instid0(VALU_DEP_1) | instskip(NEXT) | instid1(VALU_DEP_3)
	v_mul_f16_e32 v27, s38, v27
	v_add_co_u32 v12, vcc_lo, v8, v12
	s_wait_alu 0xfffd
	s_delay_alu instid0(VALU_DEP_4) | instskip(SKIP_3) | instid1(SALU_CYCLE_1)
	v_add_co_ci_u32_e64 v13, null, v9, v13, vcc_lo
	flat_store_b16 v[12:13], v27 offset:32
	s_wait_alu 0xfffe
	s_or_b32 exec_lo, exec_lo, s21
	s_and_b32 exec_lo, exec_lo, s5
	s_cbranch_execz .LBB165_24
.LBB165_20:                             ;   in Loop: Header=BB165_4 Depth=1
	s_lshl_b64 s[26:27], s[24:25], 1
	v_lshlrev_b64_e32 v[12:13], 1, v[0:1]
	s_wait_alu 0xfffe
	v_add_co_u32 v8, vcc_lo, v8, s26
	s_wait_alu 0xfffd
	v_add_co_ci_u32_e64 v9, null, s27, v9, vcc_lo
	s_delay_alu instid0(VALU_DEP_2) | instskip(SKIP_1) | instid1(VALU_DEP_2)
	v_add_co_u32 v8, vcc_lo, v8, v12
	s_wait_alu 0xfffd
	v_add_co_ci_u32_e64 v9, null, v9, v13, vcc_lo
	s_and_saveexec_b32 s21, s3
	s_cbranch_execz .LBB165_22
; %bb.21:                               ;   in Loop: Header=BB165_4 Depth=1
	v_mul_f16_e32 v12, s38, v25
	flat_store_b16 v[8:9], v12
.LBB165_22:                             ;   in Loop: Header=BB165_4 Depth=1
	s_wait_alu 0xfffe
	s_or_b32 exec_lo, exec_lo, s21
	s_delay_alu instid0(SALU_CYCLE_1)
	s_and_b32 exec_lo, exec_lo, s4
	s_cbranch_execz .LBB165_24
; %bb.23:                               ;   in Loop: Header=BB165_4 Depth=1
	v_lshrrev_b32_e32 v12, 16, v25
	s_delay_alu instid0(VALU_DEP_1)
	v_mul_f16_e32 v12, s38, v12
	flat_store_b16 v[8:9], v12 offset:32
.LBB165_24:                             ;   in Loop: Header=BB165_4 Depth=1
	s_wait_alu 0xfffe
	s_or_b32 exec_lo, exec_lo, s20
	s_cbranch_execnz .LBB165_3
.LBB165_25:                             ;   in Loop: Header=BB165_4 Depth=1
	s_and_saveexec_b32 s20, s2
	s_cbranch_execz .LBB165_2
; %bb.26:                               ;   in Loop: Header=BB165_4 Depth=1
	v_add_co_u32 v6, vcc_lo, v6, s12
	v_lshlrev_b64_e32 v[12:13], 1, v[2:3]
	s_wait_alu 0xfffd
	v_add_co_ci_u32_e64 v7, null, s13, v7, vcc_lo
	s_delay_alu instid0(VALU_DEP_3) | instskip(SKIP_1) | instid1(VALU_DEP_2)
	v_add_co_u32 v8, vcc_lo, v6, v4
	s_wait_alu 0xfffd
	v_add_co_ci_u32_e64 v9, null, v7, v5, vcc_lo
	v_add_co_u32 v10, vcc_lo, v10, v12
	v_lshlrev_b64_e32 v[6:7], 1, v[0:1]
	s_wait_alu 0xfffd
	v_add_co_ci_u32_e64 v11, null, v11, v13, vcc_lo
	s_and_saveexec_b32 s21, s3
	s_cbranch_execnz .LBB165_29
; %bb.27:                               ;   in Loop: Header=BB165_4 Depth=1
	s_wait_alu 0xfffe
	s_or_b32 exec_lo, exec_lo, s21
	s_and_saveexec_b32 s21, s4
	s_cbranch_execnz .LBB165_30
.LBB165_28:                             ;   in Loop: Header=BB165_4 Depth=1
	s_wait_alu 0xfffe
	s_or_b32 exec_lo, exec_lo, s21
	s_delay_alu instid0(SALU_CYCLE_1)
	s_and_b32 exec_lo, exec_lo, s5
	s_cbranch_execz .LBB165_2
	s_branch .LBB165_31
.LBB165_29:                             ;   in Loop: Header=BB165_4 Depth=1
	v_add_co_u32 v12, vcc_lo, v8, v6
	s_wait_alu 0xfffd
	v_add_co_ci_u32_e64 v13, null, v9, v7, vcc_lo
	flat_load_u16 v12, v[12:13]
	s_wait_loadcnt_dscnt 0x0
	v_mul_f16_e32 v27, s39, v12
	v_add_co_u32 v12, vcc_lo, v10, v6
	s_wait_alu 0xfffd
	v_add_co_ci_u32_e64 v13, null, v11, v7, vcc_lo
	s_delay_alu instid0(VALU_DEP_3)
	v_fmac_f16_e32 v27, s38, v26
	flat_store_b16 v[12:13], v27
	s_wait_alu 0xfffe
	s_or_b32 exec_lo, exec_lo, s21
	s_and_saveexec_b32 s21, s4
	s_cbranch_execz .LBB165_28
.LBB165_30:                             ;   in Loop: Header=BB165_4 Depth=1
	v_add_co_u32 v12, vcc_lo, v8, v6
	s_wait_alu 0xfffd
	v_add_co_ci_u32_e64 v13, null, v9, v7, vcc_lo
	flat_load_u16 v12, v[12:13] offset:32
	v_lshrrev_b32_e32 v13, 16, v26
	s_wait_loadcnt_dscnt 0x0
	v_mul_f16_e32 v26, s39, v12
	v_add_co_u32 v12, vcc_lo, v10, v6
	s_delay_alu instid0(VALU_DEP_2)
	v_fmac_f16_e32 v26, s38, v13
	s_wait_alu 0xfffd
	v_add_co_ci_u32_e64 v13, null, v11, v7, vcc_lo
	flat_store_b16 v[12:13], v26 offset:32
	s_wait_alu 0xfffe
	s_or_b32 exec_lo, exec_lo, s21
	s_delay_alu instid0(SALU_CYCLE_1)
	s_and_b32 exec_lo, exec_lo, s5
	s_cbranch_execz .LBB165_2
.LBB165_31:                             ;   in Loop: Header=BB165_4 Depth=1
	v_add_co_u32 v8, vcc_lo, v8, s18
	s_lshl_b64 s[26:27], s[24:25], 1
	s_wait_alu 0xfffd
	v_add_co_ci_u32_e64 v9, null, s19, v9, vcc_lo
	s_wait_alu 0xfffe
	v_add_co_u32 v10, vcc_lo, v10, s26
	s_wait_alu 0xfffd
	v_add_co_ci_u32_e64 v11, null, s27, v11, vcc_lo
	v_add_co_u32 v8, vcc_lo, v8, v6
	s_wait_alu 0xfffd
	v_add_co_ci_u32_e64 v9, null, v9, v7, vcc_lo
	;; [unrolled: 3-line block ×3, first 2 shown]
	s_and_saveexec_b32 s21, s3
	s_cbranch_execz .LBB165_33
; %bb.32:                               ;   in Loop: Header=BB165_4 Depth=1
	flat_load_u16 v10, v[8:9]
	s_wait_loadcnt_dscnt 0x0
	v_mul_f16_e32 v10, s39, v10
	s_delay_alu instid0(VALU_DEP_1)
	v_fmac_f16_e32 v10, s38, v25
	flat_store_b16 v[6:7], v10
.LBB165_33:                             ;   in Loop: Header=BB165_4 Depth=1
	s_wait_alu 0xfffe
	s_or_b32 exec_lo, exec_lo, s21
	s_delay_alu instid0(SALU_CYCLE_1)
	s_and_b32 exec_lo, exec_lo, s4
	s_cbranch_execz .LBB165_2
; %bb.34:                               ;   in Loop: Header=BB165_4 Depth=1
	flat_load_u16 v8, v[8:9] offset:32
	v_lshrrev_b32_e32 v9, 16, v25
	s_wait_loadcnt_dscnt 0x0
	v_mul_f16_e32 v8, s39, v8
	s_delay_alu instid0(VALU_DEP_1)
	v_fmac_f16_e32 v8, s38, v9
	flat_store_b16 v[6:7], v8 offset:32
	s_branch .LBB165_2
.LBB165_35:
	s_endpgm
	.section	.rodata,"a",@progbits
	.p2align	6, 0x0
	.amdhsa_kernel _ZN12_GLOBAL__N_135rocblas_gemm_batched_general_kernelIDF16_Li16ELi16ELi32ELi32ELi8ELi32ELi8ELi8ELi32ELc78ELc78EKPKDF16_S3_KPDF16_EEvlllT_PT11_llS8_llS6_PT12_llPT13_lli
		.amdhsa_group_segment_fixed_size 1024
		.amdhsa_private_segment_fixed_size 0
		.amdhsa_kernarg_size 140
		.amdhsa_user_sgpr_count 2
		.amdhsa_user_sgpr_dispatch_ptr 0
		.amdhsa_user_sgpr_queue_ptr 0
		.amdhsa_user_sgpr_kernarg_segment_ptr 1
		.amdhsa_user_sgpr_dispatch_id 0
		.amdhsa_user_sgpr_private_segment_size 0
		.amdhsa_wavefront_size32 1
		.amdhsa_uses_dynamic_stack 0
		.amdhsa_enable_private_segment 0
		.amdhsa_system_sgpr_workgroup_id_x 1
		.amdhsa_system_sgpr_workgroup_id_y 1
		.amdhsa_system_sgpr_workgroup_id_z 1
		.amdhsa_system_sgpr_workgroup_info 0
		.amdhsa_system_vgpr_workitem_id 1
		.amdhsa_next_free_vgpr 43
		.amdhsa_next_free_sgpr 43
		.amdhsa_reserve_vcc 1
		.amdhsa_float_round_mode_32 0
		.amdhsa_float_round_mode_16_64 0
		.amdhsa_float_denorm_mode_32 3
		.amdhsa_float_denorm_mode_16_64 3
		.amdhsa_fp16_overflow 0
		.amdhsa_workgroup_processor_mode 1
		.amdhsa_memory_ordered 1
		.amdhsa_forward_progress 1
		.amdhsa_inst_pref_size 19
		.amdhsa_round_robin_scheduling 0
		.amdhsa_exception_fp_ieee_invalid_op 0
		.amdhsa_exception_fp_denorm_src 0
		.amdhsa_exception_fp_ieee_div_zero 0
		.amdhsa_exception_fp_ieee_overflow 0
		.amdhsa_exception_fp_ieee_underflow 0
		.amdhsa_exception_fp_ieee_inexact 0
		.amdhsa_exception_int_div_zero 0
	.end_amdhsa_kernel
	.section	.text._ZN12_GLOBAL__N_135rocblas_gemm_batched_general_kernelIDF16_Li16ELi16ELi32ELi32ELi8ELi32ELi8ELi8ELi32ELc78ELc78EKPKDF16_S3_KPDF16_EEvlllT_PT11_llS8_llS6_PT12_llPT13_lli,"axG",@progbits,_ZN12_GLOBAL__N_135rocblas_gemm_batched_general_kernelIDF16_Li16ELi16ELi32ELi32ELi8ELi32ELi8ELi8ELi32ELc78ELc78EKPKDF16_S3_KPDF16_EEvlllT_PT11_llS8_llS6_PT12_llPT13_lli,comdat
.Lfunc_end165:
	.size	_ZN12_GLOBAL__N_135rocblas_gemm_batched_general_kernelIDF16_Li16ELi16ELi32ELi32ELi8ELi32ELi8ELi8ELi32ELc78ELc78EKPKDF16_S3_KPDF16_EEvlllT_PT11_llS8_llS6_PT12_llPT13_lli, .Lfunc_end165-_ZN12_GLOBAL__N_135rocblas_gemm_batched_general_kernelIDF16_Li16ELi16ELi32ELi32ELi8ELi32ELi8ELi8ELi32ELc78ELc78EKPKDF16_S3_KPDF16_EEvlllT_PT11_llS8_llS6_PT12_llPT13_lli
                                        ; -- End function
	.set _ZN12_GLOBAL__N_135rocblas_gemm_batched_general_kernelIDF16_Li16ELi16ELi32ELi32ELi8ELi32ELi8ELi8ELi32ELc78ELc78EKPKDF16_S3_KPDF16_EEvlllT_PT11_llS8_llS6_PT12_llPT13_lli.num_vgpr, 43
	.set _ZN12_GLOBAL__N_135rocblas_gemm_batched_general_kernelIDF16_Li16ELi16ELi32ELi32ELi8ELi32ELi8ELi8ELi32ELc78ELc78EKPKDF16_S3_KPDF16_EEvlllT_PT11_llS8_llS6_PT12_llPT13_lli.num_agpr, 0
	.set _ZN12_GLOBAL__N_135rocblas_gemm_batched_general_kernelIDF16_Li16ELi16ELi32ELi32ELi8ELi32ELi8ELi8ELi32ELc78ELc78EKPKDF16_S3_KPDF16_EEvlllT_PT11_llS8_llS6_PT12_llPT13_lli.numbered_sgpr, 43
	.set _ZN12_GLOBAL__N_135rocblas_gemm_batched_general_kernelIDF16_Li16ELi16ELi32ELi32ELi8ELi32ELi8ELi8ELi32ELc78ELc78EKPKDF16_S3_KPDF16_EEvlllT_PT11_llS8_llS6_PT12_llPT13_lli.num_named_barrier, 0
	.set _ZN12_GLOBAL__N_135rocblas_gemm_batched_general_kernelIDF16_Li16ELi16ELi32ELi32ELi8ELi32ELi8ELi8ELi32ELc78ELc78EKPKDF16_S3_KPDF16_EEvlllT_PT11_llS8_llS6_PT12_llPT13_lli.private_seg_size, 0
	.set _ZN12_GLOBAL__N_135rocblas_gemm_batched_general_kernelIDF16_Li16ELi16ELi32ELi32ELi8ELi32ELi8ELi8ELi32ELc78ELc78EKPKDF16_S3_KPDF16_EEvlllT_PT11_llS8_llS6_PT12_llPT13_lli.uses_vcc, 1
	.set _ZN12_GLOBAL__N_135rocblas_gemm_batched_general_kernelIDF16_Li16ELi16ELi32ELi32ELi8ELi32ELi8ELi8ELi32ELc78ELc78EKPKDF16_S3_KPDF16_EEvlllT_PT11_llS8_llS6_PT12_llPT13_lli.uses_flat_scratch, 0
	.set _ZN12_GLOBAL__N_135rocblas_gemm_batched_general_kernelIDF16_Li16ELi16ELi32ELi32ELi8ELi32ELi8ELi8ELi32ELc78ELc78EKPKDF16_S3_KPDF16_EEvlllT_PT11_llS8_llS6_PT12_llPT13_lli.has_dyn_sized_stack, 0
	.set _ZN12_GLOBAL__N_135rocblas_gemm_batched_general_kernelIDF16_Li16ELi16ELi32ELi32ELi8ELi32ELi8ELi8ELi32ELc78ELc78EKPKDF16_S3_KPDF16_EEvlllT_PT11_llS8_llS6_PT12_llPT13_lli.has_recursion, 0
	.set _ZN12_GLOBAL__N_135rocblas_gemm_batched_general_kernelIDF16_Li16ELi16ELi32ELi32ELi8ELi32ELi8ELi8ELi32ELc78ELc78EKPKDF16_S3_KPDF16_EEvlllT_PT11_llS8_llS6_PT12_llPT13_lli.has_indirect_call, 0
	.section	.AMDGPU.csdata,"",@progbits
; Kernel info:
; codeLenInByte = 2348
; TotalNumSgprs: 45
; NumVgprs: 43
; ScratchSize: 0
; MemoryBound: 0
; FloatMode: 240
; IeeeMode: 1
; LDSByteSize: 1024 bytes/workgroup (compile time only)
; SGPRBlocks: 0
; VGPRBlocks: 5
; NumSGPRsForWavesPerEU: 45
; NumVGPRsForWavesPerEU: 43
; Occupancy: 16
; WaveLimiterHint : 1
; COMPUTE_PGM_RSRC2:SCRATCH_EN: 0
; COMPUTE_PGM_RSRC2:USER_SGPR: 2
; COMPUTE_PGM_RSRC2:TRAP_HANDLER: 0
; COMPUTE_PGM_RSRC2:TGID_X_EN: 1
; COMPUTE_PGM_RSRC2:TGID_Y_EN: 1
; COMPUTE_PGM_RSRC2:TGID_Z_EN: 1
; COMPUTE_PGM_RSRC2:TIDIG_COMP_CNT: 1
	.section	.text._ZN12_GLOBAL__N_135rocblas_gemm_batched_general_kernelIDF16_Li16ELi16ELi32ELi32ELi8ELi32ELi8ELi8ELi32ELc84ELc78EKPKDF16_S3_KPDF16_EEvlllT_PT11_llS8_llS6_PT12_llPT13_lli,"axG",@progbits,_ZN12_GLOBAL__N_135rocblas_gemm_batched_general_kernelIDF16_Li16ELi16ELi32ELi32ELi8ELi32ELi8ELi8ELi32ELc84ELc78EKPKDF16_S3_KPDF16_EEvlllT_PT11_llS8_llS6_PT12_llPT13_lli,comdat
	.globl	_ZN12_GLOBAL__N_135rocblas_gemm_batched_general_kernelIDF16_Li16ELi16ELi32ELi32ELi8ELi32ELi8ELi8ELi32ELc84ELc78EKPKDF16_S3_KPDF16_EEvlllT_PT11_llS8_llS6_PT12_llPT13_lli ; -- Begin function _ZN12_GLOBAL__N_135rocblas_gemm_batched_general_kernelIDF16_Li16ELi16ELi32ELi32ELi8ELi32ELi8ELi8ELi32ELc84ELc78EKPKDF16_S3_KPDF16_EEvlllT_PT11_llS8_llS6_PT12_llPT13_lli
	.p2align	8
	.type	_ZN12_GLOBAL__N_135rocblas_gemm_batched_general_kernelIDF16_Li16ELi16ELi32ELi32ELi8ELi32ELi8ELi8ELi32ELc84ELc78EKPKDF16_S3_KPDF16_EEvlllT_PT11_llS8_llS6_PT12_llPT13_lli,@function
_ZN12_GLOBAL__N_135rocblas_gemm_batched_general_kernelIDF16_Li16ELi16ELi32ELi32ELi8ELi32ELi8ELi8ELi32ELc84ELc78EKPKDF16_S3_KPDF16_EEvlllT_PT11_llS8_llS6_PT12_llPT13_lli: ; @_ZN12_GLOBAL__N_135rocblas_gemm_batched_general_kernelIDF16_Li16ELi16ELi32ELi32ELi8ELi32ELi8ELi8ELi32ELc84ELc78EKPKDF16_S3_KPDF16_EEvlllT_PT11_llS8_llS6_PT12_llPT13_lli
; %bb.0:
	s_load_b32 s33, s[0:1], 0x88
	s_lshr_b32 s34, ttmp7, 16
	s_wait_kmcnt 0x0
	s_cmp_ge_i32 s34, s33
	s_cbranch_scc1 .LBB166_35
; %bb.1:
	v_bfe_u32 v1, v0, 10, 10
	s_mov_b32 s2, ttmp9
	s_ashr_i32 s3, ttmp9, 31
	s_clause 0x1
	s_load_b128 s[28:31], s[0:1], 0x0
	s_load_b96 s[36:38], s[0:1], 0x10
	s_lshl_b64 s[40:41], s[2:3], 5
	s_delay_alu instid0(SALU_CYCLE_1)
	v_dual_mov_b32 v5, s41 :: v_dual_and_b32 v2, 0x3ff, v0
	v_dual_mov_b32 v16, 0 :: v_dual_lshlrev_b32 v3, 4, v1
	s_clause 0x4
	s_load_b256 s[16:23], s[0:1], 0x58
	s_load_b256 s[8:15], s[0:1], 0x20
	s_load_b128 s[4:7], s[0:1], 0x40
	s_load_b32 s39, s[0:1], 0x50
	s_load_b128 s[24:27], s[0:1], 0x78
	s_and_b32 s0, ttmp7, 0xffff
	v_add_nc_u32_e32 v4, v3, v2
	s_lshl_b32 s2, s0, 5
	v_lshlrev_b32_e32 v19, 1, v2
	v_add_nc_u32_e32 v20, 0x200, v3
	s_mov_b32 s35, 0
	v_lshrrev_b32_e32 v8, 3, v4
	v_lshrrev_b32_e32 v15, 5, v4
	s_delay_alu instid0(VALU_DEP_2) | instskip(NEXT) | instid1(VALU_DEP_1)
	v_add_co_u32 v6, s0, v8, s2
	v_add_co_ci_u32_e64 v7, null, 0, 0, s0
	s_wait_kmcnt 0x0
	s_delay_alu instid0(VALU_DEP_2) | instskip(NEXT) | instid1(VALU_DEP_2)
	v_mad_co_u64_u32 v[11:12], null, s4, v6, 0
	v_cmp_gt_i64_e64 s1, s[30:31], v[6:7]
	v_add_co_u32 v7, s2, s2, v1
	s_cmp_eq_f16 s39, 0
	v_mad_co_u64_u32 v[25:26], null, v7, s18, 0
	v_and_b32_e32 v14, 7, v0
	v_and_b32_e32 v0, 31, v4
	s_delay_alu instid0(VALU_DEP_2) | instskip(NEXT) | instid1(VALU_DEP_2)
	v_lshlrev_b32_e32 v13, 1, v14
	v_or_b32_e32 v4, s40, v0
	v_lshlrev_b32_e32 v0, 1, v0
	s_delay_alu instid0(VALU_DEP_3) | instskip(NEXT) | instid1(VALU_DEP_3)
	v_lshl_or_b32 v8, v8, 4, v13
	v_cmp_gt_i64_e64 s0, s[28:29], v[4:5]
	s_delay_alu instid0(VALU_DEP_3) | instskip(SKIP_1) | instid1(VALU_DEP_4)
	v_lshl_or_b32 v17, v15, 6, v0
	v_mad_co_u64_u32 v[0:1], null, v7, s24, 0
	v_add_nc_u32_e32 v18, 0x200, v8
	s_wait_alu 0xf1ff
	v_add_co_ci_u32_e64 v8, null, 0, 0, s2
	v_add_co_u32 v2, s2, s40, v2
	s_wait_alu 0xf1ff
	v_add_co_ci_u32_e64 v3, null, s41, 0, s2
	s_delay_alu instid0(VALU_DEP_3) | instskip(NEXT) | instid1(VALU_DEP_3)
	v_cmp_gt_i64_e64 s2, s[30:31], v[7:8]
	v_add_co_u32 v9, vcc_lo, v2, 16
	s_delay_alu instid0(VALU_DEP_1) | instskip(SKIP_3) | instid1(VALU_DEP_3)
	v_add_co_ci_u32_e64 v10, null, 0, v3, vcc_lo
	v_add_co_u32 v21, vcc_lo, v7, 16
	s_wait_alu 0xfffd
	v_add_co_ci_u32_e64 v22, null, 0, v8, vcc_lo
	v_cmp_gt_i64_e64 s4, s[28:29], v[9:10]
	v_mad_co_u64_u32 v[9:10], null, v7, s25, v[1:2]
	v_mov_b32_e32 v1, v12
	v_mul_lo_u32 v8, s11, v4
	v_mad_co_u64_u32 v[23:24], null, s10, v4, 0
	s_mul_i32 s10, s10, s41
	v_mad_co_u64_u32 v[5:6], null, s5, v6, v[1:2]
	v_mov_b32_e32 v1, v26
	s_cselect_b32 s40, -1, 0
	s_lshl_b64 s[6:7], s[6:7], 1
	s_wait_alu 0xfffe
	v_add3_u32 v24, v24, s10, v8
	v_lshlrev_b32_e32 v8, 1, v15
	v_mad_co_u64_u32 v[6:7], null, v7, s19, v[1:2]
	v_mov_b32_e32 v12, v5
	v_cmp_gt_i64_e64 s5, s[30:31], v[21:22]
	v_cmp_gt_i64_e64 s3, s[28:29], v[2:3]
	s_lshl_b64 s[28:29], s[24:25], 4
	v_cmp_gt_i64_e64 s24, s[36:37], 0
	v_lshlrev_b64_e32 v[4:5], 1, v[11:12]
	v_mov_b32_e32 v26, v6
	v_lshlrev_b64_e32 v[6:7], 1, v[23:24]
	v_mov_b32_e32 v1, v9
	s_lshl_b64 s[18:19], s[18:19], 4
	s_lshl_b64 s[10:11], s[20:21], 1
	v_add_co_u32 v4, vcc_lo, v4, s6
	s_wait_alu 0xfffd
	v_add_co_ci_u32_e64 v5, null, s7, v5, vcc_lo
	s_lshl_b64 s[6:7], s[12:13], 1
	s_wait_alu 0xfffe
	s_lshl_b64 s[12:13], s[18:19], 1
	v_add_co_u32 v6, vcc_lo, v6, s6
	s_wait_alu 0xfffd
	v_add_co_ci_u32_e64 v7, null, s7, v7, vcc_lo
	v_add_co_u32 v21, vcc_lo, v4, v13
	s_wait_alu 0xfffd
	v_add_co_ci_u32_e64 v22, null, 0, v5, vcc_lo
	v_add_co_u32 v23, vcc_lo, v6, v8
	v_lshlrev_b64_e32 v[4:5], 1, v[25:26]
	s_wait_alu 0xfffd
	v_add_co_ci_u32_e64 v24, null, 0, v7, vcc_lo
	s_lshl_b64 s[6:7], s[26:27], 1
	s_lshl_b64 s[18:19], s[28:29], 1
	s_branch .LBB166_4
.LBB166_2:                              ;   in Loop: Header=BB166_4 Depth=1
	s_wait_alu 0xfffe
	s_or_b32 exec_lo, exec_lo, s20
.LBB166_3:                              ;   in Loop: Header=BB166_4 Depth=1
	s_add_co_i32 s34, s34, 0x10000
	s_delay_alu instid0(SALU_CYCLE_1)
	s_cmp_lt_i32 s34, s33
	s_cbranch_scc0 .LBB166_35
.LBB166_4:                              ; =>This Loop Header: Depth=1
                                        ;     Child Loop BB166_7 Depth 2
	s_lshl_b64 s[20:21], s[34:35], 3
	s_and_not1_b32 vcc_lo, exec_lo, s24
	s_wait_alu 0xfffe
	s_add_nc_u64 s[26:27], s[16:17], s[20:21]
	s_add_nc_u64 s[28:29], s[22:23], s[20:21]
	s_clause 0x1
	global_load_b64 v[6:7], v16, s[26:27]
	global_load_b64 v[8:9], v16, s[28:29]
	s_cbranch_vccnz .LBB166_11
; %bb.5:                                ;   in Loop: Header=BB166_4 Depth=1
	s_add_nc_u64 s[26:27], s[14:15], s[20:21]
	s_add_nc_u64 s[20:21], s[8:9], s[20:21]
	s_clause 0x1
	global_load_b64 v[10:11], v16, s[26:27]
	global_load_b64 v[12:13], v16, s[20:21]
	v_dual_mov_b32 v26, 0 :: v_dual_mov_b32 v25, 0
	s_mov_b64 s[20:21], 0
	s_wait_loadcnt 0x1
	v_add_co_u32 v10, vcc_lo, v10, v21
	s_wait_alu 0xfffd
	v_add_co_ci_u32_e64 v11, null, v11, v22, vcc_lo
	s_wait_loadcnt 0x0
	v_add_co_u32 v12, vcc_lo, v12, v23
	s_wait_alu 0xfffd
	v_add_co_ci_u32_e64 v13, null, v13, v24, vcc_lo
	s_branch .LBB166_7
.LBB166_6:                              ;   in Loop: Header=BB166_7 Depth=2
	s_wait_alu 0xfffe
	s_or_b32 exec_lo, exec_lo, s25
	s_wait_loadcnt_dscnt 0x0
	ds_store_b16 v18, v28
	s_wait_dscnt 0x0
	s_barrier_signal -1
	s_barrier_wait -1
	global_inv scope:SCOPE_SE
	ds_load_u16 v35, v19
	ds_load_u16 v36, v19 offset:64
	ds_load_u16 v37, v19 offset:128
	;; [unrolled: 1-line block ×7, first 2 shown]
	s_add_nc_u64 s[20:21], s[20:21], 8
	v_add_co_u32 v10, vcc_lo, v10, 16
	s_wait_alu 0xfffe
	v_cmp_lt_i64_e64 s25, s[20:21], s[36:37]
	s_wait_alu 0xfffd
	v_add_co_ci_u32_e64 v11, null, 0, v11, vcc_lo
	v_add_co_u32 v12, vcc_lo, v12, 16
	s_wait_alu 0xfffd
	v_add_co_ci_u32_e64 v13, null, 0, v13, vcc_lo
	s_and_b32 vcc_lo, exec_lo, s25
	s_wait_dscnt 0x7
	ds_load_u16_d16_hi v35, v19 offset:32
	ds_load_b128 v[27:30], v20
	ds_load_b128 v[31:34], v20 offset:256
	s_wait_dscnt 0x9
	ds_load_u16_d16_hi v36, v19 offset:96
	s_wait_dscnt 0x9
	ds_load_u16_d16_hi v37, v19 offset:160
	;; [unrolled: 2-line block ×7, first 2 shown]
	s_wait_loadcnt_dscnt 0x0
	s_barrier_signal -1
	s_barrier_wait -1
	global_inv scope:SCOPE_SE
	v_pk_fma_f16 v26, v35, v27, v26 op_sel_hi:[1,0,1]
	v_pk_fma_f16 v25, v35, v31, v25 op_sel_hi:[1,0,1]
	s_delay_alu instid0(VALU_DEP_2) | instskip(NEXT) | instid1(VALU_DEP_2)
	v_pk_fma_f16 v26, v36, v27, v26 op_sel:[0,1,0]
	v_pk_fma_f16 v25, v36, v31, v25 op_sel:[0,1,0]
	s_delay_alu instid0(VALU_DEP_2) | instskip(NEXT) | instid1(VALU_DEP_2)
	v_pk_fma_f16 v26, v37, v28, v26 op_sel_hi:[1,0,1]
	v_pk_fma_f16 v25, v37, v32, v25 op_sel_hi:[1,0,1]
	s_delay_alu instid0(VALU_DEP_2) | instskip(NEXT) | instid1(VALU_DEP_2)
	v_pk_fma_f16 v26, v38, v28, v26 op_sel:[0,1,0]
	v_pk_fma_f16 v25, v38, v32, v25 op_sel:[0,1,0]
	s_delay_alu instid0(VALU_DEP_2) | instskip(NEXT) | instid1(VALU_DEP_2)
	;; [unrolled: 6-line block ×3, first 2 shown]
	v_pk_fma_f16 v26, v41, v30, v26 op_sel_hi:[1,0,1]
	v_pk_fma_f16 v25, v41, v34, v25 op_sel_hi:[1,0,1]
	s_delay_alu instid0(VALU_DEP_2) | instskip(NEXT) | instid1(VALU_DEP_2)
	v_pk_fma_f16 v26, v42, v30, v26 op_sel:[0,1,0]
	v_pk_fma_f16 v25, v42, v34, v25 op_sel:[0,1,0]
	s_wait_alu 0xfffe
	s_cbranch_vccz .LBB166_12
.LBB166_7:                              ;   Parent Loop BB166_4 Depth=1
                                        ; =>  This Inner Loop Header: Depth=2
	s_wait_alu 0xfffe
	v_add_co_u32 v27, s25, v15, s20
	s_wait_alu 0xf1ff
	v_add_co_ci_u32_e64 v28, null, 0, s21, s25
	s_delay_alu instid0(VALU_DEP_1) | instskip(SKIP_2) | instid1(SALU_CYCLE_1)
	v_cmp_gt_i64_e32 vcc_lo, s[36:37], v[27:28]
	v_mov_b32_e32 v27, 0
	s_and_b32 s26, s0, vcc_lo
	s_and_saveexec_b32 s25, s26
	s_cbranch_execz .LBB166_9
; %bb.8:                                ;   in Loop: Header=BB166_7 Depth=2
	flat_load_u16 v27, v[12:13]
.LBB166_9:                              ;   in Loop: Header=BB166_7 Depth=2
	s_wait_alu 0xfffe
	s_or_b32 exec_lo, exec_lo, s25
	v_add_co_u32 v28, s25, v14, s20
	s_wait_alu 0xf1ff
	v_add_co_ci_u32_e64 v29, null, 0, s21, s25
	s_wait_loadcnt_dscnt 0x0
	ds_store_b16 v17, v27
	v_cmp_gt_i64_e32 vcc_lo, s[36:37], v[28:29]
	v_mov_b32_e32 v28, 0
	s_and_b32 s26, vcc_lo, s1
	s_delay_alu instid0(SALU_CYCLE_1)
	s_and_saveexec_b32 s25, s26
	s_cbranch_execz .LBB166_6
; %bb.10:                               ;   in Loop: Header=BB166_7 Depth=2
	flat_load_u16 v28, v[10:11]
	s_branch .LBB166_6
.LBB166_11:                             ;   in Loop: Header=BB166_4 Depth=1
	v_dual_mov_b32 v26, 0 :: v_dual_mov_b32 v25, 0
.LBB166_12:                             ;   in Loop: Header=BB166_4 Depth=1
	s_wait_loadcnt 0x0
	v_add_co_u32 v10, vcc_lo, v8, s6
	s_wait_alu 0xfffd
	v_add_co_ci_u32_e64 v11, null, s7, v9, vcc_lo
	s_and_not1_b32 vcc_lo, exec_lo, s40
	s_wait_alu 0xfffe
	s_cbranch_vccnz .LBB166_17
; %bb.13:                               ;   in Loop: Header=BB166_4 Depth=1
	s_and_saveexec_b32 s20, s2
	s_cbranch_execz .LBB166_24
; %bb.14:                               ;   in Loop: Header=BB166_4 Depth=1
	v_lshlrev_b64_e32 v[8:9], 1, v[0:1]
	s_delay_alu instid0(VALU_DEP_1) | instskip(SKIP_1) | instid1(VALU_DEP_2)
	v_add_co_u32 v8, vcc_lo, v10, v8
	s_wait_alu 0xfffd
	v_add_co_ci_u32_e64 v9, null, v11, v9, vcc_lo
	s_and_saveexec_b32 s21, s3
	s_cbranch_execnz .LBB166_18
; %bb.15:                               ;   in Loop: Header=BB166_4 Depth=1
	s_wait_alu 0xfffe
	s_or_b32 exec_lo, exec_lo, s21
	s_and_saveexec_b32 s21, s4
	s_cbranch_execnz .LBB166_19
.LBB166_16:                             ;   in Loop: Header=BB166_4 Depth=1
	s_wait_alu 0xfffe
	s_or_b32 exec_lo, exec_lo, s21
	s_delay_alu instid0(SALU_CYCLE_1)
	s_and_b32 exec_lo, exec_lo, s5
	s_cbranch_execnz .LBB166_20
	s_branch .LBB166_24
.LBB166_17:                             ;   in Loop: Header=BB166_4 Depth=1
	s_branch .LBB166_25
.LBB166_18:                             ;   in Loop: Header=BB166_4 Depth=1
	v_lshlrev_b64_e32 v[12:13], 1, v[2:3]
	v_mul_f16_e32 v27, s38, v26
	s_delay_alu instid0(VALU_DEP_2) | instskip(SKIP_1) | instid1(VALU_DEP_3)
	v_add_co_u32 v12, vcc_lo, v8, v12
	s_wait_alu 0xfffd
	v_add_co_ci_u32_e64 v13, null, v9, v13, vcc_lo
	flat_store_b16 v[12:13], v27
	s_wait_alu 0xfffe
	s_or_b32 exec_lo, exec_lo, s21
	s_and_saveexec_b32 s21, s4
	s_cbranch_execz .LBB166_16
.LBB166_19:                             ;   in Loop: Header=BB166_4 Depth=1
	v_lshlrev_b64_e32 v[12:13], 1, v[2:3]
	v_lshrrev_b32_e32 v27, 16, v26
	s_delay_alu instid0(VALU_DEP_1) | instskip(NEXT) | instid1(VALU_DEP_3)
	v_mul_f16_e32 v27, s38, v27
	v_add_co_u32 v12, vcc_lo, v8, v12
	s_wait_alu 0xfffd
	s_delay_alu instid0(VALU_DEP_4) | instskip(SKIP_3) | instid1(SALU_CYCLE_1)
	v_add_co_ci_u32_e64 v13, null, v9, v13, vcc_lo
	flat_store_b16 v[12:13], v27 offset:32
	s_wait_alu 0xfffe
	s_or_b32 exec_lo, exec_lo, s21
	s_and_b32 exec_lo, exec_lo, s5
	s_cbranch_execz .LBB166_24
.LBB166_20:                             ;   in Loop: Header=BB166_4 Depth=1
	v_lshlrev_b64_e32 v[12:13], 1, v[2:3]
	v_add_co_u32 v8, vcc_lo, v8, s18
	s_wait_alu 0xfffd
	v_add_co_ci_u32_e64 v9, null, s19, v9, vcc_lo
	s_delay_alu instid0(VALU_DEP_2) | instskip(SKIP_1) | instid1(VALU_DEP_2)
	v_add_co_u32 v8, vcc_lo, v8, v12
	s_wait_alu 0xfffd
	v_add_co_ci_u32_e64 v9, null, v9, v13, vcc_lo
	s_and_saveexec_b32 s21, s3
	s_cbranch_execz .LBB166_22
; %bb.21:                               ;   in Loop: Header=BB166_4 Depth=1
	v_mul_f16_e32 v12, s38, v25
	flat_store_b16 v[8:9], v12
.LBB166_22:                             ;   in Loop: Header=BB166_4 Depth=1
	s_wait_alu 0xfffe
	s_or_b32 exec_lo, exec_lo, s21
	s_delay_alu instid0(SALU_CYCLE_1)
	s_and_b32 exec_lo, exec_lo, s4
	s_cbranch_execz .LBB166_24
; %bb.23:                               ;   in Loop: Header=BB166_4 Depth=1
	v_lshrrev_b32_e32 v12, 16, v25
	s_delay_alu instid0(VALU_DEP_1)
	v_mul_f16_e32 v12, s38, v12
	flat_store_b16 v[8:9], v12 offset:32
.LBB166_24:                             ;   in Loop: Header=BB166_4 Depth=1
	s_wait_alu 0xfffe
	s_or_b32 exec_lo, exec_lo, s20
	s_cbranch_execnz .LBB166_3
.LBB166_25:                             ;   in Loop: Header=BB166_4 Depth=1
	s_and_saveexec_b32 s20, s2
	s_cbranch_execz .LBB166_2
; %bb.26:                               ;   in Loop: Header=BB166_4 Depth=1
	v_add_co_u32 v6, vcc_lo, v6, s10
	v_lshlrev_b64_e32 v[12:13], 1, v[0:1]
	s_wait_alu 0xfffd
	v_add_co_ci_u32_e64 v7, null, s11, v7, vcc_lo
	s_delay_alu instid0(VALU_DEP_3) | instskip(SKIP_1) | instid1(VALU_DEP_2)
	v_add_co_u32 v8, vcc_lo, v6, v4
	s_wait_alu 0xfffd
	v_add_co_ci_u32_e64 v9, null, v7, v5, vcc_lo
	v_add_co_u32 v10, vcc_lo, v10, v12
	v_lshlrev_b64_e32 v[6:7], 1, v[2:3]
	s_wait_alu 0xfffd
	v_add_co_ci_u32_e64 v11, null, v11, v13, vcc_lo
	s_and_saveexec_b32 s21, s3
	s_cbranch_execnz .LBB166_29
; %bb.27:                               ;   in Loop: Header=BB166_4 Depth=1
	s_wait_alu 0xfffe
	s_or_b32 exec_lo, exec_lo, s21
	s_and_saveexec_b32 s21, s4
	s_cbranch_execnz .LBB166_30
.LBB166_28:                             ;   in Loop: Header=BB166_4 Depth=1
	s_wait_alu 0xfffe
	s_or_b32 exec_lo, exec_lo, s21
	s_delay_alu instid0(SALU_CYCLE_1)
	s_and_b32 exec_lo, exec_lo, s5
	s_cbranch_execz .LBB166_2
	s_branch .LBB166_31
.LBB166_29:                             ;   in Loop: Header=BB166_4 Depth=1
	v_add_co_u32 v12, vcc_lo, v8, v6
	s_wait_alu 0xfffd
	v_add_co_ci_u32_e64 v13, null, v9, v7, vcc_lo
	flat_load_u16 v12, v[12:13]
	s_wait_loadcnt_dscnt 0x0
	v_mul_f16_e32 v27, s39, v12
	v_add_co_u32 v12, vcc_lo, v10, v6
	s_wait_alu 0xfffd
	v_add_co_ci_u32_e64 v13, null, v11, v7, vcc_lo
	s_delay_alu instid0(VALU_DEP_3)
	v_fmac_f16_e32 v27, s38, v26
	flat_store_b16 v[12:13], v27
	s_wait_alu 0xfffe
	s_or_b32 exec_lo, exec_lo, s21
	s_and_saveexec_b32 s21, s4
	s_cbranch_execz .LBB166_28
.LBB166_30:                             ;   in Loop: Header=BB166_4 Depth=1
	v_add_co_u32 v12, vcc_lo, v8, v6
	s_wait_alu 0xfffd
	v_add_co_ci_u32_e64 v13, null, v9, v7, vcc_lo
	flat_load_u16 v12, v[12:13] offset:32
	v_lshrrev_b32_e32 v13, 16, v26
	s_wait_loadcnt_dscnt 0x0
	v_mul_f16_e32 v26, s39, v12
	v_add_co_u32 v12, vcc_lo, v10, v6
	s_delay_alu instid0(VALU_DEP_2)
	v_fmac_f16_e32 v26, s38, v13
	s_wait_alu 0xfffd
	v_add_co_ci_u32_e64 v13, null, v11, v7, vcc_lo
	flat_store_b16 v[12:13], v26 offset:32
	s_wait_alu 0xfffe
	s_or_b32 exec_lo, exec_lo, s21
	s_delay_alu instid0(SALU_CYCLE_1)
	s_and_b32 exec_lo, exec_lo, s5
	s_cbranch_execz .LBB166_2
.LBB166_31:                             ;   in Loop: Header=BB166_4 Depth=1
	v_add_co_u32 v8, vcc_lo, v8, s12
	s_wait_alu 0xfffd
	v_add_co_ci_u32_e64 v9, null, s13, v9, vcc_lo
	v_add_co_u32 v10, vcc_lo, v10, s18
	s_wait_alu 0xfffd
	v_add_co_ci_u32_e64 v11, null, s19, v11, vcc_lo
	;; [unrolled: 3-line block ×4, first 2 shown]
	s_and_saveexec_b32 s21, s3
	s_cbranch_execz .LBB166_33
; %bb.32:                               ;   in Loop: Header=BB166_4 Depth=1
	flat_load_u16 v10, v[8:9]
	s_wait_loadcnt_dscnt 0x0
	v_mul_f16_e32 v10, s39, v10
	s_delay_alu instid0(VALU_DEP_1)
	v_fmac_f16_e32 v10, s38, v25
	flat_store_b16 v[6:7], v10
.LBB166_33:                             ;   in Loop: Header=BB166_4 Depth=1
	s_wait_alu 0xfffe
	s_or_b32 exec_lo, exec_lo, s21
	s_delay_alu instid0(SALU_CYCLE_1)
	s_and_b32 exec_lo, exec_lo, s4
	s_cbranch_execz .LBB166_2
; %bb.34:                               ;   in Loop: Header=BB166_4 Depth=1
	flat_load_u16 v8, v[8:9] offset:32
	v_lshrrev_b32_e32 v9, 16, v25
	s_wait_loadcnt_dscnt 0x0
	v_mul_f16_e32 v8, s39, v8
	s_delay_alu instid0(VALU_DEP_1)
	v_fmac_f16_e32 v8, s38, v9
	flat_store_b16 v[6:7], v8 offset:32
	s_branch .LBB166_2
.LBB166_35:
	s_endpgm
	.section	.rodata,"a",@progbits
	.p2align	6, 0x0
	.amdhsa_kernel _ZN12_GLOBAL__N_135rocblas_gemm_batched_general_kernelIDF16_Li16ELi16ELi32ELi32ELi8ELi32ELi8ELi8ELi32ELc84ELc78EKPKDF16_S3_KPDF16_EEvlllT_PT11_llS8_llS6_PT12_llPT13_lli
		.amdhsa_group_segment_fixed_size 1024
		.amdhsa_private_segment_fixed_size 0
		.amdhsa_kernarg_size 140
		.amdhsa_user_sgpr_count 2
		.amdhsa_user_sgpr_dispatch_ptr 0
		.amdhsa_user_sgpr_queue_ptr 0
		.amdhsa_user_sgpr_kernarg_segment_ptr 1
		.amdhsa_user_sgpr_dispatch_id 0
		.amdhsa_user_sgpr_private_segment_size 0
		.amdhsa_wavefront_size32 1
		.amdhsa_uses_dynamic_stack 0
		.amdhsa_enable_private_segment 0
		.amdhsa_system_sgpr_workgroup_id_x 1
		.amdhsa_system_sgpr_workgroup_id_y 1
		.amdhsa_system_sgpr_workgroup_id_z 1
		.amdhsa_system_sgpr_workgroup_info 0
		.amdhsa_system_vgpr_workitem_id 1
		.amdhsa_next_free_vgpr 43
		.amdhsa_next_free_sgpr 42
		.amdhsa_reserve_vcc 1
		.amdhsa_float_round_mode_32 0
		.amdhsa_float_round_mode_16_64 0
		.amdhsa_float_denorm_mode_32 3
		.amdhsa_float_denorm_mode_16_64 3
		.amdhsa_fp16_overflow 0
		.amdhsa_workgroup_processor_mode 1
		.amdhsa_memory_ordered 1
		.amdhsa_forward_progress 1
		.amdhsa_inst_pref_size 19
		.amdhsa_round_robin_scheduling 0
		.amdhsa_exception_fp_ieee_invalid_op 0
		.amdhsa_exception_fp_denorm_src 0
		.amdhsa_exception_fp_ieee_div_zero 0
		.amdhsa_exception_fp_ieee_overflow 0
		.amdhsa_exception_fp_ieee_underflow 0
		.amdhsa_exception_fp_ieee_inexact 0
		.amdhsa_exception_int_div_zero 0
	.end_amdhsa_kernel
	.section	.text._ZN12_GLOBAL__N_135rocblas_gemm_batched_general_kernelIDF16_Li16ELi16ELi32ELi32ELi8ELi32ELi8ELi8ELi32ELc84ELc78EKPKDF16_S3_KPDF16_EEvlllT_PT11_llS8_llS6_PT12_llPT13_lli,"axG",@progbits,_ZN12_GLOBAL__N_135rocblas_gemm_batched_general_kernelIDF16_Li16ELi16ELi32ELi32ELi8ELi32ELi8ELi8ELi32ELc84ELc78EKPKDF16_S3_KPDF16_EEvlllT_PT11_llS8_llS6_PT12_llPT13_lli,comdat
.Lfunc_end166:
	.size	_ZN12_GLOBAL__N_135rocblas_gemm_batched_general_kernelIDF16_Li16ELi16ELi32ELi32ELi8ELi32ELi8ELi8ELi32ELc84ELc78EKPKDF16_S3_KPDF16_EEvlllT_PT11_llS8_llS6_PT12_llPT13_lli, .Lfunc_end166-_ZN12_GLOBAL__N_135rocblas_gemm_batched_general_kernelIDF16_Li16ELi16ELi32ELi32ELi8ELi32ELi8ELi8ELi32ELc84ELc78EKPKDF16_S3_KPDF16_EEvlllT_PT11_llS8_llS6_PT12_llPT13_lli
                                        ; -- End function
	.set _ZN12_GLOBAL__N_135rocblas_gemm_batched_general_kernelIDF16_Li16ELi16ELi32ELi32ELi8ELi32ELi8ELi8ELi32ELc84ELc78EKPKDF16_S3_KPDF16_EEvlllT_PT11_llS8_llS6_PT12_llPT13_lli.num_vgpr, 43
	.set _ZN12_GLOBAL__N_135rocblas_gemm_batched_general_kernelIDF16_Li16ELi16ELi32ELi32ELi8ELi32ELi8ELi8ELi32ELc84ELc78EKPKDF16_S3_KPDF16_EEvlllT_PT11_llS8_llS6_PT12_llPT13_lli.num_agpr, 0
	.set _ZN12_GLOBAL__N_135rocblas_gemm_batched_general_kernelIDF16_Li16ELi16ELi32ELi32ELi8ELi32ELi8ELi8ELi32ELc84ELc78EKPKDF16_S3_KPDF16_EEvlllT_PT11_llS8_llS6_PT12_llPT13_lli.numbered_sgpr, 42
	.set _ZN12_GLOBAL__N_135rocblas_gemm_batched_general_kernelIDF16_Li16ELi16ELi32ELi32ELi8ELi32ELi8ELi8ELi32ELc84ELc78EKPKDF16_S3_KPDF16_EEvlllT_PT11_llS8_llS6_PT12_llPT13_lli.num_named_barrier, 0
	.set _ZN12_GLOBAL__N_135rocblas_gemm_batched_general_kernelIDF16_Li16ELi16ELi32ELi32ELi8ELi32ELi8ELi8ELi32ELc84ELc78EKPKDF16_S3_KPDF16_EEvlllT_PT11_llS8_llS6_PT12_llPT13_lli.private_seg_size, 0
	.set _ZN12_GLOBAL__N_135rocblas_gemm_batched_general_kernelIDF16_Li16ELi16ELi32ELi32ELi8ELi32ELi8ELi8ELi32ELc84ELc78EKPKDF16_S3_KPDF16_EEvlllT_PT11_llS8_llS6_PT12_llPT13_lli.uses_vcc, 1
	.set _ZN12_GLOBAL__N_135rocblas_gemm_batched_general_kernelIDF16_Li16ELi16ELi32ELi32ELi8ELi32ELi8ELi8ELi32ELc84ELc78EKPKDF16_S3_KPDF16_EEvlllT_PT11_llS8_llS6_PT12_llPT13_lli.uses_flat_scratch, 0
	.set _ZN12_GLOBAL__N_135rocblas_gemm_batched_general_kernelIDF16_Li16ELi16ELi32ELi32ELi8ELi32ELi8ELi8ELi32ELc84ELc78EKPKDF16_S3_KPDF16_EEvlllT_PT11_llS8_llS6_PT12_llPT13_lli.has_dyn_sized_stack, 0
	.set _ZN12_GLOBAL__N_135rocblas_gemm_batched_general_kernelIDF16_Li16ELi16ELi32ELi32ELi8ELi32ELi8ELi8ELi32ELc84ELc78EKPKDF16_S3_KPDF16_EEvlllT_PT11_llS8_llS6_PT12_llPT13_lli.has_recursion, 0
	.set _ZN12_GLOBAL__N_135rocblas_gemm_batched_general_kernelIDF16_Li16ELi16ELi32ELi32ELi8ELi32ELi8ELi8ELi32ELc84ELc78EKPKDF16_S3_KPDF16_EEvlllT_PT11_llS8_llS6_PT12_llPT13_lli.has_indirect_call, 0
	.section	.AMDGPU.csdata,"",@progbits
; Kernel info:
; codeLenInByte = 2344
; TotalNumSgprs: 44
; NumVgprs: 43
; ScratchSize: 0
; MemoryBound: 0
; FloatMode: 240
; IeeeMode: 1
; LDSByteSize: 1024 bytes/workgroup (compile time only)
; SGPRBlocks: 0
; VGPRBlocks: 5
; NumSGPRsForWavesPerEU: 44
; NumVGPRsForWavesPerEU: 43
; Occupancy: 16
; WaveLimiterHint : 1
; COMPUTE_PGM_RSRC2:SCRATCH_EN: 0
; COMPUTE_PGM_RSRC2:USER_SGPR: 2
; COMPUTE_PGM_RSRC2:TRAP_HANDLER: 0
; COMPUTE_PGM_RSRC2:TGID_X_EN: 1
; COMPUTE_PGM_RSRC2:TGID_Y_EN: 1
; COMPUTE_PGM_RSRC2:TGID_Z_EN: 1
; COMPUTE_PGM_RSRC2:TIDIG_COMP_CNT: 1
	.section	.text._ZN12_GLOBAL__N_135rocblas_gemm_batched_general_kernelIDF16_Li16ELi16ELi32ELi32ELi8ELi32ELi8ELi8ELi32ELc78ELc84EKPKDF16_S3_KPDF16_EEvlllT_PT11_llS8_llS6_PT12_llPT13_lli,"axG",@progbits,_ZN12_GLOBAL__N_135rocblas_gemm_batched_general_kernelIDF16_Li16ELi16ELi32ELi32ELi8ELi32ELi8ELi8ELi32ELc78ELc84EKPKDF16_S3_KPDF16_EEvlllT_PT11_llS8_llS6_PT12_llPT13_lli,comdat
	.globl	_ZN12_GLOBAL__N_135rocblas_gemm_batched_general_kernelIDF16_Li16ELi16ELi32ELi32ELi8ELi32ELi8ELi8ELi32ELc78ELc84EKPKDF16_S3_KPDF16_EEvlllT_PT11_llS8_llS6_PT12_llPT13_lli ; -- Begin function _ZN12_GLOBAL__N_135rocblas_gemm_batched_general_kernelIDF16_Li16ELi16ELi32ELi32ELi8ELi32ELi8ELi8ELi32ELc78ELc84EKPKDF16_S3_KPDF16_EEvlllT_PT11_llS8_llS6_PT12_llPT13_lli
	.p2align	8
	.type	_ZN12_GLOBAL__N_135rocblas_gemm_batched_general_kernelIDF16_Li16ELi16ELi32ELi32ELi8ELi32ELi8ELi8ELi32ELc78ELc84EKPKDF16_S3_KPDF16_EEvlllT_PT11_llS8_llS6_PT12_llPT13_lli,@function
_ZN12_GLOBAL__N_135rocblas_gemm_batched_general_kernelIDF16_Li16ELi16ELi32ELi32ELi8ELi32ELi8ELi8ELi32ELc78ELc84EKPKDF16_S3_KPDF16_EEvlllT_PT11_llS8_llS6_PT12_llPT13_lli: ; @_ZN12_GLOBAL__N_135rocblas_gemm_batched_general_kernelIDF16_Li16ELi16ELi32ELi32ELi8ELi32ELi8ELi8ELi32ELc78ELc84EKPKDF16_S3_KPDF16_EEvlllT_PT11_llS8_llS6_PT12_llPT13_lli
; %bb.0:
	s_load_b32 s33, s[0:1], 0x88
	s_lshr_b32 s34, ttmp7, 16
	s_wait_kmcnt 0x0
	s_cmp_ge_i32 s34, s33
	s_cbranch_scc1 .LBB167_35
; %bb.1:
	v_bfe_u32 v4, v0, 10, 10
	s_mov_b32 s40, ttmp9
	s_ashr_i32 s41, ttmp9, 31
	s_clause 0x1
	s_load_b128 s[4:7], s[0:1], 0x0
	s_load_b96 s[36:38], s[0:1], 0x10
	s_lshl_b64 s[2:3], s[40:41], 5
	v_and_b32_e32 v6, 0x3ff, v0
	v_dual_mov_b32 v16, 0 :: v_dual_lshlrev_b32 v5, 4, v4
	s_clause 0x4
	s_load_b256 s[8:15], s[0:1], 0x20
	s_load_b128 s[28:31], s[0:1], 0x40
	s_load_b32 s39, s[0:1], 0x50
	s_load_b128 s[24:27], s[0:1], 0x78
	s_load_b256 s[16:23], s[0:1], 0x58
	s_and_b32 s43, ttmp7, 0xffff
	v_add_nc_u32_e32 v1, v5, v6
	v_and_b32_e32 v14, 7, v0
	s_lshl_b32 s42, s43, 5
	v_add_nc_u32_e32 v20, 0x200, v5
	s_mov_b32 s35, 0
	v_and_b32_e32 v2, 31, v1
	v_lshrrev_b32_e32 v23, 3, v1
	v_lshrrev_b32_e32 v15, 5, v1
	v_mov_b32_e32 v1, s3
	v_lshlrev_b32_e32 v19, 1, v6
	v_or_b32_e32 v0, s2, v2
	v_lshlrev_b32_e32 v24, 1, v2
	v_add_co_u32 v2, s0, v23, s42
	s_delay_alu instid0(VALU_DEP_1)
	v_add_co_ci_u32_e64 v3, null, 0, 0, s0
	v_add_co_u32 v4, s42, s42, v4
	s_wait_kmcnt 0x0
	v_cmp_gt_i64_e64 s0, s[4:5], v[0:1]
	v_add_co_u32 v0, s2, s2, v6
	s_wait_alu 0xf1ff
	v_add_co_ci_u32_e64 v1, null, s3, 0, s2
	v_cmp_gt_i64_e64 s1, s[6:7], v[2:3]
	v_mad_co_u64_u32 v[2:3], null, v4, s24, 0
	v_mad_co_u64_u32 v[10:11], null, v4, s18, 0
	v_add_co_u32 v8, vcc_lo, v0, 16
	s_delay_alu instid0(VALU_DEP_1) | instskip(SKIP_2) | instid1(VALU_DEP_3)
	v_add_co_ci_u32_e64 v9, null, 0, v1, vcc_lo
	v_cmp_gt_i64_e64 s3, s[4:5], v[0:1]
	v_add_co_ci_u32_e64 v5, null, 0, 0, s42
	v_cmp_gt_i64_e64 s4, s[4:5], v[8:9]
	v_mad_co_u64_u32 v[8:9], null, v4, s25, v[3:4]
	v_mov_b32_e32 v3, v11
	v_lshlrev_b32_e32 v7, 1, v14
	v_add_co_u32 v21, vcc_lo, v4, 16
	v_cmp_gt_i64_e64 s2, s[6:7], v[4:5]
	s_wait_alu 0xfffd
	v_add_co_ci_u32_e64 v22, null, 0, v5, vcc_lo
	v_lshl_or_b32 v7, v23, 4, v7
	v_mad_co_u64_u32 v[4:5], null, v4, s19, v[3:4]
	v_mov_b32_e32 v3, v8
	s_cmp_eq_f16 s39, 0
	s_delay_alu instid0(VALU_DEP_3)
	v_add_nc_u32_e32 v18, 0x200, v7
	v_mad_co_u64_u32 v[6:7], null, s28, v14, 0
	s_cselect_b32 s42, -1, 0
	v_cmp_gt_i64_e64 s5, s[6:7], v[21:22]
	s_lshl_b64 s[6:7], s[24:25], 4
	s_lshl_b32 s24, s43, 6
	s_mov_b32 s25, s35
	s_lshl_b64 s[30:31], s[30:31], 1
	v_mad_co_u64_u32 v[11:12], null, s29, v14, v[7:8]
	v_mad_co_u64_u32 v[12:13], null, s10, v15, 0
	s_lshl_b64 s[44:45], s[18:19], 4
	s_wait_alu 0xfffe
	s_add_nc_u64 s[18:19], s[30:31], s[24:25]
	s_lshl_b64 s[12:13], s[12:13], 1
	s_lshl_b64 s[20:21], s[20:21], 1
	v_mov_b32_e32 v7, v11
	v_mov_b32_e32 v11, v4
	;; [unrolled: 1-line block ×3, first 2 shown]
	v_lshl_or_b32 v17, v15, 6, v24
	s_lshl_b64 s[24:25], s[44:45], 1
	s_delay_alu instid0(VALU_DEP_2) | instskip(SKIP_2) | instid1(VALU_DEP_2)
	v_mad_co_u64_u32 v[8:9], null, s11, v15, v[5:6]
	v_lshlrev_b64_e32 v[4:5], 1, v[6:7]
	s_lshl_b64 s[10:11], s[10:11], 4
	v_dual_mov_b32 v13, v8 :: v_dual_lshlrev_b32 v8, 1, v23
	s_wait_alu 0xfffe
	s_delay_alu instid0(VALU_DEP_2)
	v_add_co_u32 v6, vcc_lo, s18, v4
	s_wait_alu 0xfffd
	v_add_co_ci_u32_e64 v7, null, s19, v5, vcc_lo
	v_lshlrev_b64_e32 v[4:5], 1, v[12:13]
	s_lshl_b64 s[18:19], s[40:41], 6
	v_add_co_u32 v21, vcc_lo, v6, v8
	s_wait_alu 0xfffe
	s_add_nc_u64 s[12:13], s[12:13], s[18:19]
	s_wait_alu 0xfffd
	v_add_co_ci_u32_e64 v22, null, 0, v7, vcc_lo
	v_add_co_u32 v4, vcc_lo, s12, v4
	s_wait_alu 0xfffd
	v_add_co_ci_u32_e64 v5, null, s13, v5, vcc_lo
	s_lshl_b64 s[12:13], s[28:29], 4
	v_add_co_u32 v23, vcc_lo, v4, v24
	s_wait_alu 0xfffd
	v_add_co_ci_u32_e64 v24, null, 0, v5, vcc_lo
	v_lshlrev_b64_e32 v[4:5], 1, v[10:11]
	v_cmp_gt_i64_e64 s28, s[36:37], 0
	s_lshl_b64 s[18:19], s[26:27], 1
	s_branch .LBB167_4
.LBB167_2:                              ;   in Loop: Header=BB167_4 Depth=1
	s_wait_alu 0xfffe
	s_or_b32 exec_lo, exec_lo, s26
.LBB167_3:                              ;   in Loop: Header=BB167_4 Depth=1
	s_add_co_i32 s34, s34, 0x10000
	s_delay_alu instid0(SALU_CYCLE_1)
	s_cmp_lt_i32 s34, s33
	s_cbranch_scc0 .LBB167_35
.LBB167_4:                              ; =>This Loop Header: Depth=1
                                        ;     Child Loop BB167_7 Depth 2
	s_lshl_b64 s[26:27], s[34:35], 3
	s_and_not1_b32 vcc_lo, exec_lo, s28
	s_wait_alu 0xfffe
	s_add_nc_u64 s[30:31], s[16:17], s[26:27]
	s_add_nc_u64 s[40:41], s[22:23], s[26:27]
	s_clause 0x1
	global_load_b64 v[6:7], v16, s[30:31]
	global_load_b64 v[8:9], v16, s[40:41]
	s_cbranch_vccnz .LBB167_11
; %bb.5:                                ;   in Loop: Header=BB167_4 Depth=1
	s_add_nc_u64 s[30:31], s[14:15], s[26:27]
	s_add_nc_u64 s[26:27], s[8:9], s[26:27]
	s_clause 0x1
	global_load_b64 v[10:11], v16, s[30:31]
	global_load_b64 v[12:13], v16, s[26:27]
	v_dual_mov_b32 v26, 0 :: v_dual_mov_b32 v25, 0
	s_mov_b64 s[26:27], 0
	s_wait_loadcnt 0x1
	v_add_co_u32 v10, vcc_lo, v10, v21
	s_wait_alu 0xfffd
	v_add_co_ci_u32_e64 v11, null, v11, v22, vcc_lo
	s_wait_loadcnt 0x0
	v_add_co_u32 v12, vcc_lo, v12, v23
	s_wait_alu 0xfffd
	v_add_co_ci_u32_e64 v13, null, v13, v24, vcc_lo
	s_branch .LBB167_7
.LBB167_6:                              ;   in Loop: Header=BB167_7 Depth=2
	s_wait_alu 0xfffe
	s_or_b32 exec_lo, exec_lo, s29
	s_wait_loadcnt_dscnt 0x0
	ds_store_b16 v18, v28
	s_wait_dscnt 0x0
	s_barrier_signal -1
	s_barrier_wait -1
	global_inv scope:SCOPE_SE
	ds_load_u16 v35, v19
	ds_load_u16 v36, v19 offset:64
	ds_load_u16 v37, v19 offset:128
	;; [unrolled: 1-line block ×7, first 2 shown]
	s_add_nc_u64 s[26:27], s[26:27], 8
	v_add_co_u32 v10, vcc_lo, v10, s12
	s_wait_alu 0xfffe
	v_cmp_lt_i64_e64 s29, s[26:27], s[36:37]
	s_wait_alu 0xfffd
	v_add_co_ci_u32_e64 v11, null, s13, v11, vcc_lo
	v_add_co_u32 v12, vcc_lo, v12, s10
	s_wait_alu 0xfffd
	v_add_co_ci_u32_e64 v13, null, s11, v13, vcc_lo
	s_and_b32 vcc_lo, exec_lo, s29
	s_wait_dscnt 0x7
	ds_load_u16_d16_hi v35, v19 offset:32
	ds_load_b128 v[27:30], v20
	ds_load_b128 v[31:34], v20 offset:256
	s_wait_dscnt 0x9
	ds_load_u16_d16_hi v36, v19 offset:96
	s_wait_dscnt 0x9
	ds_load_u16_d16_hi v37, v19 offset:160
	;; [unrolled: 2-line block ×7, first 2 shown]
	s_wait_loadcnt_dscnt 0x0
	s_barrier_signal -1
	s_barrier_wait -1
	global_inv scope:SCOPE_SE
	v_pk_fma_f16 v26, v35, v27, v26 op_sel_hi:[1,0,1]
	v_pk_fma_f16 v25, v35, v31, v25 op_sel_hi:[1,0,1]
	s_delay_alu instid0(VALU_DEP_2) | instskip(NEXT) | instid1(VALU_DEP_2)
	v_pk_fma_f16 v26, v36, v27, v26 op_sel:[0,1,0]
	v_pk_fma_f16 v25, v36, v31, v25 op_sel:[0,1,0]
	s_delay_alu instid0(VALU_DEP_2) | instskip(NEXT) | instid1(VALU_DEP_2)
	v_pk_fma_f16 v26, v37, v28, v26 op_sel_hi:[1,0,1]
	v_pk_fma_f16 v25, v37, v32, v25 op_sel_hi:[1,0,1]
	s_delay_alu instid0(VALU_DEP_2) | instskip(NEXT) | instid1(VALU_DEP_2)
	v_pk_fma_f16 v26, v38, v28, v26 op_sel:[0,1,0]
	v_pk_fma_f16 v25, v38, v32, v25 op_sel:[0,1,0]
	s_delay_alu instid0(VALU_DEP_2) | instskip(NEXT) | instid1(VALU_DEP_2)
	;; [unrolled: 6-line block ×3, first 2 shown]
	v_pk_fma_f16 v26, v41, v30, v26 op_sel_hi:[1,0,1]
	v_pk_fma_f16 v25, v41, v34, v25 op_sel_hi:[1,0,1]
	s_delay_alu instid0(VALU_DEP_2) | instskip(NEXT) | instid1(VALU_DEP_2)
	v_pk_fma_f16 v26, v42, v30, v26 op_sel:[0,1,0]
	v_pk_fma_f16 v25, v42, v34, v25 op_sel:[0,1,0]
	s_wait_alu 0xfffe
	s_cbranch_vccz .LBB167_12
.LBB167_7:                              ;   Parent Loop BB167_4 Depth=1
                                        ; =>  This Inner Loop Header: Depth=2
	s_wait_alu 0xfffe
	v_add_co_u32 v27, s29, v15, s26
	s_wait_alu 0xf1ff
	v_add_co_ci_u32_e64 v28, null, 0, s27, s29
	s_delay_alu instid0(VALU_DEP_1)
	v_cmp_gt_i64_e32 vcc_lo, s[36:37], v[27:28]
	v_mov_b32_e32 v27, 0
	s_and_b32 s30, s0, vcc_lo
	s_wait_alu 0xfffe
	s_and_saveexec_b32 s29, s30
	s_cbranch_execz .LBB167_9
; %bb.8:                                ;   in Loop: Header=BB167_7 Depth=2
	flat_load_u16 v27, v[12:13]
.LBB167_9:                              ;   in Loop: Header=BB167_7 Depth=2
	s_wait_alu 0xfffe
	s_or_b32 exec_lo, exec_lo, s29
	v_add_co_u32 v28, s29, v14, s26
	s_wait_alu 0xf1ff
	v_add_co_ci_u32_e64 v29, null, 0, s27, s29
	s_wait_loadcnt_dscnt 0x0
	ds_store_b16 v17, v27
	v_cmp_gt_i64_e32 vcc_lo, s[36:37], v[28:29]
	v_mov_b32_e32 v28, 0
	s_and_b32 s30, vcc_lo, s1
	s_wait_alu 0xfffe
	s_and_saveexec_b32 s29, s30
	s_cbranch_execz .LBB167_6
; %bb.10:                               ;   in Loop: Header=BB167_7 Depth=2
	flat_load_u16 v28, v[10:11]
	s_branch .LBB167_6
.LBB167_11:                             ;   in Loop: Header=BB167_4 Depth=1
	v_dual_mov_b32 v26, 0 :: v_dual_mov_b32 v25, 0
.LBB167_12:                             ;   in Loop: Header=BB167_4 Depth=1
	s_wait_loadcnt 0x0
	v_add_co_u32 v10, vcc_lo, v8, s18
	s_wait_alu 0xfffd
	v_add_co_ci_u32_e64 v11, null, s19, v9, vcc_lo
	s_and_not1_b32 vcc_lo, exec_lo, s42
	s_wait_alu 0xfffe
	s_cbranch_vccnz .LBB167_17
; %bb.13:                               ;   in Loop: Header=BB167_4 Depth=1
	s_and_saveexec_b32 s26, s2
	s_cbranch_execz .LBB167_24
; %bb.14:                               ;   in Loop: Header=BB167_4 Depth=1
	v_lshlrev_b64_e32 v[8:9], 1, v[2:3]
	s_delay_alu instid0(VALU_DEP_1) | instskip(SKIP_1) | instid1(VALU_DEP_2)
	v_add_co_u32 v8, vcc_lo, v10, v8
	s_wait_alu 0xfffd
	v_add_co_ci_u32_e64 v9, null, v11, v9, vcc_lo
	s_and_saveexec_b32 s27, s3
	s_cbranch_execnz .LBB167_18
; %bb.15:                               ;   in Loop: Header=BB167_4 Depth=1
	s_wait_alu 0xfffe
	s_or_b32 exec_lo, exec_lo, s27
	s_and_saveexec_b32 s27, s4
	s_cbranch_execnz .LBB167_19
.LBB167_16:                             ;   in Loop: Header=BB167_4 Depth=1
	s_wait_alu 0xfffe
	s_or_b32 exec_lo, exec_lo, s27
	s_delay_alu instid0(SALU_CYCLE_1)
	s_and_b32 exec_lo, exec_lo, s5
	s_cbranch_execnz .LBB167_20
	s_branch .LBB167_24
.LBB167_17:                             ;   in Loop: Header=BB167_4 Depth=1
	s_branch .LBB167_25
.LBB167_18:                             ;   in Loop: Header=BB167_4 Depth=1
	v_lshlrev_b64_e32 v[12:13], 1, v[0:1]
	v_mul_f16_e32 v27, s38, v26
	s_delay_alu instid0(VALU_DEP_2) | instskip(SKIP_1) | instid1(VALU_DEP_3)
	v_add_co_u32 v12, vcc_lo, v8, v12
	s_wait_alu 0xfffd
	v_add_co_ci_u32_e64 v13, null, v9, v13, vcc_lo
	flat_store_b16 v[12:13], v27
	s_wait_alu 0xfffe
	s_or_b32 exec_lo, exec_lo, s27
	s_and_saveexec_b32 s27, s4
	s_cbranch_execz .LBB167_16
.LBB167_19:                             ;   in Loop: Header=BB167_4 Depth=1
	v_lshlrev_b64_e32 v[12:13], 1, v[0:1]
	v_lshrrev_b32_e32 v27, 16, v26
	s_delay_alu instid0(VALU_DEP_1) | instskip(NEXT) | instid1(VALU_DEP_3)
	v_mul_f16_e32 v27, s38, v27
	v_add_co_u32 v12, vcc_lo, v8, v12
	s_wait_alu 0xfffd
	s_delay_alu instid0(VALU_DEP_4) | instskip(SKIP_3) | instid1(SALU_CYCLE_1)
	v_add_co_ci_u32_e64 v13, null, v9, v13, vcc_lo
	flat_store_b16 v[12:13], v27 offset:32
	s_wait_alu 0xfffe
	s_or_b32 exec_lo, exec_lo, s27
	s_and_b32 exec_lo, exec_lo, s5
	s_cbranch_execz .LBB167_24
.LBB167_20:                             ;   in Loop: Header=BB167_4 Depth=1
	s_lshl_b64 s[30:31], s[6:7], 1
	v_lshlrev_b64_e32 v[12:13], 1, v[0:1]
	s_wait_alu 0xfffe
	v_add_co_u32 v8, vcc_lo, v8, s30
	s_wait_alu 0xfffd
	v_add_co_ci_u32_e64 v9, null, s31, v9, vcc_lo
	s_delay_alu instid0(VALU_DEP_2) | instskip(SKIP_1) | instid1(VALU_DEP_2)
	v_add_co_u32 v8, vcc_lo, v8, v12
	s_wait_alu 0xfffd
	v_add_co_ci_u32_e64 v9, null, v9, v13, vcc_lo
	s_and_saveexec_b32 s27, s3
	s_cbranch_execz .LBB167_22
; %bb.21:                               ;   in Loop: Header=BB167_4 Depth=1
	v_mul_f16_e32 v12, s38, v25
	flat_store_b16 v[8:9], v12
.LBB167_22:                             ;   in Loop: Header=BB167_4 Depth=1
	s_wait_alu 0xfffe
	s_or_b32 exec_lo, exec_lo, s27
	s_delay_alu instid0(SALU_CYCLE_1)
	s_and_b32 exec_lo, exec_lo, s4
	s_cbranch_execz .LBB167_24
; %bb.23:                               ;   in Loop: Header=BB167_4 Depth=1
	v_lshrrev_b32_e32 v12, 16, v25
	s_delay_alu instid0(VALU_DEP_1)
	v_mul_f16_e32 v12, s38, v12
	flat_store_b16 v[8:9], v12 offset:32
.LBB167_24:                             ;   in Loop: Header=BB167_4 Depth=1
	s_wait_alu 0xfffe
	s_or_b32 exec_lo, exec_lo, s26
	s_cbranch_execnz .LBB167_3
.LBB167_25:                             ;   in Loop: Header=BB167_4 Depth=1
	s_and_saveexec_b32 s26, s2
	s_cbranch_execz .LBB167_2
; %bb.26:                               ;   in Loop: Header=BB167_4 Depth=1
	v_add_co_u32 v6, vcc_lo, v6, s20
	v_lshlrev_b64_e32 v[12:13], 1, v[2:3]
	s_wait_alu 0xfffd
	v_add_co_ci_u32_e64 v7, null, s21, v7, vcc_lo
	s_delay_alu instid0(VALU_DEP_3) | instskip(SKIP_1) | instid1(VALU_DEP_2)
	v_add_co_u32 v8, vcc_lo, v6, v4
	s_wait_alu 0xfffd
	v_add_co_ci_u32_e64 v9, null, v7, v5, vcc_lo
	v_add_co_u32 v10, vcc_lo, v10, v12
	v_lshlrev_b64_e32 v[6:7], 1, v[0:1]
	s_wait_alu 0xfffd
	v_add_co_ci_u32_e64 v11, null, v11, v13, vcc_lo
	s_and_saveexec_b32 s27, s3
	s_cbranch_execnz .LBB167_29
; %bb.27:                               ;   in Loop: Header=BB167_4 Depth=1
	s_wait_alu 0xfffe
	s_or_b32 exec_lo, exec_lo, s27
	s_and_saveexec_b32 s27, s4
	s_cbranch_execnz .LBB167_30
.LBB167_28:                             ;   in Loop: Header=BB167_4 Depth=1
	s_wait_alu 0xfffe
	s_or_b32 exec_lo, exec_lo, s27
	s_delay_alu instid0(SALU_CYCLE_1)
	s_and_b32 exec_lo, exec_lo, s5
	s_cbranch_execz .LBB167_2
	s_branch .LBB167_31
.LBB167_29:                             ;   in Loop: Header=BB167_4 Depth=1
	v_add_co_u32 v12, vcc_lo, v8, v6
	s_wait_alu 0xfffd
	v_add_co_ci_u32_e64 v13, null, v9, v7, vcc_lo
	flat_load_u16 v12, v[12:13]
	s_wait_loadcnt_dscnt 0x0
	v_mul_f16_e32 v27, s39, v12
	v_add_co_u32 v12, vcc_lo, v10, v6
	s_wait_alu 0xfffd
	v_add_co_ci_u32_e64 v13, null, v11, v7, vcc_lo
	s_delay_alu instid0(VALU_DEP_3)
	v_fmac_f16_e32 v27, s38, v26
	flat_store_b16 v[12:13], v27
	s_wait_alu 0xfffe
	s_or_b32 exec_lo, exec_lo, s27
	s_and_saveexec_b32 s27, s4
	s_cbranch_execz .LBB167_28
.LBB167_30:                             ;   in Loop: Header=BB167_4 Depth=1
	v_add_co_u32 v12, vcc_lo, v8, v6
	s_wait_alu 0xfffd
	v_add_co_ci_u32_e64 v13, null, v9, v7, vcc_lo
	flat_load_u16 v12, v[12:13] offset:32
	v_lshrrev_b32_e32 v13, 16, v26
	s_wait_loadcnt_dscnt 0x0
	v_mul_f16_e32 v26, s39, v12
	v_add_co_u32 v12, vcc_lo, v10, v6
	s_delay_alu instid0(VALU_DEP_2)
	v_fmac_f16_e32 v26, s38, v13
	s_wait_alu 0xfffd
	v_add_co_ci_u32_e64 v13, null, v11, v7, vcc_lo
	flat_store_b16 v[12:13], v26 offset:32
	s_wait_alu 0xfffe
	s_or_b32 exec_lo, exec_lo, s27
	s_delay_alu instid0(SALU_CYCLE_1)
	s_and_b32 exec_lo, exec_lo, s5
	s_cbranch_execz .LBB167_2
.LBB167_31:                             ;   in Loop: Header=BB167_4 Depth=1
	v_add_co_u32 v8, vcc_lo, v8, s24
	s_lshl_b64 s[30:31], s[6:7], 1
	s_wait_alu 0xfffd
	v_add_co_ci_u32_e64 v9, null, s25, v9, vcc_lo
	s_wait_alu 0xfffe
	v_add_co_u32 v10, vcc_lo, v10, s30
	s_wait_alu 0xfffd
	v_add_co_ci_u32_e64 v11, null, s31, v11, vcc_lo
	v_add_co_u32 v8, vcc_lo, v8, v6
	s_wait_alu 0xfffd
	v_add_co_ci_u32_e64 v9, null, v9, v7, vcc_lo
	;; [unrolled: 3-line block ×3, first 2 shown]
	s_and_saveexec_b32 s27, s3
	s_cbranch_execz .LBB167_33
; %bb.32:                               ;   in Loop: Header=BB167_4 Depth=1
	flat_load_u16 v10, v[8:9]
	s_wait_loadcnt_dscnt 0x0
	v_mul_f16_e32 v10, s39, v10
	s_delay_alu instid0(VALU_DEP_1)
	v_fmac_f16_e32 v10, s38, v25
	flat_store_b16 v[6:7], v10
.LBB167_33:                             ;   in Loop: Header=BB167_4 Depth=1
	s_wait_alu 0xfffe
	s_or_b32 exec_lo, exec_lo, s27
	s_delay_alu instid0(SALU_CYCLE_1)
	s_and_b32 exec_lo, exec_lo, s4
	s_cbranch_execz .LBB167_2
; %bb.34:                               ;   in Loop: Header=BB167_4 Depth=1
	flat_load_u16 v8, v[8:9] offset:32
	v_lshrrev_b32_e32 v9, 16, v25
	s_wait_loadcnt_dscnt 0x0
	v_mul_f16_e32 v8, s39, v8
	s_delay_alu instid0(VALU_DEP_1)
	v_fmac_f16_e32 v8, s38, v9
	flat_store_b16 v[6:7], v8 offset:32
	s_branch .LBB167_2
.LBB167_35:
	s_endpgm
	.section	.rodata,"a",@progbits
	.p2align	6, 0x0
	.amdhsa_kernel _ZN12_GLOBAL__N_135rocblas_gemm_batched_general_kernelIDF16_Li16ELi16ELi32ELi32ELi8ELi32ELi8ELi8ELi32ELc78ELc84EKPKDF16_S3_KPDF16_EEvlllT_PT11_llS8_llS6_PT12_llPT13_lli
		.amdhsa_group_segment_fixed_size 1024
		.amdhsa_private_segment_fixed_size 0
		.amdhsa_kernarg_size 140
		.amdhsa_user_sgpr_count 2
		.amdhsa_user_sgpr_dispatch_ptr 0
		.amdhsa_user_sgpr_queue_ptr 0
		.amdhsa_user_sgpr_kernarg_segment_ptr 1
		.amdhsa_user_sgpr_dispatch_id 0
		.amdhsa_user_sgpr_private_segment_size 0
		.amdhsa_wavefront_size32 1
		.amdhsa_uses_dynamic_stack 0
		.amdhsa_enable_private_segment 0
		.amdhsa_system_sgpr_workgroup_id_x 1
		.amdhsa_system_sgpr_workgroup_id_y 1
		.amdhsa_system_sgpr_workgroup_id_z 1
		.amdhsa_system_sgpr_workgroup_info 0
		.amdhsa_system_vgpr_workitem_id 1
		.amdhsa_next_free_vgpr 43
		.amdhsa_next_free_sgpr 46
		.amdhsa_reserve_vcc 1
		.amdhsa_float_round_mode_32 0
		.amdhsa_float_round_mode_16_64 0
		.amdhsa_float_denorm_mode_32 3
		.amdhsa_float_denorm_mode_16_64 3
		.amdhsa_fp16_overflow 0
		.amdhsa_workgroup_processor_mode 1
		.amdhsa_memory_ordered 1
		.amdhsa_forward_progress 1
		.amdhsa_inst_pref_size 19
		.amdhsa_round_robin_scheduling 0
		.amdhsa_exception_fp_ieee_invalid_op 0
		.amdhsa_exception_fp_denorm_src 0
		.amdhsa_exception_fp_ieee_div_zero 0
		.amdhsa_exception_fp_ieee_overflow 0
		.amdhsa_exception_fp_ieee_underflow 0
		.amdhsa_exception_fp_ieee_inexact 0
		.amdhsa_exception_int_div_zero 0
	.end_amdhsa_kernel
	.section	.text._ZN12_GLOBAL__N_135rocblas_gemm_batched_general_kernelIDF16_Li16ELi16ELi32ELi32ELi8ELi32ELi8ELi8ELi32ELc78ELc84EKPKDF16_S3_KPDF16_EEvlllT_PT11_llS8_llS6_PT12_llPT13_lli,"axG",@progbits,_ZN12_GLOBAL__N_135rocblas_gemm_batched_general_kernelIDF16_Li16ELi16ELi32ELi32ELi8ELi32ELi8ELi8ELi32ELc78ELc84EKPKDF16_S3_KPDF16_EEvlllT_PT11_llS8_llS6_PT12_llPT13_lli,comdat
.Lfunc_end167:
	.size	_ZN12_GLOBAL__N_135rocblas_gemm_batched_general_kernelIDF16_Li16ELi16ELi32ELi32ELi8ELi32ELi8ELi8ELi32ELc78ELc84EKPKDF16_S3_KPDF16_EEvlllT_PT11_llS8_llS6_PT12_llPT13_lli, .Lfunc_end167-_ZN12_GLOBAL__N_135rocblas_gemm_batched_general_kernelIDF16_Li16ELi16ELi32ELi32ELi8ELi32ELi8ELi8ELi32ELc78ELc84EKPKDF16_S3_KPDF16_EEvlllT_PT11_llS8_llS6_PT12_llPT13_lli
                                        ; -- End function
	.set _ZN12_GLOBAL__N_135rocblas_gemm_batched_general_kernelIDF16_Li16ELi16ELi32ELi32ELi8ELi32ELi8ELi8ELi32ELc78ELc84EKPKDF16_S3_KPDF16_EEvlllT_PT11_llS8_llS6_PT12_llPT13_lli.num_vgpr, 43
	.set _ZN12_GLOBAL__N_135rocblas_gemm_batched_general_kernelIDF16_Li16ELi16ELi32ELi32ELi8ELi32ELi8ELi8ELi32ELc78ELc84EKPKDF16_S3_KPDF16_EEvlllT_PT11_llS8_llS6_PT12_llPT13_lli.num_agpr, 0
	.set _ZN12_GLOBAL__N_135rocblas_gemm_batched_general_kernelIDF16_Li16ELi16ELi32ELi32ELi8ELi32ELi8ELi8ELi32ELc78ELc84EKPKDF16_S3_KPDF16_EEvlllT_PT11_llS8_llS6_PT12_llPT13_lli.numbered_sgpr, 46
	.set _ZN12_GLOBAL__N_135rocblas_gemm_batched_general_kernelIDF16_Li16ELi16ELi32ELi32ELi8ELi32ELi8ELi8ELi32ELc78ELc84EKPKDF16_S3_KPDF16_EEvlllT_PT11_llS8_llS6_PT12_llPT13_lli.num_named_barrier, 0
	.set _ZN12_GLOBAL__N_135rocblas_gemm_batched_general_kernelIDF16_Li16ELi16ELi32ELi32ELi8ELi32ELi8ELi8ELi32ELc78ELc84EKPKDF16_S3_KPDF16_EEvlllT_PT11_llS8_llS6_PT12_llPT13_lli.private_seg_size, 0
	.set _ZN12_GLOBAL__N_135rocblas_gemm_batched_general_kernelIDF16_Li16ELi16ELi32ELi32ELi8ELi32ELi8ELi8ELi32ELc78ELc84EKPKDF16_S3_KPDF16_EEvlllT_PT11_llS8_llS6_PT12_llPT13_lli.uses_vcc, 1
	.set _ZN12_GLOBAL__N_135rocblas_gemm_batched_general_kernelIDF16_Li16ELi16ELi32ELi32ELi8ELi32ELi8ELi8ELi32ELc78ELc84EKPKDF16_S3_KPDF16_EEvlllT_PT11_llS8_llS6_PT12_llPT13_lli.uses_flat_scratch, 0
	.set _ZN12_GLOBAL__N_135rocblas_gemm_batched_general_kernelIDF16_Li16ELi16ELi32ELi32ELi8ELi32ELi8ELi8ELi32ELc78ELc84EKPKDF16_S3_KPDF16_EEvlllT_PT11_llS8_llS6_PT12_llPT13_lli.has_dyn_sized_stack, 0
	.set _ZN12_GLOBAL__N_135rocblas_gemm_batched_general_kernelIDF16_Li16ELi16ELi32ELi32ELi8ELi32ELi8ELi8ELi32ELc78ELc84EKPKDF16_S3_KPDF16_EEvlllT_PT11_llS8_llS6_PT12_llPT13_lli.has_recursion, 0
	.set _ZN12_GLOBAL__N_135rocblas_gemm_batched_general_kernelIDF16_Li16ELi16ELi32ELi32ELi8ELi32ELi8ELi8ELi32ELc78ELc84EKPKDF16_S3_KPDF16_EEvlllT_PT11_llS8_llS6_PT12_llPT13_lli.has_indirect_call, 0
	.section	.AMDGPU.csdata,"",@progbits
; Kernel info:
; codeLenInByte = 2368
; TotalNumSgprs: 48
; NumVgprs: 43
; ScratchSize: 0
; MemoryBound: 0
; FloatMode: 240
; IeeeMode: 1
; LDSByteSize: 1024 bytes/workgroup (compile time only)
; SGPRBlocks: 0
; VGPRBlocks: 5
; NumSGPRsForWavesPerEU: 48
; NumVGPRsForWavesPerEU: 43
; Occupancy: 16
; WaveLimiterHint : 1
; COMPUTE_PGM_RSRC2:SCRATCH_EN: 0
; COMPUTE_PGM_RSRC2:USER_SGPR: 2
; COMPUTE_PGM_RSRC2:TRAP_HANDLER: 0
; COMPUTE_PGM_RSRC2:TGID_X_EN: 1
; COMPUTE_PGM_RSRC2:TGID_Y_EN: 1
; COMPUTE_PGM_RSRC2:TGID_Z_EN: 1
; COMPUTE_PGM_RSRC2:TIDIG_COMP_CNT: 1
	.section	.text._ZN12_GLOBAL__N_135rocblas_gemm_batched_general_kernelIDF16_Li16ELi16ELi32ELi32ELi8ELi32ELi8ELi8ELi32ELc84ELc84EKPKDF16_S3_KPDF16_EEvlllT_PT11_llS8_llS6_PT12_llPT13_lli,"axG",@progbits,_ZN12_GLOBAL__N_135rocblas_gemm_batched_general_kernelIDF16_Li16ELi16ELi32ELi32ELi8ELi32ELi8ELi8ELi32ELc84ELc84EKPKDF16_S3_KPDF16_EEvlllT_PT11_llS8_llS6_PT12_llPT13_lli,comdat
	.globl	_ZN12_GLOBAL__N_135rocblas_gemm_batched_general_kernelIDF16_Li16ELi16ELi32ELi32ELi8ELi32ELi8ELi8ELi32ELc84ELc84EKPKDF16_S3_KPDF16_EEvlllT_PT11_llS8_llS6_PT12_llPT13_lli ; -- Begin function _ZN12_GLOBAL__N_135rocblas_gemm_batched_general_kernelIDF16_Li16ELi16ELi32ELi32ELi8ELi32ELi8ELi8ELi32ELc84ELc84EKPKDF16_S3_KPDF16_EEvlllT_PT11_llS8_llS6_PT12_llPT13_lli
	.p2align	8
	.type	_ZN12_GLOBAL__N_135rocblas_gemm_batched_general_kernelIDF16_Li16ELi16ELi32ELi32ELi8ELi32ELi8ELi8ELi32ELc84ELc84EKPKDF16_S3_KPDF16_EEvlllT_PT11_llS8_llS6_PT12_llPT13_lli,@function
_ZN12_GLOBAL__N_135rocblas_gemm_batched_general_kernelIDF16_Li16ELi16ELi32ELi32ELi8ELi32ELi8ELi8ELi32ELc84ELc84EKPKDF16_S3_KPDF16_EEvlllT_PT11_llS8_llS6_PT12_llPT13_lli: ; @_ZN12_GLOBAL__N_135rocblas_gemm_batched_general_kernelIDF16_Li16ELi16ELi32ELi32ELi8ELi32ELi8ELi8ELi32ELc84ELc84EKPKDF16_S3_KPDF16_EEvlllT_PT11_llS8_llS6_PT12_llPT13_lli
; %bb.0:
	s_load_b32 s33, s[0:1], 0x88
	s_lshr_b32 s34, ttmp7, 16
	s_wait_kmcnt 0x0
	s_cmp_ge_i32 s34, s33
	s_cbranch_scc1 .LBB168_35
; %bb.1:
	s_clause 0x5
	s_load_b128 s[4:7], s[0:1], 0x0
	s_load_b96 s[36:38], s[0:1], 0x10
	s_load_b256 s[8:15], s[0:1], 0x20
	s_load_b128 s[28:31], s[0:1], 0x40
	s_load_b32 s39, s[0:1], 0x50
	s_load_b128 s[24:27], s[0:1], 0x78
	s_mov_b32 s2, ttmp9
	s_ashr_i32 s3, ttmp9, 31
	v_bfe_u32 v2, v0, 10, 10
	s_lshl_b64 s[42:43], s[2:3], 5
	s_delay_alu instid0(SALU_CYCLE_1) | instskip(SKIP_3) | instid1(VALU_DEP_2)
	v_dual_mov_b32 v5, s43 :: v_dual_and_b32 v14, 7, v0
	v_dual_mov_b32 v16, 0 :: v_dual_and_b32 v3, 0x3ff, v0
	s_load_b256 s[16:23], s[0:1], 0x58
	s_and_b32 s41, ttmp7, 0xffff
	v_lshlrev_b32_e32 v8, 1, v14
	s_lshl_b32 s2, s41, 5
	s_mov_b32 s35, 0
	s_wait_kmcnt 0x0
	v_mad_co_u64_u32 v[9:10], null, s28, v14, 0
	v_lshlrev_b32_e32 v7, 4, v2
	s_cmp_eq_f16 s39, 0
	s_delay_alu instid0(VALU_DEP_1) | instskip(SKIP_3) | instid1(VALU_DEP_2)
	v_add_nc_u32_e32 v1, v7, v3
	v_add_nc_u32_e32 v20, 0x200, v7
	s_cselect_b32 s40, -1, 0
	s_lshl_b64 s[30:31], s[30:31], 1
	v_and_b32_e32 v0, 31, v1
	v_lshrrev_b32_e32 v13, 3, v1
	v_lshrrev_b32_e32 v15, 5, v1
	s_delay_alu instid0(VALU_DEP_3) | instskip(SKIP_1) | instid1(VALU_DEP_4)
	v_or_b32_e32 v4, s42, v0
	v_lshlrev_b32_e32 v6, 1, v0
	v_add_co_u32 v0, s0, v13, s2
	s_delay_alu instid0(VALU_DEP_1) | instskip(SKIP_3) | instid1(VALU_DEP_4)
	v_add_co_ci_u32_e64 v1, null, 0, 0, s0
	v_lshl_or_b32 v8, v13, 4, v8
	v_cmp_gt_i64_e64 s0, s[4:5], v[4:5]
	v_add_co_u32 v5, s2, s2, v2
	v_cmp_gt_i64_e64 s1, s[6:7], v[0:1]
	s_delay_alu instid0(VALU_DEP_4) | instskip(SKIP_1) | instid1(VALU_DEP_4)
	v_add_nc_u32_e32 v18, 0x200, v8
	v_add_co_u32 v2, s3, s42, v3
	v_mad_co_u64_u32 v[0:1], null, v5, s24, 0
	v_mad_co_u64_u32 v[7:8], null, v5, s18, 0
	v_lshl_or_b32 v17, v15, 6, v6
	s_wait_alu 0xf1ff
	v_add_co_ci_u32_e64 v6, null, 0, 0, s2
	v_add_co_u32 v11, vcc_lo, v2, 16
	v_mad_co_u64_u32 v[21:22], null, v5, s25, v[1:2]
	v_dual_mov_b32 v1, v8 :: v_dual_mov_b32 v8, v10
	s_delay_alu instid0(VALU_DEP_4) | instskip(NEXT) | instid1(VALU_DEP_2)
	v_cmp_gt_i64_e64 s2, s[6:7], v[5:6]
	v_mad_co_u64_u32 v[24:25], null, s29, v14, v[8:9]
	v_lshlrev_b32_e32 v19, 1, v3
	v_add_co_ci_u32_e64 v3, null, s43, 0, s3
	s_delay_alu instid0(VALU_DEP_1)
	v_add_co_ci_u32_e64 v12, null, 0, v3, vcc_lo
	v_add_co_u32 v22, vcc_lo, v5, 16
	s_wait_alu 0xfffd
	v_add_co_ci_u32_e64 v23, null, 0, v6, vcc_lo
	v_mad_co_u64_u32 v[5:6], null, v5, s19, v[1:2]
	v_mul_lo_u32 v6, s11, v4
	v_mov_b32_e32 v10, v24
	v_cmp_gt_i64_e64 s3, s[4:5], v[2:3]
	v_cmp_gt_i64_e64 s4, s[4:5], v[11:12]
	;; [unrolled: 1-line block ×3, first 2 shown]
	s_lshl_b64 s[6:7], s[24:25], 4
	v_mov_b32_e32 v8, v5
	v_mad_co_u64_u32 v[4:5], null, s10, v4, 0
	v_lshlrev_b64_e32 v[9:10], 1, v[9:10]
	s_mul_i32 s10, s10, s43
	s_lshl_b64 s[24:25], s[18:19], 4
	s_lshl_b32 s18, s41, 6
	s_mov_b32 s19, s35
	v_lshlrev_b32_e32 v11, 1, v13
	s_wait_alu 0xfffe
	v_add3_u32 v5, v5, s10, v6
	s_add_nc_u64 s[18:19], s[30:31], s[18:19]
	v_mov_b32_e32 v1, v21
	s_wait_alu 0xfffe
	v_add_co_u32 v6, vcc_lo, s18, v9
	v_lshlrev_b64_e32 v[4:5], 1, v[4:5]
	s_wait_alu 0xfffd
	v_add_co_ci_u32_e64 v9, null, s19, v10, vcc_lo
	s_delay_alu instid0(VALU_DEP_3)
	v_add_co_u32 v21, vcc_lo, v6, v11
	s_lshl_b64 s[10:11], s[12:13], 1
	s_wait_alu 0xfffd
	v_add_co_ci_u32_e64 v22, null, 0, v9, vcc_lo
	v_lshlrev_b32_e32 v6, 1, v15
	s_wait_alu 0xfffe
	v_add_co_u32 v4, vcc_lo, v4, s10
	s_wait_alu 0xfffd
	v_add_co_ci_u32_e64 v5, null, s11, v5, vcc_lo
	s_lshl_b64 s[10:11], s[28:29], 4
	v_add_co_u32 v23, vcc_lo, v4, v6
	s_wait_alu 0xfffd
	v_add_co_ci_u32_e64 v24, null, 0, v5, vcc_lo
	v_lshlrev_b64_e32 v[4:5], 1, v[7:8]
	v_cmp_gt_i64_e64 s28, s[36:37], 0
	s_lshl_b64 s[12:13], s[26:27], 1
	s_lshl_b64 s[18:19], s[20:21], 1
	;; [unrolled: 1-line block ×3, first 2 shown]
	s_branch .LBB168_4
.LBB168_2:                              ;   in Loop: Header=BB168_4 Depth=1
	s_wait_alu 0xfffe
	s_or_b32 exec_lo, exec_lo, s24
.LBB168_3:                              ;   in Loop: Header=BB168_4 Depth=1
	s_add_co_i32 s34, s34, 0x10000
	s_delay_alu instid0(SALU_CYCLE_1)
	s_cmp_lt_i32 s34, s33
	s_cbranch_scc0 .LBB168_35
.LBB168_4:                              ; =>This Loop Header: Depth=1
                                        ;     Child Loop BB168_7 Depth 2
	s_lshl_b64 s[24:25], s[34:35], 3
	s_and_not1_b32 vcc_lo, exec_lo, s28
	s_wait_alu 0xfffe
	s_add_nc_u64 s[26:27], s[16:17], s[24:25]
	s_add_nc_u64 s[30:31], s[22:23], s[24:25]
	s_clause 0x1
	global_load_b64 v[6:7], v16, s[26:27]
	global_load_b64 v[8:9], v16, s[30:31]
	s_cbranch_vccnz .LBB168_11
; %bb.5:                                ;   in Loop: Header=BB168_4 Depth=1
	s_add_nc_u64 s[26:27], s[14:15], s[24:25]
	s_add_nc_u64 s[24:25], s[8:9], s[24:25]
	s_clause 0x1
	global_load_b64 v[10:11], v16, s[26:27]
	global_load_b64 v[12:13], v16, s[24:25]
	v_dual_mov_b32 v26, 0 :: v_dual_mov_b32 v25, 0
	s_mov_b64 s[24:25], 0
	s_wait_loadcnt 0x1
	v_add_co_u32 v10, vcc_lo, v10, v21
	s_wait_alu 0xfffd
	v_add_co_ci_u32_e64 v11, null, v11, v22, vcc_lo
	s_wait_loadcnt 0x0
	v_add_co_u32 v12, vcc_lo, v12, v23
	s_wait_alu 0xfffd
	v_add_co_ci_u32_e64 v13, null, v13, v24, vcc_lo
	s_branch .LBB168_7
.LBB168_6:                              ;   in Loop: Header=BB168_7 Depth=2
	s_wait_alu 0xfffe
	s_or_b32 exec_lo, exec_lo, s26
	s_wait_loadcnt_dscnt 0x0
	ds_store_b16 v18, v28
	s_wait_dscnt 0x0
	s_barrier_signal -1
	s_barrier_wait -1
	global_inv scope:SCOPE_SE
	ds_load_u16 v35, v19
	ds_load_u16 v36, v19 offset:64
	ds_load_u16 v37, v19 offset:128
	;; [unrolled: 1-line block ×7, first 2 shown]
	s_add_nc_u64 s[24:25], s[24:25], 8
	v_add_co_u32 v10, vcc_lo, v10, s10
	s_wait_alu 0xfffe
	v_cmp_lt_i64_e64 s26, s[24:25], s[36:37]
	s_wait_alu 0xfffd
	v_add_co_ci_u32_e64 v11, null, s11, v11, vcc_lo
	v_add_co_u32 v12, vcc_lo, v12, 16
	s_wait_alu 0xfffd
	v_add_co_ci_u32_e64 v13, null, 0, v13, vcc_lo
	s_and_b32 vcc_lo, exec_lo, s26
	s_wait_dscnt 0x7
	ds_load_u16_d16_hi v35, v19 offset:32
	ds_load_b128 v[27:30], v20
	ds_load_b128 v[31:34], v20 offset:256
	s_wait_dscnt 0x9
	ds_load_u16_d16_hi v36, v19 offset:96
	s_wait_dscnt 0x9
	ds_load_u16_d16_hi v37, v19 offset:160
	;; [unrolled: 2-line block ×7, first 2 shown]
	s_wait_loadcnt_dscnt 0x0
	s_barrier_signal -1
	s_barrier_wait -1
	global_inv scope:SCOPE_SE
	v_pk_fma_f16 v26, v35, v27, v26 op_sel_hi:[1,0,1]
	v_pk_fma_f16 v25, v35, v31, v25 op_sel_hi:[1,0,1]
	s_delay_alu instid0(VALU_DEP_2) | instskip(NEXT) | instid1(VALU_DEP_2)
	v_pk_fma_f16 v26, v36, v27, v26 op_sel:[0,1,0]
	v_pk_fma_f16 v25, v36, v31, v25 op_sel:[0,1,0]
	s_delay_alu instid0(VALU_DEP_2) | instskip(NEXT) | instid1(VALU_DEP_2)
	v_pk_fma_f16 v26, v37, v28, v26 op_sel_hi:[1,0,1]
	v_pk_fma_f16 v25, v37, v32, v25 op_sel_hi:[1,0,1]
	s_delay_alu instid0(VALU_DEP_2) | instskip(NEXT) | instid1(VALU_DEP_2)
	v_pk_fma_f16 v26, v38, v28, v26 op_sel:[0,1,0]
	v_pk_fma_f16 v25, v38, v32, v25 op_sel:[0,1,0]
	s_delay_alu instid0(VALU_DEP_2) | instskip(NEXT) | instid1(VALU_DEP_2)
	v_pk_fma_f16 v26, v39, v29, v26 op_sel_hi:[1,0,1]
	v_pk_fma_f16 v25, v39, v33, v25 op_sel_hi:[1,0,1]
	s_delay_alu instid0(VALU_DEP_2) | instskip(NEXT) | instid1(VALU_DEP_2)
	v_pk_fma_f16 v26, v40, v29, v26 op_sel:[0,1,0]
	v_pk_fma_f16 v25, v40, v33, v25 op_sel:[0,1,0]
	s_delay_alu instid0(VALU_DEP_2) | instskip(NEXT) | instid1(VALU_DEP_2)
	v_pk_fma_f16 v26, v41, v30, v26 op_sel_hi:[1,0,1]
	v_pk_fma_f16 v25, v41, v34, v25 op_sel_hi:[1,0,1]
	s_delay_alu instid0(VALU_DEP_2) | instskip(NEXT) | instid1(VALU_DEP_2)
	v_pk_fma_f16 v26, v42, v30, v26 op_sel:[0,1,0]
	v_pk_fma_f16 v25, v42, v34, v25 op_sel:[0,1,0]
	s_wait_alu 0xfffe
	s_cbranch_vccz .LBB168_12
.LBB168_7:                              ;   Parent Loop BB168_4 Depth=1
                                        ; =>  This Inner Loop Header: Depth=2
	s_wait_alu 0xfffe
	v_add_co_u32 v27, s26, v15, s24
	s_wait_alu 0xf1ff
	v_add_co_ci_u32_e64 v28, null, 0, s25, s26
	s_delay_alu instid0(VALU_DEP_1)
	v_cmp_gt_i64_e32 vcc_lo, s[36:37], v[27:28]
	v_mov_b32_e32 v27, 0
	s_and_b32 s27, s0, vcc_lo
	s_wait_alu 0xfffe
	s_and_saveexec_b32 s26, s27
	s_cbranch_execz .LBB168_9
; %bb.8:                                ;   in Loop: Header=BB168_7 Depth=2
	flat_load_u16 v27, v[12:13]
.LBB168_9:                              ;   in Loop: Header=BB168_7 Depth=2
	s_wait_alu 0xfffe
	s_or_b32 exec_lo, exec_lo, s26
	v_add_co_u32 v28, s26, v14, s24
	s_wait_alu 0xf1ff
	v_add_co_ci_u32_e64 v29, null, 0, s25, s26
	s_wait_loadcnt_dscnt 0x0
	ds_store_b16 v17, v27
	v_cmp_gt_i64_e32 vcc_lo, s[36:37], v[28:29]
	v_mov_b32_e32 v28, 0
	s_and_b32 s27, vcc_lo, s1
	s_wait_alu 0xfffe
	s_and_saveexec_b32 s26, s27
	s_cbranch_execz .LBB168_6
; %bb.10:                               ;   in Loop: Header=BB168_7 Depth=2
	flat_load_u16 v28, v[10:11]
	s_branch .LBB168_6
.LBB168_11:                             ;   in Loop: Header=BB168_4 Depth=1
	v_dual_mov_b32 v26, 0 :: v_dual_mov_b32 v25, 0
.LBB168_12:                             ;   in Loop: Header=BB168_4 Depth=1
	s_wait_loadcnt 0x0
	v_add_co_u32 v10, vcc_lo, v8, s12
	s_wait_alu 0xfffd
	v_add_co_ci_u32_e64 v11, null, s13, v9, vcc_lo
	s_and_not1_b32 vcc_lo, exec_lo, s40
	s_wait_alu 0xfffe
	s_cbranch_vccnz .LBB168_17
; %bb.13:                               ;   in Loop: Header=BB168_4 Depth=1
	s_and_saveexec_b32 s24, s2
	s_cbranch_execz .LBB168_24
; %bb.14:                               ;   in Loop: Header=BB168_4 Depth=1
	v_lshlrev_b64_e32 v[8:9], 1, v[0:1]
	s_delay_alu instid0(VALU_DEP_1) | instskip(SKIP_1) | instid1(VALU_DEP_2)
	v_add_co_u32 v8, vcc_lo, v10, v8
	s_wait_alu 0xfffd
	v_add_co_ci_u32_e64 v9, null, v11, v9, vcc_lo
	s_and_saveexec_b32 s25, s3
	s_cbranch_execnz .LBB168_18
; %bb.15:                               ;   in Loop: Header=BB168_4 Depth=1
	s_wait_alu 0xfffe
	s_or_b32 exec_lo, exec_lo, s25
	s_and_saveexec_b32 s25, s4
	s_cbranch_execnz .LBB168_19
.LBB168_16:                             ;   in Loop: Header=BB168_4 Depth=1
	s_wait_alu 0xfffe
	s_or_b32 exec_lo, exec_lo, s25
	s_delay_alu instid0(SALU_CYCLE_1)
	s_and_b32 exec_lo, exec_lo, s5
	s_cbranch_execnz .LBB168_20
	s_branch .LBB168_24
.LBB168_17:                             ;   in Loop: Header=BB168_4 Depth=1
	s_branch .LBB168_25
.LBB168_18:                             ;   in Loop: Header=BB168_4 Depth=1
	v_lshlrev_b64_e32 v[12:13], 1, v[2:3]
	v_mul_f16_e32 v27, s38, v26
	s_delay_alu instid0(VALU_DEP_2) | instskip(SKIP_1) | instid1(VALU_DEP_3)
	v_add_co_u32 v12, vcc_lo, v8, v12
	s_wait_alu 0xfffd
	v_add_co_ci_u32_e64 v13, null, v9, v13, vcc_lo
	flat_store_b16 v[12:13], v27
	s_wait_alu 0xfffe
	s_or_b32 exec_lo, exec_lo, s25
	s_and_saveexec_b32 s25, s4
	s_cbranch_execz .LBB168_16
.LBB168_19:                             ;   in Loop: Header=BB168_4 Depth=1
	v_lshlrev_b64_e32 v[12:13], 1, v[2:3]
	v_lshrrev_b32_e32 v27, 16, v26
	s_delay_alu instid0(VALU_DEP_1) | instskip(NEXT) | instid1(VALU_DEP_3)
	v_mul_f16_e32 v27, s38, v27
	v_add_co_u32 v12, vcc_lo, v8, v12
	s_wait_alu 0xfffd
	s_delay_alu instid0(VALU_DEP_4) | instskip(SKIP_3) | instid1(SALU_CYCLE_1)
	v_add_co_ci_u32_e64 v13, null, v9, v13, vcc_lo
	flat_store_b16 v[12:13], v27 offset:32
	s_wait_alu 0xfffe
	s_or_b32 exec_lo, exec_lo, s25
	s_and_b32 exec_lo, exec_lo, s5
	s_cbranch_execz .LBB168_24
.LBB168_20:                             ;   in Loop: Header=BB168_4 Depth=1
	s_lshl_b64 s[26:27], s[6:7], 1
	v_lshlrev_b64_e32 v[12:13], 1, v[2:3]
	s_wait_alu 0xfffe
	v_add_co_u32 v8, vcc_lo, v8, s26
	s_wait_alu 0xfffd
	v_add_co_ci_u32_e64 v9, null, s27, v9, vcc_lo
	s_delay_alu instid0(VALU_DEP_2) | instskip(SKIP_1) | instid1(VALU_DEP_2)
	v_add_co_u32 v8, vcc_lo, v8, v12
	s_wait_alu 0xfffd
	v_add_co_ci_u32_e64 v9, null, v9, v13, vcc_lo
	s_and_saveexec_b32 s25, s3
	s_cbranch_execz .LBB168_22
; %bb.21:                               ;   in Loop: Header=BB168_4 Depth=1
	v_mul_f16_e32 v12, s38, v25
	flat_store_b16 v[8:9], v12
.LBB168_22:                             ;   in Loop: Header=BB168_4 Depth=1
	s_wait_alu 0xfffe
	s_or_b32 exec_lo, exec_lo, s25
	s_delay_alu instid0(SALU_CYCLE_1)
	s_and_b32 exec_lo, exec_lo, s4
	s_cbranch_execz .LBB168_24
; %bb.23:                               ;   in Loop: Header=BB168_4 Depth=1
	v_lshrrev_b32_e32 v12, 16, v25
	s_delay_alu instid0(VALU_DEP_1)
	v_mul_f16_e32 v12, s38, v12
	flat_store_b16 v[8:9], v12 offset:32
.LBB168_24:                             ;   in Loop: Header=BB168_4 Depth=1
	s_wait_alu 0xfffe
	s_or_b32 exec_lo, exec_lo, s24
	s_cbranch_execnz .LBB168_3
.LBB168_25:                             ;   in Loop: Header=BB168_4 Depth=1
	s_and_saveexec_b32 s24, s2
	s_cbranch_execz .LBB168_2
; %bb.26:                               ;   in Loop: Header=BB168_4 Depth=1
	v_add_co_u32 v6, vcc_lo, v6, s18
	v_lshlrev_b64_e32 v[12:13], 1, v[0:1]
	s_wait_alu 0xfffd
	v_add_co_ci_u32_e64 v7, null, s19, v7, vcc_lo
	s_delay_alu instid0(VALU_DEP_3) | instskip(SKIP_1) | instid1(VALU_DEP_2)
	v_add_co_u32 v8, vcc_lo, v6, v4
	s_wait_alu 0xfffd
	v_add_co_ci_u32_e64 v9, null, v7, v5, vcc_lo
	v_add_co_u32 v10, vcc_lo, v10, v12
	v_lshlrev_b64_e32 v[6:7], 1, v[2:3]
	s_wait_alu 0xfffd
	v_add_co_ci_u32_e64 v11, null, v11, v13, vcc_lo
	s_and_saveexec_b32 s25, s3
	s_cbranch_execnz .LBB168_29
; %bb.27:                               ;   in Loop: Header=BB168_4 Depth=1
	s_wait_alu 0xfffe
	s_or_b32 exec_lo, exec_lo, s25
	s_and_saveexec_b32 s25, s4
	s_cbranch_execnz .LBB168_30
.LBB168_28:                             ;   in Loop: Header=BB168_4 Depth=1
	s_wait_alu 0xfffe
	s_or_b32 exec_lo, exec_lo, s25
	s_delay_alu instid0(SALU_CYCLE_1)
	s_and_b32 exec_lo, exec_lo, s5
	s_cbranch_execz .LBB168_2
	s_branch .LBB168_31
.LBB168_29:                             ;   in Loop: Header=BB168_4 Depth=1
	v_add_co_u32 v12, vcc_lo, v8, v6
	s_wait_alu 0xfffd
	v_add_co_ci_u32_e64 v13, null, v9, v7, vcc_lo
	flat_load_u16 v12, v[12:13]
	s_wait_loadcnt_dscnt 0x0
	v_mul_f16_e32 v27, s39, v12
	v_add_co_u32 v12, vcc_lo, v10, v6
	s_wait_alu 0xfffd
	v_add_co_ci_u32_e64 v13, null, v11, v7, vcc_lo
	s_delay_alu instid0(VALU_DEP_3)
	v_fmac_f16_e32 v27, s38, v26
	flat_store_b16 v[12:13], v27
	s_wait_alu 0xfffe
	s_or_b32 exec_lo, exec_lo, s25
	s_and_saveexec_b32 s25, s4
	s_cbranch_execz .LBB168_28
.LBB168_30:                             ;   in Loop: Header=BB168_4 Depth=1
	v_add_co_u32 v12, vcc_lo, v8, v6
	s_wait_alu 0xfffd
	v_add_co_ci_u32_e64 v13, null, v9, v7, vcc_lo
	flat_load_u16 v12, v[12:13] offset:32
	v_lshrrev_b32_e32 v13, 16, v26
	s_wait_loadcnt_dscnt 0x0
	v_mul_f16_e32 v26, s39, v12
	v_add_co_u32 v12, vcc_lo, v10, v6
	s_delay_alu instid0(VALU_DEP_2)
	v_fmac_f16_e32 v26, s38, v13
	s_wait_alu 0xfffd
	v_add_co_ci_u32_e64 v13, null, v11, v7, vcc_lo
	flat_store_b16 v[12:13], v26 offset:32
	s_wait_alu 0xfffe
	s_or_b32 exec_lo, exec_lo, s25
	s_delay_alu instid0(SALU_CYCLE_1)
	s_and_b32 exec_lo, exec_lo, s5
	s_cbranch_execz .LBB168_2
.LBB168_31:                             ;   in Loop: Header=BB168_4 Depth=1
	v_add_co_u32 v8, vcc_lo, v8, s20
	s_lshl_b64 s[26:27], s[6:7], 1
	s_wait_alu 0xfffd
	v_add_co_ci_u32_e64 v9, null, s21, v9, vcc_lo
	s_wait_alu 0xfffe
	v_add_co_u32 v10, vcc_lo, v10, s26
	s_wait_alu 0xfffd
	v_add_co_ci_u32_e64 v11, null, s27, v11, vcc_lo
	v_add_co_u32 v8, vcc_lo, v8, v6
	s_wait_alu 0xfffd
	v_add_co_ci_u32_e64 v9, null, v9, v7, vcc_lo
	;; [unrolled: 3-line block ×3, first 2 shown]
	s_and_saveexec_b32 s25, s3
	s_cbranch_execz .LBB168_33
; %bb.32:                               ;   in Loop: Header=BB168_4 Depth=1
	flat_load_u16 v10, v[8:9]
	s_wait_loadcnt_dscnt 0x0
	v_mul_f16_e32 v10, s39, v10
	s_delay_alu instid0(VALU_DEP_1)
	v_fmac_f16_e32 v10, s38, v25
	flat_store_b16 v[6:7], v10
.LBB168_33:                             ;   in Loop: Header=BB168_4 Depth=1
	s_wait_alu 0xfffe
	s_or_b32 exec_lo, exec_lo, s25
	s_delay_alu instid0(SALU_CYCLE_1)
	s_and_b32 exec_lo, exec_lo, s4
	s_cbranch_execz .LBB168_2
; %bb.34:                               ;   in Loop: Header=BB168_4 Depth=1
	flat_load_u16 v8, v[8:9] offset:32
	v_lshrrev_b32_e32 v9, 16, v25
	s_wait_loadcnt_dscnt 0x0
	v_mul_f16_e32 v8, s39, v8
	s_delay_alu instid0(VALU_DEP_1)
	v_fmac_f16_e32 v8, s38, v9
	flat_store_b16 v[6:7], v8 offset:32
	s_branch .LBB168_2
.LBB168_35:
	s_endpgm
	.section	.rodata,"a",@progbits
	.p2align	6, 0x0
	.amdhsa_kernel _ZN12_GLOBAL__N_135rocblas_gemm_batched_general_kernelIDF16_Li16ELi16ELi32ELi32ELi8ELi32ELi8ELi8ELi32ELc84ELc84EKPKDF16_S3_KPDF16_EEvlllT_PT11_llS8_llS6_PT12_llPT13_lli
		.amdhsa_group_segment_fixed_size 1024
		.amdhsa_private_segment_fixed_size 0
		.amdhsa_kernarg_size 140
		.amdhsa_user_sgpr_count 2
		.amdhsa_user_sgpr_dispatch_ptr 0
		.amdhsa_user_sgpr_queue_ptr 0
		.amdhsa_user_sgpr_kernarg_segment_ptr 1
		.amdhsa_user_sgpr_dispatch_id 0
		.amdhsa_user_sgpr_private_segment_size 0
		.amdhsa_wavefront_size32 1
		.amdhsa_uses_dynamic_stack 0
		.amdhsa_enable_private_segment 0
		.amdhsa_system_sgpr_workgroup_id_x 1
		.amdhsa_system_sgpr_workgroup_id_y 1
		.amdhsa_system_sgpr_workgroup_id_z 1
		.amdhsa_system_sgpr_workgroup_info 0
		.amdhsa_system_vgpr_workitem_id 1
		.amdhsa_next_free_vgpr 43
		.amdhsa_next_free_sgpr 44
		.amdhsa_reserve_vcc 1
		.amdhsa_float_round_mode_32 0
		.amdhsa_float_round_mode_16_64 0
		.amdhsa_float_denorm_mode_32 3
		.amdhsa_float_denorm_mode_16_64 3
		.amdhsa_fp16_overflow 0
		.amdhsa_workgroup_processor_mode 1
		.amdhsa_memory_ordered 1
		.amdhsa_forward_progress 1
		.amdhsa_inst_pref_size 19
		.amdhsa_round_robin_scheduling 0
		.amdhsa_exception_fp_ieee_invalid_op 0
		.amdhsa_exception_fp_denorm_src 0
		.amdhsa_exception_fp_ieee_div_zero 0
		.amdhsa_exception_fp_ieee_overflow 0
		.amdhsa_exception_fp_ieee_underflow 0
		.amdhsa_exception_fp_ieee_inexact 0
		.amdhsa_exception_int_div_zero 0
	.end_amdhsa_kernel
	.section	.text._ZN12_GLOBAL__N_135rocblas_gemm_batched_general_kernelIDF16_Li16ELi16ELi32ELi32ELi8ELi32ELi8ELi8ELi32ELc84ELc84EKPKDF16_S3_KPDF16_EEvlllT_PT11_llS8_llS6_PT12_llPT13_lli,"axG",@progbits,_ZN12_GLOBAL__N_135rocblas_gemm_batched_general_kernelIDF16_Li16ELi16ELi32ELi32ELi8ELi32ELi8ELi8ELi32ELc84ELc84EKPKDF16_S3_KPDF16_EEvlllT_PT11_llS8_llS6_PT12_llPT13_lli,comdat
.Lfunc_end168:
	.size	_ZN12_GLOBAL__N_135rocblas_gemm_batched_general_kernelIDF16_Li16ELi16ELi32ELi32ELi8ELi32ELi8ELi8ELi32ELc84ELc84EKPKDF16_S3_KPDF16_EEvlllT_PT11_llS8_llS6_PT12_llPT13_lli, .Lfunc_end168-_ZN12_GLOBAL__N_135rocblas_gemm_batched_general_kernelIDF16_Li16ELi16ELi32ELi32ELi8ELi32ELi8ELi8ELi32ELc84ELc84EKPKDF16_S3_KPDF16_EEvlllT_PT11_llS8_llS6_PT12_llPT13_lli
                                        ; -- End function
	.set _ZN12_GLOBAL__N_135rocblas_gemm_batched_general_kernelIDF16_Li16ELi16ELi32ELi32ELi8ELi32ELi8ELi8ELi32ELc84ELc84EKPKDF16_S3_KPDF16_EEvlllT_PT11_llS8_llS6_PT12_llPT13_lli.num_vgpr, 43
	.set _ZN12_GLOBAL__N_135rocblas_gemm_batched_general_kernelIDF16_Li16ELi16ELi32ELi32ELi8ELi32ELi8ELi8ELi32ELc84ELc84EKPKDF16_S3_KPDF16_EEvlllT_PT11_llS8_llS6_PT12_llPT13_lli.num_agpr, 0
	.set _ZN12_GLOBAL__N_135rocblas_gemm_batched_general_kernelIDF16_Li16ELi16ELi32ELi32ELi8ELi32ELi8ELi8ELi32ELc84ELc84EKPKDF16_S3_KPDF16_EEvlllT_PT11_llS8_llS6_PT12_llPT13_lli.numbered_sgpr, 44
	.set _ZN12_GLOBAL__N_135rocblas_gemm_batched_general_kernelIDF16_Li16ELi16ELi32ELi32ELi8ELi32ELi8ELi8ELi32ELc84ELc84EKPKDF16_S3_KPDF16_EEvlllT_PT11_llS8_llS6_PT12_llPT13_lli.num_named_barrier, 0
	.set _ZN12_GLOBAL__N_135rocblas_gemm_batched_general_kernelIDF16_Li16ELi16ELi32ELi32ELi8ELi32ELi8ELi8ELi32ELc84ELc84EKPKDF16_S3_KPDF16_EEvlllT_PT11_llS8_llS6_PT12_llPT13_lli.private_seg_size, 0
	.set _ZN12_GLOBAL__N_135rocblas_gemm_batched_general_kernelIDF16_Li16ELi16ELi32ELi32ELi8ELi32ELi8ELi8ELi32ELc84ELc84EKPKDF16_S3_KPDF16_EEvlllT_PT11_llS8_llS6_PT12_llPT13_lli.uses_vcc, 1
	.set _ZN12_GLOBAL__N_135rocblas_gemm_batched_general_kernelIDF16_Li16ELi16ELi32ELi32ELi8ELi32ELi8ELi8ELi32ELc84ELc84EKPKDF16_S3_KPDF16_EEvlllT_PT11_llS8_llS6_PT12_llPT13_lli.uses_flat_scratch, 0
	.set _ZN12_GLOBAL__N_135rocblas_gemm_batched_general_kernelIDF16_Li16ELi16ELi32ELi32ELi8ELi32ELi8ELi8ELi32ELc84ELc84EKPKDF16_S3_KPDF16_EEvlllT_PT11_llS8_llS6_PT12_llPT13_lli.has_dyn_sized_stack, 0
	.set _ZN12_GLOBAL__N_135rocblas_gemm_batched_general_kernelIDF16_Li16ELi16ELi32ELi32ELi8ELi32ELi8ELi8ELi32ELc84ELc84EKPKDF16_S3_KPDF16_EEvlllT_PT11_llS8_llS6_PT12_llPT13_lli.has_recursion, 0
	.set _ZN12_GLOBAL__N_135rocblas_gemm_batched_general_kernelIDF16_Li16ELi16ELi32ELi32ELi8ELi32ELi8ELi8ELi32ELc84ELc84EKPKDF16_S3_KPDF16_EEvlllT_PT11_llS8_llS6_PT12_llPT13_lli.has_indirect_call, 0
	.section	.AMDGPU.csdata,"",@progbits
; Kernel info:
; codeLenInByte = 2376
; TotalNumSgprs: 46
; NumVgprs: 43
; ScratchSize: 0
; MemoryBound: 0
; FloatMode: 240
; IeeeMode: 1
; LDSByteSize: 1024 bytes/workgroup (compile time only)
; SGPRBlocks: 0
; VGPRBlocks: 5
; NumSGPRsForWavesPerEU: 46
; NumVGPRsForWavesPerEU: 43
; Occupancy: 16
; WaveLimiterHint : 1
; COMPUTE_PGM_RSRC2:SCRATCH_EN: 0
; COMPUTE_PGM_RSRC2:USER_SGPR: 2
; COMPUTE_PGM_RSRC2:TRAP_HANDLER: 0
; COMPUTE_PGM_RSRC2:TGID_X_EN: 1
; COMPUTE_PGM_RSRC2:TGID_Y_EN: 1
; COMPUTE_PGM_RSRC2:TGID_Z_EN: 1
; COMPUTE_PGM_RSRC2:TIDIG_COMP_CNT: 1
	.section	.text._ZN12_GLOBAL__N_135rocblas_gemm_batched_general_kernelIDF16_Li16ELi16ELi32ELi32ELi8ELi32ELi8ELi8ELi32ELc67ELc67EKPKDF16_S3_KPDF16_EEvlllT_PT11_llS8_llS6_PT12_llPT13_lli,"axG",@progbits,_ZN12_GLOBAL__N_135rocblas_gemm_batched_general_kernelIDF16_Li16ELi16ELi32ELi32ELi8ELi32ELi8ELi8ELi32ELc67ELc67EKPKDF16_S3_KPDF16_EEvlllT_PT11_llS8_llS6_PT12_llPT13_lli,comdat
	.globl	_ZN12_GLOBAL__N_135rocblas_gemm_batched_general_kernelIDF16_Li16ELi16ELi32ELi32ELi8ELi32ELi8ELi8ELi32ELc67ELc67EKPKDF16_S3_KPDF16_EEvlllT_PT11_llS8_llS6_PT12_llPT13_lli ; -- Begin function _ZN12_GLOBAL__N_135rocblas_gemm_batched_general_kernelIDF16_Li16ELi16ELi32ELi32ELi8ELi32ELi8ELi8ELi32ELc67ELc67EKPKDF16_S3_KPDF16_EEvlllT_PT11_llS8_llS6_PT12_llPT13_lli
	.p2align	8
	.type	_ZN12_GLOBAL__N_135rocblas_gemm_batched_general_kernelIDF16_Li16ELi16ELi32ELi32ELi8ELi32ELi8ELi8ELi32ELc67ELc67EKPKDF16_S3_KPDF16_EEvlllT_PT11_llS8_llS6_PT12_llPT13_lli,@function
_ZN12_GLOBAL__N_135rocblas_gemm_batched_general_kernelIDF16_Li16ELi16ELi32ELi32ELi8ELi32ELi8ELi8ELi32ELc67ELc67EKPKDF16_S3_KPDF16_EEvlllT_PT11_llS8_llS6_PT12_llPT13_lli: ; @_ZN12_GLOBAL__N_135rocblas_gemm_batched_general_kernelIDF16_Li16ELi16ELi32ELi32ELi8ELi32ELi8ELi8ELi32ELc67ELc67EKPKDF16_S3_KPDF16_EEvlllT_PT11_llS8_llS6_PT12_llPT13_lli
; %bb.0:
	s_load_b32 s33, s[0:1], 0x88
	s_lshr_b32 s34, ttmp7, 16
	s_wait_kmcnt 0x0
	s_cmp_ge_i32 s34, s33
	s_cbranch_scc1 .LBB169_35
; %bb.1:
	s_clause 0x5
	s_load_b128 s[4:7], s[0:1], 0x0
	s_load_b96 s[36:38], s[0:1], 0x10
	s_load_b256 s[8:15], s[0:1], 0x20
	s_load_b128 s[28:31], s[0:1], 0x40
	s_load_b32 s39, s[0:1], 0x50
	s_load_b128 s[24:27], s[0:1], 0x78
	s_mov_b32 s2, ttmp9
	s_ashr_i32 s3, ttmp9, 31
	v_bfe_u32 v2, v0, 10, 10
	s_lshl_b64 s[42:43], s[2:3], 5
	s_delay_alu instid0(SALU_CYCLE_1) | instskip(SKIP_3) | instid1(VALU_DEP_2)
	v_dual_mov_b32 v5, s43 :: v_dual_and_b32 v14, 7, v0
	v_dual_mov_b32 v16, 0 :: v_dual_and_b32 v3, 0x3ff, v0
	s_load_b256 s[16:23], s[0:1], 0x58
	s_and_b32 s41, ttmp7, 0xffff
	v_lshlrev_b32_e32 v8, 1, v14
	s_lshl_b32 s2, s41, 5
	s_mov_b32 s35, 0
	s_wait_kmcnt 0x0
	v_mad_co_u64_u32 v[9:10], null, s28, v14, 0
	v_lshlrev_b32_e32 v7, 4, v2
	s_cmp_eq_f16 s39, 0
	s_delay_alu instid0(VALU_DEP_1) | instskip(SKIP_3) | instid1(VALU_DEP_2)
	v_add_nc_u32_e32 v1, v7, v3
	v_add_nc_u32_e32 v20, 0x200, v7
	s_cselect_b32 s40, -1, 0
	s_lshl_b64 s[30:31], s[30:31], 1
	v_and_b32_e32 v0, 31, v1
	v_lshrrev_b32_e32 v13, 3, v1
	v_lshrrev_b32_e32 v15, 5, v1
	s_delay_alu instid0(VALU_DEP_3) | instskip(SKIP_1) | instid1(VALU_DEP_4)
	v_or_b32_e32 v4, s42, v0
	v_lshlrev_b32_e32 v6, 1, v0
	v_add_co_u32 v0, s0, v13, s2
	s_delay_alu instid0(VALU_DEP_1) | instskip(SKIP_3) | instid1(VALU_DEP_4)
	v_add_co_ci_u32_e64 v1, null, 0, 0, s0
	v_lshl_or_b32 v8, v13, 4, v8
	v_cmp_gt_i64_e64 s0, s[4:5], v[4:5]
	v_add_co_u32 v5, s2, s2, v2
	v_cmp_gt_i64_e64 s1, s[6:7], v[0:1]
	s_delay_alu instid0(VALU_DEP_4) | instskip(SKIP_1) | instid1(VALU_DEP_4)
	v_add_nc_u32_e32 v18, 0x200, v8
	v_add_co_u32 v2, s3, s42, v3
	v_mad_co_u64_u32 v[0:1], null, v5, s24, 0
	v_mad_co_u64_u32 v[7:8], null, v5, s18, 0
	v_lshl_or_b32 v17, v15, 6, v6
	s_wait_alu 0xf1ff
	v_add_co_ci_u32_e64 v6, null, 0, 0, s2
	v_add_co_u32 v11, vcc_lo, v2, 16
	v_mad_co_u64_u32 v[21:22], null, v5, s25, v[1:2]
	v_dual_mov_b32 v1, v8 :: v_dual_mov_b32 v8, v10
	s_delay_alu instid0(VALU_DEP_4) | instskip(NEXT) | instid1(VALU_DEP_2)
	v_cmp_gt_i64_e64 s2, s[6:7], v[5:6]
	v_mad_co_u64_u32 v[24:25], null, s29, v14, v[8:9]
	v_lshlrev_b32_e32 v19, 1, v3
	v_add_co_ci_u32_e64 v3, null, s43, 0, s3
	s_delay_alu instid0(VALU_DEP_1)
	v_add_co_ci_u32_e64 v12, null, 0, v3, vcc_lo
	v_add_co_u32 v22, vcc_lo, v5, 16
	s_wait_alu 0xfffd
	v_add_co_ci_u32_e64 v23, null, 0, v6, vcc_lo
	v_mad_co_u64_u32 v[5:6], null, v5, s19, v[1:2]
	v_mul_lo_u32 v6, s11, v4
	v_mov_b32_e32 v10, v24
	v_cmp_gt_i64_e64 s3, s[4:5], v[2:3]
	v_cmp_gt_i64_e64 s4, s[4:5], v[11:12]
	;; [unrolled: 1-line block ×3, first 2 shown]
	s_lshl_b64 s[6:7], s[24:25], 4
	v_mov_b32_e32 v8, v5
	v_mad_co_u64_u32 v[4:5], null, s10, v4, 0
	v_lshlrev_b64_e32 v[9:10], 1, v[9:10]
	s_mul_i32 s10, s10, s43
	s_lshl_b64 s[24:25], s[18:19], 4
	s_lshl_b32 s18, s41, 6
	s_mov_b32 s19, s35
	v_lshlrev_b32_e32 v11, 1, v13
	s_wait_alu 0xfffe
	v_add3_u32 v5, v5, s10, v6
	s_add_nc_u64 s[18:19], s[30:31], s[18:19]
	v_mov_b32_e32 v1, v21
	s_wait_alu 0xfffe
	v_add_co_u32 v6, vcc_lo, s18, v9
	v_lshlrev_b64_e32 v[4:5], 1, v[4:5]
	s_wait_alu 0xfffd
	v_add_co_ci_u32_e64 v9, null, s19, v10, vcc_lo
	s_delay_alu instid0(VALU_DEP_3)
	v_add_co_u32 v21, vcc_lo, v6, v11
	s_lshl_b64 s[10:11], s[12:13], 1
	s_wait_alu 0xfffd
	v_add_co_ci_u32_e64 v22, null, 0, v9, vcc_lo
	v_lshlrev_b32_e32 v6, 1, v15
	s_wait_alu 0xfffe
	v_add_co_u32 v4, vcc_lo, v4, s10
	s_wait_alu 0xfffd
	v_add_co_ci_u32_e64 v5, null, s11, v5, vcc_lo
	s_lshl_b64 s[10:11], s[28:29], 4
	v_add_co_u32 v23, vcc_lo, v4, v6
	s_wait_alu 0xfffd
	v_add_co_ci_u32_e64 v24, null, 0, v5, vcc_lo
	v_lshlrev_b64_e32 v[4:5], 1, v[7:8]
	v_cmp_gt_i64_e64 s28, s[36:37], 0
	s_lshl_b64 s[12:13], s[26:27], 1
	s_lshl_b64 s[18:19], s[20:21], 1
	;; [unrolled: 1-line block ×3, first 2 shown]
	s_branch .LBB169_4
.LBB169_2:                              ;   in Loop: Header=BB169_4 Depth=1
	s_wait_alu 0xfffe
	s_or_b32 exec_lo, exec_lo, s24
.LBB169_3:                              ;   in Loop: Header=BB169_4 Depth=1
	s_add_co_i32 s34, s34, 0x10000
	s_delay_alu instid0(SALU_CYCLE_1)
	s_cmp_lt_i32 s34, s33
	s_cbranch_scc0 .LBB169_35
.LBB169_4:                              ; =>This Loop Header: Depth=1
                                        ;     Child Loop BB169_7 Depth 2
	s_lshl_b64 s[24:25], s[34:35], 3
	s_and_not1_b32 vcc_lo, exec_lo, s28
	s_wait_alu 0xfffe
	s_add_nc_u64 s[26:27], s[16:17], s[24:25]
	s_add_nc_u64 s[30:31], s[22:23], s[24:25]
	s_clause 0x1
	global_load_b64 v[6:7], v16, s[26:27]
	global_load_b64 v[8:9], v16, s[30:31]
	s_cbranch_vccnz .LBB169_11
; %bb.5:                                ;   in Loop: Header=BB169_4 Depth=1
	s_add_nc_u64 s[26:27], s[14:15], s[24:25]
	s_add_nc_u64 s[24:25], s[8:9], s[24:25]
	s_clause 0x1
	global_load_b64 v[10:11], v16, s[26:27]
	global_load_b64 v[12:13], v16, s[24:25]
	v_dual_mov_b32 v26, 0 :: v_dual_mov_b32 v25, 0
	s_mov_b64 s[24:25], 0
	s_wait_loadcnt 0x1
	v_add_co_u32 v10, vcc_lo, v10, v21
	s_wait_alu 0xfffd
	v_add_co_ci_u32_e64 v11, null, v11, v22, vcc_lo
	s_wait_loadcnt 0x0
	v_add_co_u32 v12, vcc_lo, v12, v23
	s_wait_alu 0xfffd
	v_add_co_ci_u32_e64 v13, null, v13, v24, vcc_lo
	s_branch .LBB169_7
.LBB169_6:                              ;   in Loop: Header=BB169_7 Depth=2
	s_wait_alu 0xfffe
	s_or_b32 exec_lo, exec_lo, s26
	s_wait_loadcnt_dscnt 0x0
	ds_store_b16 v18, v28
	s_wait_dscnt 0x0
	s_barrier_signal -1
	s_barrier_wait -1
	global_inv scope:SCOPE_SE
	ds_load_u16 v35, v19
	ds_load_u16 v36, v19 offset:64
	ds_load_u16 v37, v19 offset:128
	;; [unrolled: 1-line block ×7, first 2 shown]
	s_add_nc_u64 s[24:25], s[24:25], 8
	v_add_co_u32 v10, vcc_lo, v10, s10
	s_wait_alu 0xfffe
	v_cmp_lt_i64_e64 s26, s[24:25], s[36:37]
	s_wait_alu 0xfffd
	v_add_co_ci_u32_e64 v11, null, s11, v11, vcc_lo
	v_add_co_u32 v12, vcc_lo, v12, 16
	s_wait_alu 0xfffd
	v_add_co_ci_u32_e64 v13, null, 0, v13, vcc_lo
	s_and_b32 vcc_lo, exec_lo, s26
	s_wait_dscnt 0x7
	ds_load_u16_d16_hi v35, v19 offset:32
	ds_load_b128 v[27:30], v20
	ds_load_b128 v[31:34], v20 offset:256
	s_wait_dscnt 0x9
	ds_load_u16_d16_hi v36, v19 offset:96
	s_wait_dscnt 0x9
	ds_load_u16_d16_hi v37, v19 offset:160
	;; [unrolled: 2-line block ×7, first 2 shown]
	s_wait_loadcnt_dscnt 0x0
	s_barrier_signal -1
	s_barrier_wait -1
	global_inv scope:SCOPE_SE
	v_pk_fma_f16 v26, v35, v27, v26 op_sel_hi:[1,0,1]
	v_pk_fma_f16 v25, v35, v31, v25 op_sel_hi:[1,0,1]
	s_delay_alu instid0(VALU_DEP_2) | instskip(NEXT) | instid1(VALU_DEP_2)
	v_pk_fma_f16 v26, v36, v27, v26 op_sel:[0,1,0]
	v_pk_fma_f16 v25, v36, v31, v25 op_sel:[0,1,0]
	s_delay_alu instid0(VALU_DEP_2) | instskip(NEXT) | instid1(VALU_DEP_2)
	v_pk_fma_f16 v26, v37, v28, v26 op_sel_hi:[1,0,1]
	v_pk_fma_f16 v25, v37, v32, v25 op_sel_hi:[1,0,1]
	s_delay_alu instid0(VALU_DEP_2) | instskip(NEXT) | instid1(VALU_DEP_2)
	v_pk_fma_f16 v26, v38, v28, v26 op_sel:[0,1,0]
	v_pk_fma_f16 v25, v38, v32, v25 op_sel:[0,1,0]
	s_delay_alu instid0(VALU_DEP_2) | instskip(NEXT) | instid1(VALU_DEP_2)
	;; [unrolled: 6-line block ×3, first 2 shown]
	v_pk_fma_f16 v26, v41, v30, v26 op_sel_hi:[1,0,1]
	v_pk_fma_f16 v25, v41, v34, v25 op_sel_hi:[1,0,1]
	s_delay_alu instid0(VALU_DEP_2) | instskip(NEXT) | instid1(VALU_DEP_2)
	v_pk_fma_f16 v26, v42, v30, v26 op_sel:[0,1,0]
	v_pk_fma_f16 v25, v42, v34, v25 op_sel:[0,1,0]
	s_wait_alu 0xfffe
	s_cbranch_vccz .LBB169_12
.LBB169_7:                              ;   Parent Loop BB169_4 Depth=1
                                        ; =>  This Inner Loop Header: Depth=2
	s_wait_alu 0xfffe
	v_add_co_u32 v27, s26, v15, s24
	s_wait_alu 0xf1ff
	v_add_co_ci_u32_e64 v28, null, 0, s25, s26
	s_delay_alu instid0(VALU_DEP_1)
	v_cmp_gt_i64_e32 vcc_lo, s[36:37], v[27:28]
	v_mov_b32_e32 v27, 0
	s_and_b32 s27, s0, vcc_lo
	s_wait_alu 0xfffe
	s_and_saveexec_b32 s26, s27
	s_cbranch_execz .LBB169_9
; %bb.8:                                ;   in Loop: Header=BB169_7 Depth=2
	flat_load_u16 v27, v[12:13]
.LBB169_9:                              ;   in Loop: Header=BB169_7 Depth=2
	s_wait_alu 0xfffe
	s_or_b32 exec_lo, exec_lo, s26
	v_add_co_u32 v28, s26, v14, s24
	s_wait_alu 0xf1ff
	v_add_co_ci_u32_e64 v29, null, 0, s25, s26
	s_wait_loadcnt_dscnt 0x0
	ds_store_b16 v17, v27
	v_cmp_gt_i64_e32 vcc_lo, s[36:37], v[28:29]
	v_mov_b32_e32 v28, 0
	s_and_b32 s27, vcc_lo, s1
	s_wait_alu 0xfffe
	s_and_saveexec_b32 s26, s27
	s_cbranch_execz .LBB169_6
; %bb.10:                               ;   in Loop: Header=BB169_7 Depth=2
	flat_load_u16 v28, v[10:11]
	s_branch .LBB169_6
.LBB169_11:                             ;   in Loop: Header=BB169_4 Depth=1
	v_dual_mov_b32 v26, 0 :: v_dual_mov_b32 v25, 0
.LBB169_12:                             ;   in Loop: Header=BB169_4 Depth=1
	s_wait_loadcnt 0x0
	v_add_co_u32 v10, vcc_lo, v8, s12
	s_wait_alu 0xfffd
	v_add_co_ci_u32_e64 v11, null, s13, v9, vcc_lo
	s_and_not1_b32 vcc_lo, exec_lo, s40
	s_wait_alu 0xfffe
	s_cbranch_vccnz .LBB169_17
; %bb.13:                               ;   in Loop: Header=BB169_4 Depth=1
	s_and_saveexec_b32 s24, s2
	s_cbranch_execz .LBB169_24
; %bb.14:                               ;   in Loop: Header=BB169_4 Depth=1
	v_lshlrev_b64_e32 v[8:9], 1, v[0:1]
	s_delay_alu instid0(VALU_DEP_1) | instskip(SKIP_1) | instid1(VALU_DEP_2)
	v_add_co_u32 v8, vcc_lo, v10, v8
	s_wait_alu 0xfffd
	v_add_co_ci_u32_e64 v9, null, v11, v9, vcc_lo
	s_and_saveexec_b32 s25, s3
	s_cbranch_execnz .LBB169_18
; %bb.15:                               ;   in Loop: Header=BB169_4 Depth=1
	s_wait_alu 0xfffe
	s_or_b32 exec_lo, exec_lo, s25
	s_and_saveexec_b32 s25, s4
	s_cbranch_execnz .LBB169_19
.LBB169_16:                             ;   in Loop: Header=BB169_4 Depth=1
	s_wait_alu 0xfffe
	s_or_b32 exec_lo, exec_lo, s25
	s_delay_alu instid0(SALU_CYCLE_1)
	s_and_b32 exec_lo, exec_lo, s5
	s_cbranch_execnz .LBB169_20
	s_branch .LBB169_24
.LBB169_17:                             ;   in Loop: Header=BB169_4 Depth=1
	s_branch .LBB169_25
.LBB169_18:                             ;   in Loop: Header=BB169_4 Depth=1
	v_lshlrev_b64_e32 v[12:13], 1, v[2:3]
	v_mul_f16_e32 v27, s38, v26
	s_delay_alu instid0(VALU_DEP_2) | instskip(SKIP_1) | instid1(VALU_DEP_3)
	v_add_co_u32 v12, vcc_lo, v8, v12
	s_wait_alu 0xfffd
	v_add_co_ci_u32_e64 v13, null, v9, v13, vcc_lo
	flat_store_b16 v[12:13], v27
	s_wait_alu 0xfffe
	s_or_b32 exec_lo, exec_lo, s25
	s_and_saveexec_b32 s25, s4
	s_cbranch_execz .LBB169_16
.LBB169_19:                             ;   in Loop: Header=BB169_4 Depth=1
	v_lshlrev_b64_e32 v[12:13], 1, v[2:3]
	v_lshrrev_b32_e32 v27, 16, v26
	s_delay_alu instid0(VALU_DEP_1) | instskip(NEXT) | instid1(VALU_DEP_3)
	v_mul_f16_e32 v27, s38, v27
	v_add_co_u32 v12, vcc_lo, v8, v12
	s_wait_alu 0xfffd
	s_delay_alu instid0(VALU_DEP_4) | instskip(SKIP_3) | instid1(SALU_CYCLE_1)
	v_add_co_ci_u32_e64 v13, null, v9, v13, vcc_lo
	flat_store_b16 v[12:13], v27 offset:32
	s_wait_alu 0xfffe
	s_or_b32 exec_lo, exec_lo, s25
	s_and_b32 exec_lo, exec_lo, s5
	s_cbranch_execz .LBB169_24
.LBB169_20:                             ;   in Loop: Header=BB169_4 Depth=1
	s_lshl_b64 s[26:27], s[6:7], 1
	v_lshlrev_b64_e32 v[12:13], 1, v[2:3]
	s_wait_alu 0xfffe
	v_add_co_u32 v8, vcc_lo, v8, s26
	s_wait_alu 0xfffd
	v_add_co_ci_u32_e64 v9, null, s27, v9, vcc_lo
	s_delay_alu instid0(VALU_DEP_2) | instskip(SKIP_1) | instid1(VALU_DEP_2)
	v_add_co_u32 v8, vcc_lo, v8, v12
	s_wait_alu 0xfffd
	v_add_co_ci_u32_e64 v9, null, v9, v13, vcc_lo
	s_and_saveexec_b32 s25, s3
	s_cbranch_execz .LBB169_22
; %bb.21:                               ;   in Loop: Header=BB169_4 Depth=1
	v_mul_f16_e32 v12, s38, v25
	flat_store_b16 v[8:9], v12
.LBB169_22:                             ;   in Loop: Header=BB169_4 Depth=1
	s_wait_alu 0xfffe
	s_or_b32 exec_lo, exec_lo, s25
	s_delay_alu instid0(SALU_CYCLE_1)
	s_and_b32 exec_lo, exec_lo, s4
	s_cbranch_execz .LBB169_24
; %bb.23:                               ;   in Loop: Header=BB169_4 Depth=1
	v_lshrrev_b32_e32 v12, 16, v25
	s_delay_alu instid0(VALU_DEP_1)
	v_mul_f16_e32 v12, s38, v12
	flat_store_b16 v[8:9], v12 offset:32
.LBB169_24:                             ;   in Loop: Header=BB169_4 Depth=1
	s_wait_alu 0xfffe
	s_or_b32 exec_lo, exec_lo, s24
	s_cbranch_execnz .LBB169_3
.LBB169_25:                             ;   in Loop: Header=BB169_4 Depth=1
	s_and_saveexec_b32 s24, s2
	s_cbranch_execz .LBB169_2
; %bb.26:                               ;   in Loop: Header=BB169_4 Depth=1
	v_add_co_u32 v6, vcc_lo, v6, s18
	v_lshlrev_b64_e32 v[12:13], 1, v[0:1]
	s_wait_alu 0xfffd
	v_add_co_ci_u32_e64 v7, null, s19, v7, vcc_lo
	s_delay_alu instid0(VALU_DEP_3) | instskip(SKIP_1) | instid1(VALU_DEP_2)
	v_add_co_u32 v8, vcc_lo, v6, v4
	s_wait_alu 0xfffd
	v_add_co_ci_u32_e64 v9, null, v7, v5, vcc_lo
	v_add_co_u32 v10, vcc_lo, v10, v12
	v_lshlrev_b64_e32 v[6:7], 1, v[2:3]
	s_wait_alu 0xfffd
	v_add_co_ci_u32_e64 v11, null, v11, v13, vcc_lo
	s_and_saveexec_b32 s25, s3
	s_cbranch_execnz .LBB169_29
; %bb.27:                               ;   in Loop: Header=BB169_4 Depth=1
	s_wait_alu 0xfffe
	s_or_b32 exec_lo, exec_lo, s25
	s_and_saveexec_b32 s25, s4
	s_cbranch_execnz .LBB169_30
.LBB169_28:                             ;   in Loop: Header=BB169_4 Depth=1
	s_wait_alu 0xfffe
	s_or_b32 exec_lo, exec_lo, s25
	s_delay_alu instid0(SALU_CYCLE_1)
	s_and_b32 exec_lo, exec_lo, s5
	s_cbranch_execz .LBB169_2
	s_branch .LBB169_31
.LBB169_29:                             ;   in Loop: Header=BB169_4 Depth=1
	v_add_co_u32 v12, vcc_lo, v8, v6
	s_wait_alu 0xfffd
	v_add_co_ci_u32_e64 v13, null, v9, v7, vcc_lo
	flat_load_u16 v12, v[12:13]
	s_wait_loadcnt_dscnt 0x0
	v_mul_f16_e32 v27, s39, v12
	v_add_co_u32 v12, vcc_lo, v10, v6
	s_wait_alu 0xfffd
	v_add_co_ci_u32_e64 v13, null, v11, v7, vcc_lo
	s_delay_alu instid0(VALU_DEP_3)
	v_fmac_f16_e32 v27, s38, v26
	flat_store_b16 v[12:13], v27
	s_wait_alu 0xfffe
	s_or_b32 exec_lo, exec_lo, s25
	s_and_saveexec_b32 s25, s4
	s_cbranch_execz .LBB169_28
.LBB169_30:                             ;   in Loop: Header=BB169_4 Depth=1
	v_add_co_u32 v12, vcc_lo, v8, v6
	s_wait_alu 0xfffd
	v_add_co_ci_u32_e64 v13, null, v9, v7, vcc_lo
	flat_load_u16 v12, v[12:13] offset:32
	v_lshrrev_b32_e32 v13, 16, v26
	s_wait_loadcnt_dscnt 0x0
	v_mul_f16_e32 v26, s39, v12
	v_add_co_u32 v12, vcc_lo, v10, v6
	s_delay_alu instid0(VALU_DEP_2)
	v_fmac_f16_e32 v26, s38, v13
	s_wait_alu 0xfffd
	v_add_co_ci_u32_e64 v13, null, v11, v7, vcc_lo
	flat_store_b16 v[12:13], v26 offset:32
	s_wait_alu 0xfffe
	s_or_b32 exec_lo, exec_lo, s25
	s_delay_alu instid0(SALU_CYCLE_1)
	s_and_b32 exec_lo, exec_lo, s5
	s_cbranch_execz .LBB169_2
.LBB169_31:                             ;   in Loop: Header=BB169_4 Depth=1
	v_add_co_u32 v8, vcc_lo, v8, s20
	s_lshl_b64 s[26:27], s[6:7], 1
	s_wait_alu 0xfffd
	v_add_co_ci_u32_e64 v9, null, s21, v9, vcc_lo
	s_wait_alu 0xfffe
	v_add_co_u32 v10, vcc_lo, v10, s26
	s_wait_alu 0xfffd
	v_add_co_ci_u32_e64 v11, null, s27, v11, vcc_lo
	v_add_co_u32 v8, vcc_lo, v8, v6
	s_wait_alu 0xfffd
	v_add_co_ci_u32_e64 v9, null, v9, v7, vcc_lo
	;; [unrolled: 3-line block ×3, first 2 shown]
	s_and_saveexec_b32 s25, s3
	s_cbranch_execz .LBB169_33
; %bb.32:                               ;   in Loop: Header=BB169_4 Depth=1
	flat_load_u16 v10, v[8:9]
	s_wait_loadcnt_dscnt 0x0
	v_mul_f16_e32 v10, s39, v10
	s_delay_alu instid0(VALU_DEP_1)
	v_fmac_f16_e32 v10, s38, v25
	flat_store_b16 v[6:7], v10
.LBB169_33:                             ;   in Loop: Header=BB169_4 Depth=1
	s_wait_alu 0xfffe
	s_or_b32 exec_lo, exec_lo, s25
	s_delay_alu instid0(SALU_CYCLE_1)
	s_and_b32 exec_lo, exec_lo, s4
	s_cbranch_execz .LBB169_2
; %bb.34:                               ;   in Loop: Header=BB169_4 Depth=1
	flat_load_u16 v8, v[8:9] offset:32
	v_lshrrev_b32_e32 v9, 16, v25
	s_wait_loadcnt_dscnt 0x0
	v_mul_f16_e32 v8, s39, v8
	s_delay_alu instid0(VALU_DEP_1)
	v_fmac_f16_e32 v8, s38, v9
	flat_store_b16 v[6:7], v8 offset:32
	s_branch .LBB169_2
.LBB169_35:
	s_endpgm
	.section	.rodata,"a",@progbits
	.p2align	6, 0x0
	.amdhsa_kernel _ZN12_GLOBAL__N_135rocblas_gemm_batched_general_kernelIDF16_Li16ELi16ELi32ELi32ELi8ELi32ELi8ELi8ELi32ELc67ELc67EKPKDF16_S3_KPDF16_EEvlllT_PT11_llS8_llS6_PT12_llPT13_lli
		.amdhsa_group_segment_fixed_size 1024
		.amdhsa_private_segment_fixed_size 0
		.amdhsa_kernarg_size 140
		.amdhsa_user_sgpr_count 2
		.amdhsa_user_sgpr_dispatch_ptr 0
		.amdhsa_user_sgpr_queue_ptr 0
		.amdhsa_user_sgpr_kernarg_segment_ptr 1
		.amdhsa_user_sgpr_dispatch_id 0
		.amdhsa_user_sgpr_private_segment_size 0
		.amdhsa_wavefront_size32 1
		.amdhsa_uses_dynamic_stack 0
		.amdhsa_enable_private_segment 0
		.amdhsa_system_sgpr_workgroup_id_x 1
		.amdhsa_system_sgpr_workgroup_id_y 1
		.amdhsa_system_sgpr_workgroup_id_z 1
		.amdhsa_system_sgpr_workgroup_info 0
		.amdhsa_system_vgpr_workitem_id 1
		.amdhsa_next_free_vgpr 43
		.amdhsa_next_free_sgpr 44
		.amdhsa_reserve_vcc 1
		.amdhsa_float_round_mode_32 0
		.amdhsa_float_round_mode_16_64 0
		.amdhsa_float_denorm_mode_32 3
		.amdhsa_float_denorm_mode_16_64 3
		.amdhsa_fp16_overflow 0
		.amdhsa_workgroup_processor_mode 1
		.amdhsa_memory_ordered 1
		.amdhsa_forward_progress 1
		.amdhsa_inst_pref_size 19
		.amdhsa_round_robin_scheduling 0
		.amdhsa_exception_fp_ieee_invalid_op 0
		.amdhsa_exception_fp_denorm_src 0
		.amdhsa_exception_fp_ieee_div_zero 0
		.amdhsa_exception_fp_ieee_overflow 0
		.amdhsa_exception_fp_ieee_underflow 0
		.amdhsa_exception_fp_ieee_inexact 0
		.amdhsa_exception_int_div_zero 0
	.end_amdhsa_kernel
	.section	.text._ZN12_GLOBAL__N_135rocblas_gemm_batched_general_kernelIDF16_Li16ELi16ELi32ELi32ELi8ELi32ELi8ELi8ELi32ELc67ELc67EKPKDF16_S3_KPDF16_EEvlllT_PT11_llS8_llS6_PT12_llPT13_lli,"axG",@progbits,_ZN12_GLOBAL__N_135rocblas_gemm_batched_general_kernelIDF16_Li16ELi16ELi32ELi32ELi8ELi32ELi8ELi8ELi32ELc67ELc67EKPKDF16_S3_KPDF16_EEvlllT_PT11_llS8_llS6_PT12_llPT13_lli,comdat
.Lfunc_end169:
	.size	_ZN12_GLOBAL__N_135rocblas_gemm_batched_general_kernelIDF16_Li16ELi16ELi32ELi32ELi8ELi32ELi8ELi8ELi32ELc67ELc67EKPKDF16_S3_KPDF16_EEvlllT_PT11_llS8_llS6_PT12_llPT13_lli, .Lfunc_end169-_ZN12_GLOBAL__N_135rocblas_gemm_batched_general_kernelIDF16_Li16ELi16ELi32ELi32ELi8ELi32ELi8ELi8ELi32ELc67ELc67EKPKDF16_S3_KPDF16_EEvlllT_PT11_llS8_llS6_PT12_llPT13_lli
                                        ; -- End function
	.set _ZN12_GLOBAL__N_135rocblas_gemm_batched_general_kernelIDF16_Li16ELi16ELi32ELi32ELi8ELi32ELi8ELi8ELi32ELc67ELc67EKPKDF16_S3_KPDF16_EEvlllT_PT11_llS8_llS6_PT12_llPT13_lli.num_vgpr, 43
	.set _ZN12_GLOBAL__N_135rocblas_gemm_batched_general_kernelIDF16_Li16ELi16ELi32ELi32ELi8ELi32ELi8ELi8ELi32ELc67ELc67EKPKDF16_S3_KPDF16_EEvlllT_PT11_llS8_llS6_PT12_llPT13_lli.num_agpr, 0
	.set _ZN12_GLOBAL__N_135rocblas_gemm_batched_general_kernelIDF16_Li16ELi16ELi32ELi32ELi8ELi32ELi8ELi8ELi32ELc67ELc67EKPKDF16_S3_KPDF16_EEvlllT_PT11_llS8_llS6_PT12_llPT13_lli.numbered_sgpr, 44
	.set _ZN12_GLOBAL__N_135rocblas_gemm_batched_general_kernelIDF16_Li16ELi16ELi32ELi32ELi8ELi32ELi8ELi8ELi32ELc67ELc67EKPKDF16_S3_KPDF16_EEvlllT_PT11_llS8_llS6_PT12_llPT13_lli.num_named_barrier, 0
	.set _ZN12_GLOBAL__N_135rocblas_gemm_batched_general_kernelIDF16_Li16ELi16ELi32ELi32ELi8ELi32ELi8ELi8ELi32ELc67ELc67EKPKDF16_S3_KPDF16_EEvlllT_PT11_llS8_llS6_PT12_llPT13_lli.private_seg_size, 0
	.set _ZN12_GLOBAL__N_135rocblas_gemm_batched_general_kernelIDF16_Li16ELi16ELi32ELi32ELi8ELi32ELi8ELi8ELi32ELc67ELc67EKPKDF16_S3_KPDF16_EEvlllT_PT11_llS8_llS6_PT12_llPT13_lli.uses_vcc, 1
	.set _ZN12_GLOBAL__N_135rocblas_gemm_batched_general_kernelIDF16_Li16ELi16ELi32ELi32ELi8ELi32ELi8ELi8ELi32ELc67ELc67EKPKDF16_S3_KPDF16_EEvlllT_PT11_llS8_llS6_PT12_llPT13_lli.uses_flat_scratch, 0
	.set _ZN12_GLOBAL__N_135rocblas_gemm_batched_general_kernelIDF16_Li16ELi16ELi32ELi32ELi8ELi32ELi8ELi8ELi32ELc67ELc67EKPKDF16_S3_KPDF16_EEvlllT_PT11_llS8_llS6_PT12_llPT13_lli.has_dyn_sized_stack, 0
	.set _ZN12_GLOBAL__N_135rocblas_gemm_batched_general_kernelIDF16_Li16ELi16ELi32ELi32ELi8ELi32ELi8ELi8ELi32ELc67ELc67EKPKDF16_S3_KPDF16_EEvlllT_PT11_llS8_llS6_PT12_llPT13_lli.has_recursion, 0
	.set _ZN12_GLOBAL__N_135rocblas_gemm_batched_general_kernelIDF16_Li16ELi16ELi32ELi32ELi8ELi32ELi8ELi8ELi32ELc67ELc67EKPKDF16_S3_KPDF16_EEvlllT_PT11_llS8_llS6_PT12_llPT13_lli.has_indirect_call, 0
	.section	.AMDGPU.csdata,"",@progbits
; Kernel info:
; codeLenInByte = 2376
; TotalNumSgprs: 46
; NumVgprs: 43
; ScratchSize: 0
; MemoryBound: 0
; FloatMode: 240
; IeeeMode: 1
; LDSByteSize: 1024 bytes/workgroup (compile time only)
; SGPRBlocks: 0
; VGPRBlocks: 5
; NumSGPRsForWavesPerEU: 46
; NumVGPRsForWavesPerEU: 43
; Occupancy: 16
; WaveLimiterHint : 1
; COMPUTE_PGM_RSRC2:SCRATCH_EN: 0
; COMPUTE_PGM_RSRC2:USER_SGPR: 2
; COMPUTE_PGM_RSRC2:TRAP_HANDLER: 0
; COMPUTE_PGM_RSRC2:TGID_X_EN: 1
; COMPUTE_PGM_RSRC2:TGID_Y_EN: 1
; COMPUTE_PGM_RSRC2:TGID_Z_EN: 1
; COMPUTE_PGM_RSRC2:TIDIG_COMP_CNT: 1
	.section	.text._ZN12_GLOBAL__N_135rocblas_gemm_batched_general_kernelIDF16_Li16ELi16ELi32ELi32ELi8ELi32ELi8ELi8ELi32ELc67ELc78EKPKDF16_S3_KPDF16_EEvlllT_PT11_llS8_llS6_PT12_llPT13_lli,"axG",@progbits,_ZN12_GLOBAL__N_135rocblas_gemm_batched_general_kernelIDF16_Li16ELi16ELi32ELi32ELi8ELi32ELi8ELi8ELi32ELc67ELc78EKPKDF16_S3_KPDF16_EEvlllT_PT11_llS8_llS6_PT12_llPT13_lli,comdat
	.globl	_ZN12_GLOBAL__N_135rocblas_gemm_batched_general_kernelIDF16_Li16ELi16ELi32ELi32ELi8ELi32ELi8ELi8ELi32ELc67ELc78EKPKDF16_S3_KPDF16_EEvlllT_PT11_llS8_llS6_PT12_llPT13_lli ; -- Begin function _ZN12_GLOBAL__N_135rocblas_gemm_batched_general_kernelIDF16_Li16ELi16ELi32ELi32ELi8ELi32ELi8ELi8ELi32ELc67ELc78EKPKDF16_S3_KPDF16_EEvlllT_PT11_llS8_llS6_PT12_llPT13_lli
	.p2align	8
	.type	_ZN12_GLOBAL__N_135rocblas_gemm_batched_general_kernelIDF16_Li16ELi16ELi32ELi32ELi8ELi32ELi8ELi8ELi32ELc67ELc78EKPKDF16_S3_KPDF16_EEvlllT_PT11_llS8_llS6_PT12_llPT13_lli,@function
_ZN12_GLOBAL__N_135rocblas_gemm_batched_general_kernelIDF16_Li16ELi16ELi32ELi32ELi8ELi32ELi8ELi8ELi32ELc67ELc78EKPKDF16_S3_KPDF16_EEvlllT_PT11_llS8_llS6_PT12_llPT13_lli: ; @_ZN12_GLOBAL__N_135rocblas_gemm_batched_general_kernelIDF16_Li16ELi16ELi32ELi32ELi8ELi32ELi8ELi8ELi32ELc67ELc78EKPKDF16_S3_KPDF16_EEvlllT_PT11_llS8_llS6_PT12_llPT13_lli
; %bb.0:
	s_load_b32 s33, s[0:1], 0x88
	s_lshr_b32 s34, ttmp7, 16
	s_wait_kmcnt 0x0
	s_cmp_ge_i32 s34, s33
	s_cbranch_scc1 .LBB170_35
; %bb.1:
	v_bfe_u32 v1, v0, 10, 10
	s_mov_b32 s2, ttmp9
	s_ashr_i32 s3, ttmp9, 31
	s_clause 0x1
	s_load_b128 s[28:31], s[0:1], 0x0
	s_load_b96 s[36:38], s[0:1], 0x10
	s_lshl_b64 s[40:41], s[2:3], 5
	s_delay_alu instid0(SALU_CYCLE_1)
	v_dual_mov_b32 v5, s41 :: v_dual_and_b32 v2, 0x3ff, v0
	v_dual_mov_b32 v16, 0 :: v_dual_lshlrev_b32 v3, 4, v1
	s_clause 0x4
	s_load_b256 s[16:23], s[0:1], 0x58
	s_load_b256 s[8:15], s[0:1], 0x20
	s_load_b128 s[4:7], s[0:1], 0x40
	s_load_b32 s39, s[0:1], 0x50
	s_load_b128 s[24:27], s[0:1], 0x78
	s_and_b32 s0, ttmp7, 0xffff
	v_add_nc_u32_e32 v4, v3, v2
	s_lshl_b32 s2, s0, 5
	v_lshlrev_b32_e32 v19, 1, v2
	v_add_nc_u32_e32 v20, 0x200, v3
	s_mov_b32 s35, 0
	v_lshrrev_b32_e32 v8, 3, v4
	v_lshrrev_b32_e32 v15, 5, v4
	s_delay_alu instid0(VALU_DEP_2) | instskip(NEXT) | instid1(VALU_DEP_1)
	v_add_co_u32 v6, s0, v8, s2
	v_add_co_ci_u32_e64 v7, null, 0, 0, s0
	s_wait_kmcnt 0x0
	s_delay_alu instid0(VALU_DEP_2) | instskip(NEXT) | instid1(VALU_DEP_2)
	v_mad_co_u64_u32 v[11:12], null, s4, v6, 0
	v_cmp_gt_i64_e64 s1, s[30:31], v[6:7]
	v_add_co_u32 v7, s2, s2, v1
	s_cmp_eq_f16 s39, 0
	v_mad_co_u64_u32 v[25:26], null, v7, s18, 0
	v_and_b32_e32 v14, 7, v0
	v_and_b32_e32 v0, 31, v4
	s_delay_alu instid0(VALU_DEP_2) | instskip(NEXT) | instid1(VALU_DEP_2)
	v_lshlrev_b32_e32 v13, 1, v14
	v_or_b32_e32 v4, s40, v0
	v_lshlrev_b32_e32 v0, 1, v0
	s_delay_alu instid0(VALU_DEP_3) | instskip(NEXT) | instid1(VALU_DEP_3)
	v_lshl_or_b32 v8, v8, 4, v13
	v_cmp_gt_i64_e64 s0, s[28:29], v[4:5]
	s_delay_alu instid0(VALU_DEP_3) | instskip(SKIP_1) | instid1(VALU_DEP_4)
	v_lshl_or_b32 v17, v15, 6, v0
	v_mad_co_u64_u32 v[0:1], null, v7, s24, 0
	v_add_nc_u32_e32 v18, 0x200, v8
	s_wait_alu 0xf1ff
	v_add_co_ci_u32_e64 v8, null, 0, 0, s2
	v_add_co_u32 v2, s2, s40, v2
	s_wait_alu 0xf1ff
	v_add_co_ci_u32_e64 v3, null, s41, 0, s2
	s_delay_alu instid0(VALU_DEP_3) | instskip(NEXT) | instid1(VALU_DEP_3)
	v_cmp_gt_i64_e64 s2, s[30:31], v[7:8]
	v_add_co_u32 v9, vcc_lo, v2, 16
	s_delay_alu instid0(VALU_DEP_1) | instskip(SKIP_3) | instid1(VALU_DEP_3)
	v_add_co_ci_u32_e64 v10, null, 0, v3, vcc_lo
	v_add_co_u32 v21, vcc_lo, v7, 16
	s_wait_alu 0xfffd
	v_add_co_ci_u32_e64 v22, null, 0, v8, vcc_lo
	v_cmp_gt_i64_e64 s4, s[28:29], v[9:10]
	v_mad_co_u64_u32 v[9:10], null, v7, s25, v[1:2]
	v_mov_b32_e32 v1, v12
	v_mul_lo_u32 v8, s11, v4
	v_mad_co_u64_u32 v[23:24], null, s10, v4, 0
	s_mul_i32 s10, s10, s41
	v_mad_co_u64_u32 v[5:6], null, s5, v6, v[1:2]
	v_mov_b32_e32 v1, v26
	s_cselect_b32 s40, -1, 0
	s_lshl_b64 s[6:7], s[6:7], 1
	s_wait_alu 0xfffe
	v_add3_u32 v24, v24, s10, v8
	v_lshlrev_b32_e32 v8, 1, v15
	v_mad_co_u64_u32 v[6:7], null, v7, s19, v[1:2]
	v_mov_b32_e32 v12, v5
	v_cmp_gt_i64_e64 s5, s[30:31], v[21:22]
	v_cmp_gt_i64_e64 s3, s[28:29], v[2:3]
	s_lshl_b64 s[28:29], s[24:25], 4
	v_cmp_gt_i64_e64 s24, s[36:37], 0
	v_lshlrev_b64_e32 v[4:5], 1, v[11:12]
	v_mov_b32_e32 v26, v6
	v_lshlrev_b64_e32 v[6:7], 1, v[23:24]
	v_mov_b32_e32 v1, v9
	s_lshl_b64 s[18:19], s[18:19], 4
	s_lshl_b64 s[10:11], s[20:21], 1
	v_add_co_u32 v4, vcc_lo, v4, s6
	s_wait_alu 0xfffd
	v_add_co_ci_u32_e64 v5, null, s7, v5, vcc_lo
	s_lshl_b64 s[6:7], s[12:13], 1
	s_wait_alu 0xfffe
	s_lshl_b64 s[12:13], s[18:19], 1
	v_add_co_u32 v6, vcc_lo, v6, s6
	s_wait_alu 0xfffd
	v_add_co_ci_u32_e64 v7, null, s7, v7, vcc_lo
	v_add_co_u32 v21, vcc_lo, v4, v13
	s_wait_alu 0xfffd
	v_add_co_ci_u32_e64 v22, null, 0, v5, vcc_lo
	v_add_co_u32 v23, vcc_lo, v6, v8
	v_lshlrev_b64_e32 v[4:5], 1, v[25:26]
	s_wait_alu 0xfffd
	v_add_co_ci_u32_e64 v24, null, 0, v7, vcc_lo
	s_lshl_b64 s[6:7], s[26:27], 1
	s_lshl_b64 s[18:19], s[28:29], 1
	s_branch .LBB170_4
.LBB170_2:                              ;   in Loop: Header=BB170_4 Depth=1
	s_wait_alu 0xfffe
	s_or_b32 exec_lo, exec_lo, s20
.LBB170_3:                              ;   in Loop: Header=BB170_4 Depth=1
	s_add_co_i32 s34, s34, 0x10000
	s_delay_alu instid0(SALU_CYCLE_1)
	s_cmp_lt_i32 s34, s33
	s_cbranch_scc0 .LBB170_35
.LBB170_4:                              ; =>This Loop Header: Depth=1
                                        ;     Child Loop BB170_7 Depth 2
	s_lshl_b64 s[20:21], s[34:35], 3
	s_and_not1_b32 vcc_lo, exec_lo, s24
	s_wait_alu 0xfffe
	s_add_nc_u64 s[26:27], s[16:17], s[20:21]
	s_add_nc_u64 s[28:29], s[22:23], s[20:21]
	s_clause 0x1
	global_load_b64 v[6:7], v16, s[26:27]
	global_load_b64 v[8:9], v16, s[28:29]
	s_cbranch_vccnz .LBB170_11
; %bb.5:                                ;   in Loop: Header=BB170_4 Depth=1
	s_add_nc_u64 s[26:27], s[14:15], s[20:21]
	s_add_nc_u64 s[20:21], s[8:9], s[20:21]
	s_clause 0x1
	global_load_b64 v[10:11], v16, s[26:27]
	global_load_b64 v[12:13], v16, s[20:21]
	v_dual_mov_b32 v26, 0 :: v_dual_mov_b32 v25, 0
	s_mov_b64 s[20:21], 0
	s_wait_loadcnt 0x1
	v_add_co_u32 v10, vcc_lo, v10, v21
	s_wait_alu 0xfffd
	v_add_co_ci_u32_e64 v11, null, v11, v22, vcc_lo
	s_wait_loadcnt 0x0
	v_add_co_u32 v12, vcc_lo, v12, v23
	s_wait_alu 0xfffd
	v_add_co_ci_u32_e64 v13, null, v13, v24, vcc_lo
	s_branch .LBB170_7
.LBB170_6:                              ;   in Loop: Header=BB170_7 Depth=2
	s_wait_alu 0xfffe
	s_or_b32 exec_lo, exec_lo, s25
	s_wait_loadcnt_dscnt 0x0
	ds_store_b16 v18, v28
	s_wait_dscnt 0x0
	s_barrier_signal -1
	s_barrier_wait -1
	global_inv scope:SCOPE_SE
	ds_load_u16 v35, v19
	ds_load_u16 v36, v19 offset:64
	ds_load_u16 v37, v19 offset:128
	;; [unrolled: 1-line block ×7, first 2 shown]
	s_add_nc_u64 s[20:21], s[20:21], 8
	v_add_co_u32 v10, vcc_lo, v10, 16
	s_wait_alu 0xfffe
	v_cmp_lt_i64_e64 s25, s[20:21], s[36:37]
	s_wait_alu 0xfffd
	v_add_co_ci_u32_e64 v11, null, 0, v11, vcc_lo
	v_add_co_u32 v12, vcc_lo, v12, 16
	s_wait_alu 0xfffd
	v_add_co_ci_u32_e64 v13, null, 0, v13, vcc_lo
	s_and_b32 vcc_lo, exec_lo, s25
	s_wait_dscnt 0x7
	ds_load_u16_d16_hi v35, v19 offset:32
	ds_load_b128 v[27:30], v20
	ds_load_b128 v[31:34], v20 offset:256
	s_wait_dscnt 0x9
	ds_load_u16_d16_hi v36, v19 offset:96
	s_wait_dscnt 0x9
	ds_load_u16_d16_hi v37, v19 offset:160
	;; [unrolled: 2-line block ×7, first 2 shown]
	s_wait_loadcnt_dscnt 0x0
	s_barrier_signal -1
	s_barrier_wait -1
	global_inv scope:SCOPE_SE
	v_pk_fma_f16 v26, v35, v27, v26 op_sel_hi:[1,0,1]
	v_pk_fma_f16 v25, v35, v31, v25 op_sel_hi:[1,0,1]
	s_delay_alu instid0(VALU_DEP_2) | instskip(NEXT) | instid1(VALU_DEP_2)
	v_pk_fma_f16 v26, v36, v27, v26 op_sel:[0,1,0]
	v_pk_fma_f16 v25, v36, v31, v25 op_sel:[0,1,0]
	s_delay_alu instid0(VALU_DEP_2) | instskip(NEXT) | instid1(VALU_DEP_2)
	v_pk_fma_f16 v26, v37, v28, v26 op_sel_hi:[1,0,1]
	v_pk_fma_f16 v25, v37, v32, v25 op_sel_hi:[1,0,1]
	s_delay_alu instid0(VALU_DEP_2) | instskip(NEXT) | instid1(VALU_DEP_2)
	v_pk_fma_f16 v26, v38, v28, v26 op_sel:[0,1,0]
	v_pk_fma_f16 v25, v38, v32, v25 op_sel:[0,1,0]
	s_delay_alu instid0(VALU_DEP_2) | instskip(NEXT) | instid1(VALU_DEP_2)
	;; [unrolled: 6-line block ×3, first 2 shown]
	v_pk_fma_f16 v26, v41, v30, v26 op_sel_hi:[1,0,1]
	v_pk_fma_f16 v25, v41, v34, v25 op_sel_hi:[1,0,1]
	s_delay_alu instid0(VALU_DEP_2) | instskip(NEXT) | instid1(VALU_DEP_2)
	v_pk_fma_f16 v26, v42, v30, v26 op_sel:[0,1,0]
	v_pk_fma_f16 v25, v42, v34, v25 op_sel:[0,1,0]
	s_wait_alu 0xfffe
	s_cbranch_vccz .LBB170_12
.LBB170_7:                              ;   Parent Loop BB170_4 Depth=1
                                        ; =>  This Inner Loop Header: Depth=2
	s_wait_alu 0xfffe
	v_add_co_u32 v27, s25, v15, s20
	s_wait_alu 0xf1ff
	v_add_co_ci_u32_e64 v28, null, 0, s21, s25
	s_delay_alu instid0(VALU_DEP_1) | instskip(SKIP_2) | instid1(SALU_CYCLE_1)
	v_cmp_gt_i64_e32 vcc_lo, s[36:37], v[27:28]
	v_mov_b32_e32 v27, 0
	s_and_b32 s26, s0, vcc_lo
	s_and_saveexec_b32 s25, s26
	s_cbranch_execz .LBB170_9
; %bb.8:                                ;   in Loop: Header=BB170_7 Depth=2
	flat_load_u16 v27, v[12:13]
.LBB170_9:                              ;   in Loop: Header=BB170_7 Depth=2
	s_wait_alu 0xfffe
	s_or_b32 exec_lo, exec_lo, s25
	v_add_co_u32 v28, s25, v14, s20
	s_wait_alu 0xf1ff
	v_add_co_ci_u32_e64 v29, null, 0, s21, s25
	s_wait_loadcnt_dscnt 0x0
	ds_store_b16 v17, v27
	v_cmp_gt_i64_e32 vcc_lo, s[36:37], v[28:29]
	v_mov_b32_e32 v28, 0
	s_and_b32 s26, vcc_lo, s1
	s_delay_alu instid0(SALU_CYCLE_1)
	s_and_saveexec_b32 s25, s26
	s_cbranch_execz .LBB170_6
; %bb.10:                               ;   in Loop: Header=BB170_7 Depth=2
	flat_load_u16 v28, v[10:11]
	s_branch .LBB170_6
.LBB170_11:                             ;   in Loop: Header=BB170_4 Depth=1
	v_dual_mov_b32 v26, 0 :: v_dual_mov_b32 v25, 0
.LBB170_12:                             ;   in Loop: Header=BB170_4 Depth=1
	s_wait_loadcnt 0x0
	v_add_co_u32 v10, vcc_lo, v8, s6
	s_wait_alu 0xfffd
	v_add_co_ci_u32_e64 v11, null, s7, v9, vcc_lo
	s_and_not1_b32 vcc_lo, exec_lo, s40
	s_wait_alu 0xfffe
	s_cbranch_vccnz .LBB170_17
; %bb.13:                               ;   in Loop: Header=BB170_4 Depth=1
	s_and_saveexec_b32 s20, s2
	s_cbranch_execz .LBB170_24
; %bb.14:                               ;   in Loop: Header=BB170_4 Depth=1
	v_lshlrev_b64_e32 v[8:9], 1, v[0:1]
	s_delay_alu instid0(VALU_DEP_1) | instskip(SKIP_1) | instid1(VALU_DEP_2)
	v_add_co_u32 v8, vcc_lo, v10, v8
	s_wait_alu 0xfffd
	v_add_co_ci_u32_e64 v9, null, v11, v9, vcc_lo
	s_and_saveexec_b32 s21, s3
	s_cbranch_execnz .LBB170_18
; %bb.15:                               ;   in Loop: Header=BB170_4 Depth=1
	s_wait_alu 0xfffe
	s_or_b32 exec_lo, exec_lo, s21
	s_and_saveexec_b32 s21, s4
	s_cbranch_execnz .LBB170_19
.LBB170_16:                             ;   in Loop: Header=BB170_4 Depth=1
	s_wait_alu 0xfffe
	s_or_b32 exec_lo, exec_lo, s21
	s_delay_alu instid0(SALU_CYCLE_1)
	s_and_b32 exec_lo, exec_lo, s5
	s_cbranch_execnz .LBB170_20
	s_branch .LBB170_24
.LBB170_17:                             ;   in Loop: Header=BB170_4 Depth=1
	s_branch .LBB170_25
.LBB170_18:                             ;   in Loop: Header=BB170_4 Depth=1
	v_lshlrev_b64_e32 v[12:13], 1, v[2:3]
	v_mul_f16_e32 v27, s38, v26
	s_delay_alu instid0(VALU_DEP_2) | instskip(SKIP_1) | instid1(VALU_DEP_3)
	v_add_co_u32 v12, vcc_lo, v8, v12
	s_wait_alu 0xfffd
	v_add_co_ci_u32_e64 v13, null, v9, v13, vcc_lo
	flat_store_b16 v[12:13], v27
	s_wait_alu 0xfffe
	s_or_b32 exec_lo, exec_lo, s21
	s_and_saveexec_b32 s21, s4
	s_cbranch_execz .LBB170_16
.LBB170_19:                             ;   in Loop: Header=BB170_4 Depth=1
	v_lshlrev_b64_e32 v[12:13], 1, v[2:3]
	v_lshrrev_b32_e32 v27, 16, v26
	s_delay_alu instid0(VALU_DEP_1) | instskip(NEXT) | instid1(VALU_DEP_3)
	v_mul_f16_e32 v27, s38, v27
	v_add_co_u32 v12, vcc_lo, v8, v12
	s_wait_alu 0xfffd
	s_delay_alu instid0(VALU_DEP_4) | instskip(SKIP_3) | instid1(SALU_CYCLE_1)
	v_add_co_ci_u32_e64 v13, null, v9, v13, vcc_lo
	flat_store_b16 v[12:13], v27 offset:32
	s_wait_alu 0xfffe
	s_or_b32 exec_lo, exec_lo, s21
	s_and_b32 exec_lo, exec_lo, s5
	s_cbranch_execz .LBB170_24
.LBB170_20:                             ;   in Loop: Header=BB170_4 Depth=1
	v_lshlrev_b64_e32 v[12:13], 1, v[2:3]
	v_add_co_u32 v8, vcc_lo, v8, s18
	s_wait_alu 0xfffd
	v_add_co_ci_u32_e64 v9, null, s19, v9, vcc_lo
	s_delay_alu instid0(VALU_DEP_2) | instskip(SKIP_1) | instid1(VALU_DEP_2)
	v_add_co_u32 v8, vcc_lo, v8, v12
	s_wait_alu 0xfffd
	v_add_co_ci_u32_e64 v9, null, v9, v13, vcc_lo
	s_and_saveexec_b32 s21, s3
	s_cbranch_execz .LBB170_22
; %bb.21:                               ;   in Loop: Header=BB170_4 Depth=1
	v_mul_f16_e32 v12, s38, v25
	flat_store_b16 v[8:9], v12
.LBB170_22:                             ;   in Loop: Header=BB170_4 Depth=1
	s_wait_alu 0xfffe
	s_or_b32 exec_lo, exec_lo, s21
	s_delay_alu instid0(SALU_CYCLE_1)
	s_and_b32 exec_lo, exec_lo, s4
	s_cbranch_execz .LBB170_24
; %bb.23:                               ;   in Loop: Header=BB170_4 Depth=1
	v_lshrrev_b32_e32 v12, 16, v25
	s_delay_alu instid0(VALU_DEP_1)
	v_mul_f16_e32 v12, s38, v12
	flat_store_b16 v[8:9], v12 offset:32
.LBB170_24:                             ;   in Loop: Header=BB170_4 Depth=1
	s_wait_alu 0xfffe
	s_or_b32 exec_lo, exec_lo, s20
	s_cbranch_execnz .LBB170_3
.LBB170_25:                             ;   in Loop: Header=BB170_4 Depth=1
	s_and_saveexec_b32 s20, s2
	s_cbranch_execz .LBB170_2
; %bb.26:                               ;   in Loop: Header=BB170_4 Depth=1
	v_add_co_u32 v6, vcc_lo, v6, s10
	v_lshlrev_b64_e32 v[12:13], 1, v[0:1]
	s_wait_alu 0xfffd
	v_add_co_ci_u32_e64 v7, null, s11, v7, vcc_lo
	s_delay_alu instid0(VALU_DEP_3) | instskip(SKIP_1) | instid1(VALU_DEP_2)
	v_add_co_u32 v8, vcc_lo, v6, v4
	s_wait_alu 0xfffd
	v_add_co_ci_u32_e64 v9, null, v7, v5, vcc_lo
	v_add_co_u32 v10, vcc_lo, v10, v12
	v_lshlrev_b64_e32 v[6:7], 1, v[2:3]
	s_wait_alu 0xfffd
	v_add_co_ci_u32_e64 v11, null, v11, v13, vcc_lo
	s_and_saveexec_b32 s21, s3
	s_cbranch_execnz .LBB170_29
; %bb.27:                               ;   in Loop: Header=BB170_4 Depth=1
	s_wait_alu 0xfffe
	s_or_b32 exec_lo, exec_lo, s21
	s_and_saveexec_b32 s21, s4
	s_cbranch_execnz .LBB170_30
.LBB170_28:                             ;   in Loop: Header=BB170_4 Depth=1
	s_wait_alu 0xfffe
	s_or_b32 exec_lo, exec_lo, s21
	s_delay_alu instid0(SALU_CYCLE_1)
	s_and_b32 exec_lo, exec_lo, s5
	s_cbranch_execz .LBB170_2
	s_branch .LBB170_31
.LBB170_29:                             ;   in Loop: Header=BB170_4 Depth=1
	v_add_co_u32 v12, vcc_lo, v8, v6
	s_wait_alu 0xfffd
	v_add_co_ci_u32_e64 v13, null, v9, v7, vcc_lo
	flat_load_u16 v12, v[12:13]
	s_wait_loadcnt_dscnt 0x0
	v_mul_f16_e32 v27, s39, v12
	v_add_co_u32 v12, vcc_lo, v10, v6
	s_wait_alu 0xfffd
	v_add_co_ci_u32_e64 v13, null, v11, v7, vcc_lo
	s_delay_alu instid0(VALU_DEP_3)
	v_fmac_f16_e32 v27, s38, v26
	flat_store_b16 v[12:13], v27
	s_wait_alu 0xfffe
	s_or_b32 exec_lo, exec_lo, s21
	s_and_saveexec_b32 s21, s4
	s_cbranch_execz .LBB170_28
.LBB170_30:                             ;   in Loop: Header=BB170_4 Depth=1
	v_add_co_u32 v12, vcc_lo, v8, v6
	s_wait_alu 0xfffd
	v_add_co_ci_u32_e64 v13, null, v9, v7, vcc_lo
	flat_load_u16 v12, v[12:13] offset:32
	v_lshrrev_b32_e32 v13, 16, v26
	s_wait_loadcnt_dscnt 0x0
	v_mul_f16_e32 v26, s39, v12
	v_add_co_u32 v12, vcc_lo, v10, v6
	s_delay_alu instid0(VALU_DEP_2)
	v_fmac_f16_e32 v26, s38, v13
	s_wait_alu 0xfffd
	v_add_co_ci_u32_e64 v13, null, v11, v7, vcc_lo
	flat_store_b16 v[12:13], v26 offset:32
	s_wait_alu 0xfffe
	s_or_b32 exec_lo, exec_lo, s21
	s_delay_alu instid0(SALU_CYCLE_1)
	s_and_b32 exec_lo, exec_lo, s5
	s_cbranch_execz .LBB170_2
.LBB170_31:                             ;   in Loop: Header=BB170_4 Depth=1
	v_add_co_u32 v8, vcc_lo, v8, s12
	s_wait_alu 0xfffd
	v_add_co_ci_u32_e64 v9, null, s13, v9, vcc_lo
	v_add_co_u32 v10, vcc_lo, v10, s18
	s_wait_alu 0xfffd
	v_add_co_ci_u32_e64 v11, null, s19, v11, vcc_lo
	;; [unrolled: 3-line block ×4, first 2 shown]
	s_and_saveexec_b32 s21, s3
	s_cbranch_execz .LBB170_33
; %bb.32:                               ;   in Loop: Header=BB170_4 Depth=1
	flat_load_u16 v10, v[8:9]
	s_wait_loadcnt_dscnt 0x0
	v_mul_f16_e32 v10, s39, v10
	s_delay_alu instid0(VALU_DEP_1)
	v_fmac_f16_e32 v10, s38, v25
	flat_store_b16 v[6:7], v10
.LBB170_33:                             ;   in Loop: Header=BB170_4 Depth=1
	s_wait_alu 0xfffe
	s_or_b32 exec_lo, exec_lo, s21
	s_delay_alu instid0(SALU_CYCLE_1)
	s_and_b32 exec_lo, exec_lo, s4
	s_cbranch_execz .LBB170_2
; %bb.34:                               ;   in Loop: Header=BB170_4 Depth=1
	flat_load_u16 v8, v[8:9] offset:32
	v_lshrrev_b32_e32 v9, 16, v25
	s_wait_loadcnt_dscnt 0x0
	v_mul_f16_e32 v8, s39, v8
	s_delay_alu instid0(VALU_DEP_1)
	v_fmac_f16_e32 v8, s38, v9
	flat_store_b16 v[6:7], v8 offset:32
	s_branch .LBB170_2
.LBB170_35:
	s_endpgm
	.section	.rodata,"a",@progbits
	.p2align	6, 0x0
	.amdhsa_kernel _ZN12_GLOBAL__N_135rocblas_gemm_batched_general_kernelIDF16_Li16ELi16ELi32ELi32ELi8ELi32ELi8ELi8ELi32ELc67ELc78EKPKDF16_S3_KPDF16_EEvlllT_PT11_llS8_llS6_PT12_llPT13_lli
		.amdhsa_group_segment_fixed_size 1024
		.amdhsa_private_segment_fixed_size 0
		.amdhsa_kernarg_size 140
		.amdhsa_user_sgpr_count 2
		.amdhsa_user_sgpr_dispatch_ptr 0
		.amdhsa_user_sgpr_queue_ptr 0
		.amdhsa_user_sgpr_kernarg_segment_ptr 1
		.amdhsa_user_sgpr_dispatch_id 0
		.amdhsa_user_sgpr_private_segment_size 0
		.amdhsa_wavefront_size32 1
		.amdhsa_uses_dynamic_stack 0
		.amdhsa_enable_private_segment 0
		.amdhsa_system_sgpr_workgroup_id_x 1
		.amdhsa_system_sgpr_workgroup_id_y 1
		.amdhsa_system_sgpr_workgroup_id_z 1
		.amdhsa_system_sgpr_workgroup_info 0
		.amdhsa_system_vgpr_workitem_id 1
		.amdhsa_next_free_vgpr 43
		.amdhsa_next_free_sgpr 42
		.amdhsa_reserve_vcc 1
		.amdhsa_float_round_mode_32 0
		.amdhsa_float_round_mode_16_64 0
		.amdhsa_float_denorm_mode_32 3
		.amdhsa_float_denorm_mode_16_64 3
		.amdhsa_fp16_overflow 0
		.amdhsa_workgroup_processor_mode 1
		.amdhsa_memory_ordered 1
		.amdhsa_forward_progress 1
		.amdhsa_inst_pref_size 19
		.amdhsa_round_robin_scheduling 0
		.amdhsa_exception_fp_ieee_invalid_op 0
		.amdhsa_exception_fp_denorm_src 0
		.amdhsa_exception_fp_ieee_div_zero 0
		.amdhsa_exception_fp_ieee_overflow 0
		.amdhsa_exception_fp_ieee_underflow 0
		.amdhsa_exception_fp_ieee_inexact 0
		.amdhsa_exception_int_div_zero 0
	.end_amdhsa_kernel
	.section	.text._ZN12_GLOBAL__N_135rocblas_gemm_batched_general_kernelIDF16_Li16ELi16ELi32ELi32ELi8ELi32ELi8ELi8ELi32ELc67ELc78EKPKDF16_S3_KPDF16_EEvlllT_PT11_llS8_llS6_PT12_llPT13_lli,"axG",@progbits,_ZN12_GLOBAL__N_135rocblas_gemm_batched_general_kernelIDF16_Li16ELi16ELi32ELi32ELi8ELi32ELi8ELi8ELi32ELc67ELc78EKPKDF16_S3_KPDF16_EEvlllT_PT11_llS8_llS6_PT12_llPT13_lli,comdat
.Lfunc_end170:
	.size	_ZN12_GLOBAL__N_135rocblas_gemm_batched_general_kernelIDF16_Li16ELi16ELi32ELi32ELi8ELi32ELi8ELi8ELi32ELc67ELc78EKPKDF16_S3_KPDF16_EEvlllT_PT11_llS8_llS6_PT12_llPT13_lli, .Lfunc_end170-_ZN12_GLOBAL__N_135rocblas_gemm_batched_general_kernelIDF16_Li16ELi16ELi32ELi32ELi8ELi32ELi8ELi8ELi32ELc67ELc78EKPKDF16_S3_KPDF16_EEvlllT_PT11_llS8_llS6_PT12_llPT13_lli
                                        ; -- End function
	.set _ZN12_GLOBAL__N_135rocblas_gemm_batched_general_kernelIDF16_Li16ELi16ELi32ELi32ELi8ELi32ELi8ELi8ELi32ELc67ELc78EKPKDF16_S3_KPDF16_EEvlllT_PT11_llS8_llS6_PT12_llPT13_lli.num_vgpr, 43
	.set _ZN12_GLOBAL__N_135rocblas_gemm_batched_general_kernelIDF16_Li16ELi16ELi32ELi32ELi8ELi32ELi8ELi8ELi32ELc67ELc78EKPKDF16_S3_KPDF16_EEvlllT_PT11_llS8_llS6_PT12_llPT13_lli.num_agpr, 0
	.set _ZN12_GLOBAL__N_135rocblas_gemm_batched_general_kernelIDF16_Li16ELi16ELi32ELi32ELi8ELi32ELi8ELi8ELi32ELc67ELc78EKPKDF16_S3_KPDF16_EEvlllT_PT11_llS8_llS6_PT12_llPT13_lli.numbered_sgpr, 42
	.set _ZN12_GLOBAL__N_135rocblas_gemm_batched_general_kernelIDF16_Li16ELi16ELi32ELi32ELi8ELi32ELi8ELi8ELi32ELc67ELc78EKPKDF16_S3_KPDF16_EEvlllT_PT11_llS8_llS6_PT12_llPT13_lli.num_named_barrier, 0
	.set _ZN12_GLOBAL__N_135rocblas_gemm_batched_general_kernelIDF16_Li16ELi16ELi32ELi32ELi8ELi32ELi8ELi8ELi32ELc67ELc78EKPKDF16_S3_KPDF16_EEvlllT_PT11_llS8_llS6_PT12_llPT13_lli.private_seg_size, 0
	.set _ZN12_GLOBAL__N_135rocblas_gemm_batched_general_kernelIDF16_Li16ELi16ELi32ELi32ELi8ELi32ELi8ELi8ELi32ELc67ELc78EKPKDF16_S3_KPDF16_EEvlllT_PT11_llS8_llS6_PT12_llPT13_lli.uses_vcc, 1
	.set _ZN12_GLOBAL__N_135rocblas_gemm_batched_general_kernelIDF16_Li16ELi16ELi32ELi32ELi8ELi32ELi8ELi8ELi32ELc67ELc78EKPKDF16_S3_KPDF16_EEvlllT_PT11_llS8_llS6_PT12_llPT13_lli.uses_flat_scratch, 0
	.set _ZN12_GLOBAL__N_135rocblas_gemm_batched_general_kernelIDF16_Li16ELi16ELi32ELi32ELi8ELi32ELi8ELi8ELi32ELc67ELc78EKPKDF16_S3_KPDF16_EEvlllT_PT11_llS8_llS6_PT12_llPT13_lli.has_dyn_sized_stack, 0
	.set _ZN12_GLOBAL__N_135rocblas_gemm_batched_general_kernelIDF16_Li16ELi16ELi32ELi32ELi8ELi32ELi8ELi8ELi32ELc67ELc78EKPKDF16_S3_KPDF16_EEvlllT_PT11_llS8_llS6_PT12_llPT13_lli.has_recursion, 0
	.set _ZN12_GLOBAL__N_135rocblas_gemm_batched_general_kernelIDF16_Li16ELi16ELi32ELi32ELi8ELi32ELi8ELi8ELi32ELc67ELc78EKPKDF16_S3_KPDF16_EEvlllT_PT11_llS8_llS6_PT12_llPT13_lli.has_indirect_call, 0
	.section	.AMDGPU.csdata,"",@progbits
; Kernel info:
; codeLenInByte = 2344
; TotalNumSgprs: 44
; NumVgprs: 43
; ScratchSize: 0
; MemoryBound: 0
; FloatMode: 240
; IeeeMode: 1
; LDSByteSize: 1024 bytes/workgroup (compile time only)
; SGPRBlocks: 0
; VGPRBlocks: 5
; NumSGPRsForWavesPerEU: 44
; NumVGPRsForWavesPerEU: 43
; Occupancy: 16
; WaveLimiterHint : 1
; COMPUTE_PGM_RSRC2:SCRATCH_EN: 0
; COMPUTE_PGM_RSRC2:USER_SGPR: 2
; COMPUTE_PGM_RSRC2:TRAP_HANDLER: 0
; COMPUTE_PGM_RSRC2:TGID_X_EN: 1
; COMPUTE_PGM_RSRC2:TGID_Y_EN: 1
; COMPUTE_PGM_RSRC2:TGID_Z_EN: 1
; COMPUTE_PGM_RSRC2:TIDIG_COMP_CNT: 1
	.section	.text._ZN12_GLOBAL__N_135rocblas_gemm_batched_general_kernelIDF16_Li16ELi16ELi32ELi32ELi8ELi32ELi8ELi8ELi32ELc67ELc84EKPKDF16_S3_KPDF16_EEvlllT_PT11_llS8_llS6_PT12_llPT13_lli,"axG",@progbits,_ZN12_GLOBAL__N_135rocblas_gemm_batched_general_kernelIDF16_Li16ELi16ELi32ELi32ELi8ELi32ELi8ELi8ELi32ELc67ELc84EKPKDF16_S3_KPDF16_EEvlllT_PT11_llS8_llS6_PT12_llPT13_lli,comdat
	.globl	_ZN12_GLOBAL__N_135rocblas_gemm_batched_general_kernelIDF16_Li16ELi16ELi32ELi32ELi8ELi32ELi8ELi8ELi32ELc67ELc84EKPKDF16_S3_KPDF16_EEvlllT_PT11_llS8_llS6_PT12_llPT13_lli ; -- Begin function _ZN12_GLOBAL__N_135rocblas_gemm_batched_general_kernelIDF16_Li16ELi16ELi32ELi32ELi8ELi32ELi8ELi8ELi32ELc67ELc84EKPKDF16_S3_KPDF16_EEvlllT_PT11_llS8_llS6_PT12_llPT13_lli
	.p2align	8
	.type	_ZN12_GLOBAL__N_135rocblas_gemm_batched_general_kernelIDF16_Li16ELi16ELi32ELi32ELi8ELi32ELi8ELi8ELi32ELc67ELc84EKPKDF16_S3_KPDF16_EEvlllT_PT11_llS8_llS6_PT12_llPT13_lli,@function
_ZN12_GLOBAL__N_135rocblas_gemm_batched_general_kernelIDF16_Li16ELi16ELi32ELi32ELi8ELi32ELi8ELi8ELi32ELc67ELc84EKPKDF16_S3_KPDF16_EEvlllT_PT11_llS8_llS6_PT12_llPT13_lli: ; @_ZN12_GLOBAL__N_135rocblas_gemm_batched_general_kernelIDF16_Li16ELi16ELi32ELi32ELi8ELi32ELi8ELi8ELi32ELc67ELc84EKPKDF16_S3_KPDF16_EEvlllT_PT11_llS8_llS6_PT12_llPT13_lli
; %bb.0:
	s_load_b32 s33, s[0:1], 0x88
	s_lshr_b32 s34, ttmp7, 16
	s_wait_kmcnt 0x0
	s_cmp_ge_i32 s34, s33
	s_cbranch_scc1 .LBB171_35
; %bb.1:
	s_clause 0x5
	s_load_b128 s[4:7], s[0:1], 0x0
	s_load_b96 s[36:38], s[0:1], 0x10
	s_load_b256 s[8:15], s[0:1], 0x20
	s_load_b128 s[28:31], s[0:1], 0x40
	s_load_b32 s39, s[0:1], 0x50
	s_load_b128 s[24:27], s[0:1], 0x78
	s_mov_b32 s2, ttmp9
	s_ashr_i32 s3, ttmp9, 31
	v_bfe_u32 v2, v0, 10, 10
	s_lshl_b64 s[42:43], s[2:3], 5
	s_delay_alu instid0(SALU_CYCLE_1) | instskip(SKIP_3) | instid1(VALU_DEP_2)
	v_dual_mov_b32 v5, s43 :: v_dual_and_b32 v14, 7, v0
	v_dual_mov_b32 v16, 0 :: v_dual_and_b32 v3, 0x3ff, v0
	s_load_b256 s[16:23], s[0:1], 0x58
	s_and_b32 s41, ttmp7, 0xffff
	v_lshlrev_b32_e32 v8, 1, v14
	s_lshl_b32 s2, s41, 5
	s_mov_b32 s35, 0
	s_wait_kmcnt 0x0
	v_mad_co_u64_u32 v[9:10], null, s28, v14, 0
	v_lshlrev_b32_e32 v7, 4, v2
	s_cmp_eq_f16 s39, 0
	s_delay_alu instid0(VALU_DEP_1) | instskip(SKIP_3) | instid1(VALU_DEP_2)
	v_add_nc_u32_e32 v1, v7, v3
	v_add_nc_u32_e32 v20, 0x200, v7
	s_cselect_b32 s40, -1, 0
	s_lshl_b64 s[30:31], s[30:31], 1
	v_and_b32_e32 v0, 31, v1
	v_lshrrev_b32_e32 v13, 3, v1
	v_lshrrev_b32_e32 v15, 5, v1
	s_delay_alu instid0(VALU_DEP_3) | instskip(SKIP_1) | instid1(VALU_DEP_4)
	v_or_b32_e32 v4, s42, v0
	v_lshlrev_b32_e32 v6, 1, v0
	v_add_co_u32 v0, s0, v13, s2
	s_delay_alu instid0(VALU_DEP_1) | instskip(SKIP_3) | instid1(VALU_DEP_4)
	v_add_co_ci_u32_e64 v1, null, 0, 0, s0
	v_lshl_or_b32 v8, v13, 4, v8
	v_cmp_gt_i64_e64 s0, s[4:5], v[4:5]
	v_add_co_u32 v5, s2, s2, v2
	v_cmp_gt_i64_e64 s1, s[6:7], v[0:1]
	s_delay_alu instid0(VALU_DEP_4) | instskip(SKIP_1) | instid1(VALU_DEP_4)
	v_add_nc_u32_e32 v18, 0x200, v8
	v_add_co_u32 v2, s3, s42, v3
	v_mad_co_u64_u32 v[0:1], null, v5, s24, 0
	v_mad_co_u64_u32 v[7:8], null, v5, s18, 0
	v_lshl_or_b32 v17, v15, 6, v6
	s_wait_alu 0xf1ff
	v_add_co_ci_u32_e64 v6, null, 0, 0, s2
	v_add_co_u32 v11, vcc_lo, v2, 16
	v_mad_co_u64_u32 v[21:22], null, v5, s25, v[1:2]
	v_dual_mov_b32 v1, v8 :: v_dual_mov_b32 v8, v10
	s_delay_alu instid0(VALU_DEP_4) | instskip(NEXT) | instid1(VALU_DEP_2)
	v_cmp_gt_i64_e64 s2, s[6:7], v[5:6]
	v_mad_co_u64_u32 v[24:25], null, s29, v14, v[8:9]
	v_lshlrev_b32_e32 v19, 1, v3
	v_add_co_ci_u32_e64 v3, null, s43, 0, s3
	s_delay_alu instid0(VALU_DEP_1)
	v_add_co_ci_u32_e64 v12, null, 0, v3, vcc_lo
	v_add_co_u32 v22, vcc_lo, v5, 16
	s_wait_alu 0xfffd
	v_add_co_ci_u32_e64 v23, null, 0, v6, vcc_lo
	v_mad_co_u64_u32 v[5:6], null, v5, s19, v[1:2]
	v_mul_lo_u32 v6, s11, v4
	v_mov_b32_e32 v10, v24
	v_cmp_gt_i64_e64 s3, s[4:5], v[2:3]
	v_cmp_gt_i64_e64 s4, s[4:5], v[11:12]
	;; [unrolled: 1-line block ×3, first 2 shown]
	s_lshl_b64 s[6:7], s[24:25], 4
	v_mov_b32_e32 v8, v5
	v_mad_co_u64_u32 v[4:5], null, s10, v4, 0
	v_lshlrev_b64_e32 v[9:10], 1, v[9:10]
	s_mul_i32 s10, s10, s43
	s_lshl_b64 s[24:25], s[18:19], 4
	s_lshl_b32 s18, s41, 6
	s_mov_b32 s19, s35
	v_lshlrev_b32_e32 v11, 1, v13
	s_wait_alu 0xfffe
	v_add3_u32 v5, v5, s10, v6
	s_add_nc_u64 s[18:19], s[30:31], s[18:19]
	v_mov_b32_e32 v1, v21
	s_wait_alu 0xfffe
	v_add_co_u32 v6, vcc_lo, s18, v9
	v_lshlrev_b64_e32 v[4:5], 1, v[4:5]
	s_wait_alu 0xfffd
	v_add_co_ci_u32_e64 v9, null, s19, v10, vcc_lo
	s_delay_alu instid0(VALU_DEP_3)
	v_add_co_u32 v21, vcc_lo, v6, v11
	s_lshl_b64 s[10:11], s[12:13], 1
	s_wait_alu 0xfffd
	v_add_co_ci_u32_e64 v22, null, 0, v9, vcc_lo
	v_lshlrev_b32_e32 v6, 1, v15
	s_wait_alu 0xfffe
	v_add_co_u32 v4, vcc_lo, v4, s10
	s_wait_alu 0xfffd
	v_add_co_ci_u32_e64 v5, null, s11, v5, vcc_lo
	s_lshl_b64 s[10:11], s[28:29], 4
	v_add_co_u32 v23, vcc_lo, v4, v6
	s_wait_alu 0xfffd
	v_add_co_ci_u32_e64 v24, null, 0, v5, vcc_lo
	v_lshlrev_b64_e32 v[4:5], 1, v[7:8]
	v_cmp_gt_i64_e64 s28, s[36:37], 0
	s_lshl_b64 s[12:13], s[26:27], 1
	s_lshl_b64 s[18:19], s[20:21], 1
	;; [unrolled: 1-line block ×3, first 2 shown]
	s_branch .LBB171_4
.LBB171_2:                              ;   in Loop: Header=BB171_4 Depth=1
	s_wait_alu 0xfffe
	s_or_b32 exec_lo, exec_lo, s24
.LBB171_3:                              ;   in Loop: Header=BB171_4 Depth=1
	s_add_co_i32 s34, s34, 0x10000
	s_delay_alu instid0(SALU_CYCLE_1)
	s_cmp_lt_i32 s34, s33
	s_cbranch_scc0 .LBB171_35
.LBB171_4:                              ; =>This Loop Header: Depth=1
                                        ;     Child Loop BB171_7 Depth 2
	s_lshl_b64 s[24:25], s[34:35], 3
	s_and_not1_b32 vcc_lo, exec_lo, s28
	s_wait_alu 0xfffe
	s_add_nc_u64 s[26:27], s[16:17], s[24:25]
	s_add_nc_u64 s[30:31], s[22:23], s[24:25]
	s_clause 0x1
	global_load_b64 v[6:7], v16, s[26:27]
	global_load_b64 v[8:9], v16, s[30:31]
	s_cbranch_vccnz .LBB171_11
; %bb.5:                                ;   in Loop: Header=BB171_4 Depth=1
	s_add_nc_u64 s[26:27], s[14:15], s[24:25]
	s_add_nc_u64 s[24:25], s[8:9], s[24:25]
	s_clause 0x1
	global_load_b64 v[10:11], v16, s[26:27]
	global_load_b64 v[12:13], v16, s[24:25]
	v_dual_mov_b32 v26, 0 :: v_dual_mov_b32 v25, 0
	s_mov_b64 s[24:25], 0
	s_wait_loadcnt 0x1
	v_add_co_u32 v10, vcc_lo, v10, v21
	s_wait_alu 0xfffd
	v_add_co_ci_u32_e64 v11, null, v11, v22, vcc_lo
	s_wait_loadcnt 0x0
	v_add_co_u32 v12, vcc_lo, v12, v23
	s_wait_alu 0xfffd
	v_add_co_ci_u32_e64 v13, null, v13, v24, vcc_lo
	s_branch .LBB171_7
.LBB171_6:                              ;   in Loop: Header=BB171_7 Depth=2
	s_wait_alu 0xfffe
	s_or_b32 exec_lo, exec_lo, s26
	s_wait_loadcnt_dscnt 0x0
	ds_store_b16 v18, v28
	s_wait_dscnt 0x0
	s_barrier_signal -1
	s_barrier_wait -1
	global_inv scope:SCOPE_SE
	ds_load_u16 v35, v19
	ds_load_u16 v36, v19 offset:64
	ds_load_u16 v37, v19 offset:128
	;; [unrolled: 1-line block ×7, first 2 shown]
	s_add_nc_u64 s[24:25], s[24:25], 8
	v_add_co_u32 v10, vcc_lo, v10, s10
	s_wait_alu 0xfffe
	v_cmp_lt_i64_e64 s26, s[24:25], s[36:37]
	s_wait_alu 0xfffd
	v_add_co_ci_u32_e64 v11, null, s11, v11, vcc_lo
	v_add_co_u32 v12, vcc_lo, v12, 16
	s_wait_alu 0xfffd
	v_add_co_ci_u32_e64 v13, null, 0, v13, vcc_lo
	s_and_b32 vcc_lo, exec_lo, s26
	s_wait_dscnt 0x7
	ds_load_u16_d16_hi v35, v19 offset:32
	ds_load_b128 v[27:30], v20
	ds_load_b128 v[31:34], v20 offset:256
	s_wait_dscnt 0x9
	ds_load_u16_d16_hi v36, v19 offset:96
	s_wait_dscnt 0x9
	ds_load_u16_d16_hi v37, v19 offset:160
	s_wait_dscnt 0x9
	ds_load_u16_d16_hi v38, v19 offset:224
	s_wait_dscnt 0x9
	ds_load_u16_d16_hi v39, v19 offset:288
	s_wait_dscnt 0x9
	ds_load_u16_d16_hi v40, v19 offset:352
	s_wait_dscnt 0x9
	ds_load_u16_d16_hi v41, v19 offset:416
	s_wait_dscnt 0x9
	ds_load_u16_d16_hi v42, v19 offset:480
	s_wait_loadcnt_dscnt 0x0
	s_barrier_signal -1
	s_barrier_wait -1
	global_inv scope:SCOPE_SE
	v_pk_fma_f16 v26, v35, v27, v26 op_sel_hi:[1,0,1]
	v_pk_fma_f16 v25, v35, v31, v25 op_sel_hi:[1,0,1]
	s_delay_alu instid0(VALU_DEP_2) | instskip(NEXT) | instid1(VALU_DEP_2)
	v_pk_fma_f16 v26, v36, v27, v26 op_sel:[0,1,0]
	v_pk_fma_f16 v25, v36, v31, v25 op_sel:[0,1,0]
	s_delay_alu instid0(VALU_DEP_2) | instskip(NEXT) | instid1(VALU_DEP_2)
	v_pk_fma_f16 v26, v37, v28, v26 op_sel_hi:[1,0,1]
	v_pk_fma_f16 v25, v37, v32, v25 op_sel_hi:[1,0,1]
	s_delay_alu instid0(VALU_DEP_2) | instskip(NEXT) | instid1(VALU_DEP_2)
	v_pk_fma_f16 v26, v38, v28, v26 op_sel:[0,1,0]
	v_pk_fma_f16 v25, v38, v32, v25 op_sel:[0,1,0]
	s_delay_alu instid0(VALU_DEP_2) | instskip(NEXT) | instid1(VALU_DEP_2)
	;; [unrolled: 6-line block ×3, first 2 shown]
	v_pk_fma_f16 v26, v41, v30, v26 op_sel_hi:[1,0,1]
	v_pk_fma_f16 v25, v41, v34, v25 op_sel_hi:[1,0,1]
	s_delay_alu instid0(VALU_DEP_2) | instskip(NEXT) | instid1(VALU_DEP_2)
	v_pk_fma_f16 v26, v42, v30, v26 op_sel:[0,1,0]
	v_pk_fma_f16 v25, v42, v34, v25 op_sel:[0,1,0]
	s_wait_alu 0xfffe
	s_cbranch_vccz .LBB171_12
.LBB171_7:                              ;   Parent Loop BB171_4 Depth=1
                                        ; =>  This Inner Loop Header: Depth=2
	s_wait_alu 0xfffe
	v_add_co_u32 v27, s26, v15, s24
	s_wait_alu 0xf1ff
	v_add_co_ci_u32_e64 v28, null, 0, s25, s26
	s_delay_alu instid0(VALU_DEP_1)
	v_cmp_gt_i64_e32 vcc_lo, s[36:37], v[27:28]
	v_mov_b32_e32 v27, 0
	s_and_b32 s27, s0, vcc_lo
	s_wait_alu 0xfffe
	s_and_saveexec_b32 s26, s27
	s_cbranch_execz .LBB171_9
; %bb.8:                                ;   in Loop: Header=BB171_7 Depth=2
	flat_load_u16 v27, v[12:13]
.LBB171_9:                              ;   in Loop: Header=BB171_7 Depth=2
	s_wait_alu 0xfffe
	s_or_b32 exec_lo, exec_lo, s26
	v_add_co_u32 v28, s26, v14, s24
	s_wait_alu 0xf1ff
	v_add_co_ci_u32_e64 v29, null, 0, s25, s26
	s_wait_loadcnt_dscnt 0x0
	ds_store_b16 v17, v27
	v_cmp_gt_i64_e32 vcc_lo, s[36:37], v[28:29]
	v_mov_b32_e32 v28, 0
	s_and_b32 s27, vcc_lo, s1
	s_wait_alu 0xfffe
	s_and_saveexec_b32 s26, s27
	s_cbranch_execz .LBB171_6
; %bb.10:                               ;   in Loop: Header=BB171_7 Depth=2
	flat_load_u16 v28, v[10:11]
	s_branch .LBB171_6
.LBB171_11:                             ;   in Loop: Header=BB171_4 Depth=1
	v_dual_mov_b32 v26, 0 :: v_dual_mov_b32 v25, 0
.LBB171_12:                             ;   in Loop: Header=BB171_4 Depth=1
	s_wait_loadcnt 0x0
	v_add_co_u32 v10, vcc_lo, v8, s12
	s_wait_alu 0xfffd
	v_add_co_ci_u32_e64 v11, null, s13, v9, vcc_lo
	s_and_not1_b32 vcc_lo, exec_lo, s40
	s_wait_alu 0xfffe
	s_cbranch_vccnz .LBB171_17
; %bb.13:                               ;   in Loop: Header=BB171_4 Depth=1
	s_and_saveexec_b32 s24, s2
	s_cbranch_execz .LBB171_24
; %bb.14:                               ;   in Loop: Header=BB171_4 Depth=1
	v_lshlrev_b64_e32 v[8:9], 1, v[0:1]
	s_delay_alu instid0(VALU_DEP_1) | instskip(SKIP_1) | instid1(VALU_DEP_2)
	v_add_co_u32 v8, vcc_lo, v10, v8
	s_wait_alu 0xfffd
	v_add_co_ci_u32_e64 v9, null, v11, v9, vcc_lo
	s_and_saveexec_b32 s25, s3
	s_cbranch_execnz .LBB171_18
; %bb.15:                               ;   in Loop: Header=BB171_4 Depth=1
	s_wait_alu 0xfffe
	s_or_b32 exec_lo, exec_lo, s25
	s_and_saveexec_b32 s25, s4
	s_cbranch_execnz .LBB171_19
.LBB171_16:                             ;   in Loop: Header=BB171_4 Depth=1
	s_wait_alu 0xfffe
	s_or_b32 exec_lo, exec_lo, s25
	s_delay_alu instid0(SALU_CYCLE_1)
	s_and_b32 exec_lo, exec_lo, s5
	s_cbranch_execnz .LBB171_20
	s_branch .LBB171_24
.LBB171_17:                             ;   in Loop: Header=BB171_4 Depth=1
	s_branch .LBB171_25
.LBB171_18:                             ;   in Loop: Header=BB171_4 Depth=1
	v_lshlrev_b64_e32 v[12:13], 1, v[2:3]
	v_mul_f16_e32 v27, s38, v26
	s_delay_alu instid0(VALU_DEP_2) | instskip(SKIP_1) | instid1(VALU_DEP_3)
	v_add_co_u32 v12, vcc_lo, v8, v12
	s_wait_alu 0xfffd
	v_add_co_ci_u32_e64 v13, null, v9, v13, vcc_lo
	flat_store_b16 v[12:13], v27
	s_wait_alu 0xfffe
	s_or_b32 exec_lo, exec_lo, s25
	s_and_saveexec_b32 s25, s4
	s_cbranch_execz .LBB171_16
.LBB171_19:                             ;   in Loop: Header=BB171_4 Depth=1
	v_lshlrev_b64_e32 v[12:13], 1, v[2:3]
	v_lshrrev_b32_e32 v27, 16, v26
	s_delay_alu instid0(VALU_DEP_1) | instskip(NEXT) | instid1(VALU_DEP_3)
	v_mul_f16_e32 v27, s38, v27
	v_add_co_u32 v12, vcc_lo, v8, v12
	s_wait_alu 0xfffd
	s_delay_alu instid0(VALU_DEP_4) | instskip(SKIP_3) | instid1(SALU_CYCLE_1)
	v_add_co_ci_u32_e64 v13, null, v9, v13, vcc_lo
	flat_store_b16 v[12:13], v27 offset:32
	s_wait_alu 0xfffe
	s_or_b32 exec_lo, exec_lo, s25
	s_and_b32 exec_lo, exec_lo, s5
	s_cbranch_execz .LBB171_24
.LBB171_20:                             ;   in Loop: Header=BB171_4 Depth=1
	s_lshl_b64 s[26:27], s[6:7], 1
	v_lshlrev_b64_e32 v[12:13], 1, v[2:3]
	s_wait_alu 0xfffe
	v_add_co_u32 v8, vcc_lo, v8, s26
	s_wait_alu 0xfffd
	v_add_co_ci_u32_e64 v9, null, s27, v9, vcc_lo
	s_delay_alu instid0(VALU_DEP_2) | instskip(SKIP_1) | instid1(VALU_DEP_2)
	v_add_co_u32 v8, vcc_lo, v8, v12
	s_wait_alu 0xfffd
	v_add_co_ci_u32_e64 v9, null, v9, v13, vcc_lo
	s_and_saveexec_b32 s25, s3
	s_cbranch_execz .LBB171_22
; %bb.21:                               ;   in Loop: Header=BB171_4 Depth=1
	v_mul_f16_e32 v12, s38, v25
	flat_store_b16 v[8:9], v12
.LBB171_22:                             ;   in Loop: Header=BB171_4 Depth=1
	s_wait_alu 0xfffe
	s_or_b32 exec_lo, exec_lo, s25
	s_delay_alu instid0(SALU_CYCLE_1)
	s_and_b32 exec_lo, exec_lo, s4
	s_cbranch_execz .LBB171_24
; %bb.23:                               ;   in Loop: Header=BB171_4 Depth=1
	v_lshrrev_b32_e32 v12, 16, v25
	s_delay_alu instid0(VALU_DEP_1)
	v_mul_f16_e32 v12, s38, v12
	flat_store_b16 v[8:9], v12 offset:32
.LBB171_24:                             ;   in Loop: Header=BB171_4 Depth=1
	s_wait_alu 0xfffe
	s_or_b32 exec_lo, exec_lo, s24
	s_cbranch_execnz .LBB171_3
.LBB171_25:                             ;   in Loop: Header=BB171_4 Depth=1
	s_and_saveexec_b32 s24, s2
	s_cbranch_execz .LBB171_2
; %bb.26:                               ;   in Loop: Header=BB171_4 Depth=1
	v_add_co_u32 v6, vcc_lo, v6, s18
	v_lshlrev_b64_e32 v[12:13], 1, v[0:1]
	s_wait_alu 0xfffd
	v_add_co_ci_u32_e64 v7, null, s19, v7, vcc_lo
	s_delay_alu instid0(VALU_DEP_3) | instskip(SKIP_1) | instid1(VALU_DEP_2)
	v_add_co_u32 v8, vcc_lo, v6, v4
	s_wait_alu 0xfffd
	v_add_co_ci_u32_e64 v9, null, v7, v5, vcc_lo
	v_add_co_u32 v10, vcc_lo, v10, v12
	v_lshlrev_b64_e32 v[6:7], 1, v[2:3]
	s_wait_alu 0xfffd
	v_add_co_ci_u32_e64 v11, null, v11, v13, vcc_lo
	s_and_saveexec_b32 s25, s3
	s_cbranch_execnz .LBB171_29
; %bb.27:                               ;   in Loop: Header=BB171_4 Depth=1
	s_wait_alu 0xfffe
	s_or_b32 exec_lo, exec_lo, s25
	s_and_saveexec_b32 s25, s4
	s_cbranch_execnz .LBB171_30
.LBB171_28:                             ;   in Loop: Header=BB171_4 Depth=1
	s_wait_alu 0xfffe
	s_or_b32 exec_lo, exec_lo, s25
	s_delay_alu instid0(SALU_CYCLE_1)
	s_and_b32 exec_lo, exec_lo, s5
	s_cbranch_execz .LBB171_2
	s_branch .LBB171_31
.LBB171_29:                             ;   in Loop: Header=BB171_4 Depth=1
	v_add_co_u32 v12, vcc_lo, v8, v6
	s_wait_alu 0xfffd
	v_add_co_ci_u32_e64 v13, null, v9, v7, vcc_lo
	flat_load_u16 v12, v[12:13]
	s_wait_loadcnt_dscnt 0x0
	v_mul_f16_e32 v27, s39, v12
	v_add_co_u32 v12, vcc_lo, v10, v6
	s_wait_alu 0xfffd
	v_add_co_ci_u32_e64 v13, null, v11, v7, vcc_lo
	s_delay_alu instid0(VALU_DEP_3)
	v_fmac_f16_e32 v27, s38, v26
	flat_store_b16 v[12:13], v27
	s_wait_alu 0xfffe
	s_or_b32 exec_lo, exec_lo, s25
	s_and_saveexec_b32 s25, s4
	s_cbranch_execz .LBB171_28
.LBB171_30:                             ;   in Loop: Header=BB171_4 Depth=1
	v_add_co_u32 v12, vcc_lo, v8, v6
	s_wait_alu 0xfffd
	v_add_co_ci_u32_e64 v13, null, v9, v7, vcc_lo
	flat_load_u16 v12, v[12:13] offset:32
	v_lshrrev_b32_e32 v13, 16, v26
	s_wait_loadcnt_dscnt 0x0
	v_mul_f16_e32 v26, s39, v12
	v_add_co_u32 v12, vcc_lo, v10, v6
	s_delay_alu instid0(VALU_DEP_2)
	v_fmac_f16_e32 v26, s38, v13
	s_wait_alu 0xfffd
	v_add_co_ci_u32_e64 v13, null, v11, v7, vcc_lo
	flat_store_b16 v[12:13], v26 offset:32
	s_wait_alu 0xfffe
	s_or_b32 exec_lo, exec_lo, s25
	s_delay_alu instid0(SALU_CYCLE_1)
	s_and_b32 exec_lo, exec_lo, s5
	s_cbranch_execz .LBB171_2
.LBB171_31:                             ;   in Loop: Header=BB171_4 Depth=1
	v_add_co_u32 v8, vcc_lo, v8, s20
	s_lshl_b64 s[26:27], s[6:7], 1
	s_wait_alu 0xfffd
	v_add_co_ci_u32_e64 v9, null, s21, v9, vcc_lo
	s_wait_alu 0xfffe
	v_add_co_u32 v10, vcc_lo, v10, s26
	s_wait_alu 0xfffd
	v_add_co_ci_u32_e64 v11, null, s27, v11, vcc_lo
	v_add_co_u32 v8, vcc_lo, v8, v6
	s_wait_alu 0xfffd
	v_add_co_ci_u32_e64 v9, null, v9, v7, vcc_lo
	;; [unrolled: 3-line block ×3, first 2 shown]
	s_and_saveexec_b32 s25, s3
	s_cbranch_execz .LBB171_33
; %bb.32:                               ;   in Loop: Header=BB171_4 Depth=1
	flat_load_u16 v10, v[8:9]
	s_wait_loadcnt_dscnt 0x0
	v_mul_f16_e32 v10, s39, v10
	s_delay_alu instid0(VALU_DEP_1)
	v_fmac_f16_e32 v10, s38, v25
	flat_store_b16 v[6:7], v10
.LBB171_33:                             ;   in Loop: Header=BB171_4 Depth=1
	s_wait_alu 0xfffe
	s_or_b32 exec_lo, exec_lo, s25
	s_delay_alu instid0(SALU_CYCLE_1)
	s_and_b32 exec_lo, exec_lo, s4
	s_cbranch_execz .LBB171_2
; %bb.34:                               ;   in Loop: Header=BB171_4 Depth=1
	flat_load_u16 v8, v[8:9] offset:32
	v_lshrrev_b32_e32 v9, 16, v25
	s_wait_loadcnt_dscnt 0x0
	v_mul_f16_e32 v8, s39, v8
	s_delay_alu instid0(VALU_DEP_1)
	v_fmac_f16_e32 v8, s38, v9
	flat_store_b16 v[6:7], v8 offset:32
	s_branch .LBB171_2
.LBB171_35:
	s_endpgm
	.section	.rodata,"a",@progbits
	.p2align	6, 0x0
	.amdhsa_kernel _ZN12_GLOBAL__N_135rocblas_gemm_batched_general_kernelIDF16_Li16ELi16ELi32ELi32ELi8ELi32ELi8ELi8ELi32ELc67ELc84EKPKDF16_S3_KPDF16_EEvlllT_PT11_llS8_llS6_PT12_llPT13_lli
		.amdhsa_group_segment_fixed_size 1024
		.amdhsa_private_segment_fixed_size 0
		.amdhsa_kernarg_size 140
		.amdhsa_user_sgpr_count 2
		.amdhsa_user_sgpr_dispatch_ptr 0
		.amdhsa_user_sgpr_queue_ptr 0
		.amdhsa_user_sgpr_kernarg_segment_ptr 1
		.amdhsa_user_sgpr_dispatch_id 0
		.amdhsa_user_sgpr_private_segment_size 0
		.amdhsa_wavefront_size32 1
		.amdhsa_uses_dynamic_stack 0
		.amdhsa_enable_private_segment 0
		.amdhsa_system_sgpr_workgroup_id_x 1
		.amdhsa_system_sgpr_workgroup_id_y 1
		.amdhsa_system_sgpr_workgroup_id_z 1
		.amdhsa_system_sgpr_workgroup_info 0
		.amdhsa_system_vgpr_workitem_id 1
		.amdhsa_next_free_vgpr 43
		.amdhsa_next_free_sgpr 44
		.amdhsa_reserve_vcc 1
		.amdhsa_float_round_mode_32 0
		.amdhsa_float_round_mode_16_64 0
		.amdhsa_float_denorm_mode_32 3
		.amdhsa_float_denorm_mode_16_64 3
		.amdhsa_fp16_overflow 0
		.amdhsa_workgroup_processor_mode 1
		.amdhsa_memory_ordered 1
		.amdhsa_forward_progress 1
		.amdhsa_inst_pref_size 19
		.amdhsa_round_robin_scheduling 0
		.amdhsa_exception_fp_ieee_invalid_op 0
		.amdhsa_exception_fp_denorm_src 0
		.amdhsa_exception_fp_ieee_div_zero 0
		.amdhsa_exception_fp_ieee_overflow 0
		.amdhsa_exception_fp_ieee_underflow 0
		.amdhsa_exception_fp_ieee_inexact 0
		.amdhsa_exception_int_div_zero 0
	.end_amdhsa_kernel
	.section	.text._ZN12_GLOBAL__N_135rocblas_gemm_batched_general_kernelIDF16_Li16ELi16ELi32ELi32ELi8ELi32ELi8ELi8ELi32ELc67ELc84EKPKDF16_S3_KPDF16_EEvlllT_PT11_llS8_llS6_PT12_llPT13_lli,"axG",@progbits,_ZN12_GLOBAL__N_135rocblas_gemm_batched_general_kernelIDF16_Li16ELi16ELi32ELi32ELi8ELi32ELi8ELi8ELi32ELc67ELc84EKPKDF16_S3_KPDF16_EEvlllT_PT11_llS8_llS6_PT12_llPT13_lli,comdat
.Lfunc_end171:
	.size	_ZN12_GLOBAL__N_135rocblas_gemm_batched_general_kernelIDF16_Li16ELi16ELi32ELi32ELi8ELi32ELi8ELi8ELi32ELc67ELc84EKPKDF16_S3_KPDF16_EEvlllT_PT11_llS8_llS6_PT12_llPT13_lli, .Lfunc_end171-_ZN12_GLOBAL__N_135rocblas_gemm_batched_general_kernelIDF16_Li16ELi16ELi32ELi32ELi8ELi32ELi8ELi8ELi32ELc67ELc84EKPKDF16_S3_KPDF16_EEvlllT_PT11_llS8_llS6_PT12_llPT13_lli
                                        ; -- End function
	.set _ZN12_GLOBAL__N_135rocblas_gemm_batched_general_kernelIDF16_Li16ELi16ELi32ELi32ELi8ELi32ELi8ELi8ELi32ELc67ELc84EKPKDF16_S3_KPDF16_EEvlllT_PT11_llS8_llS6_PT12_llPT13_lli.num_vgpr, 43
	.set _ZN12_GLOBAL__N_135rocblas_gemm_batched_general_kernelIDF16_Li16ELi16ELi32ELi32ELi8ELi32ELi8ELi8ELi32ELc67ELc84EKPKDF16_S3_KPDF16_EEvlllT_PT11_llS8_llS6_PT12_llPT13_lli.num_agpr, 0
	.set _ZN12_GLOBAL__N_135rocblas_gemm_batched_general_kernelIDF16_Li16ELi16ELi32ELi32ELi8ELi32ELi8ELi8ELi32ELc67ELc84EKPKDF16_S3_KPDF16_EEvlllT_PT11_llS8_llS6_PT12_llPT13_lli.numbered_sgpr, 44
	.set _ZN12_GLOBAL__N_135rocblas_gemm_batched_general_kernelIDF16_Li16ELi16ELi32ELi32ELi8ELi32ELi8ELi8ELi32ELc67ELc84EKPKDF16_S3_KPDF16_EEvlllT_PT11_llS8_llS6_PT12_llPT13_lli.num_named_barrier, 0
	.set _ZN12_GLOBAL__N_135rocblas_gemm_batched_general_kernelIDF16_Li16ELi16ELi32ELi32ELi8ELi32ELi8ELi8ELi32ELc67ELc84EKPKDF16_S3_KPDF16_EEvlllT_PT11_llS8_llS6_PT12_llPT13_lli.private_seg_size, 0
	.set _ZN12_GLOBAL__N_135rocblas_gemm_batched_general_kernelIDF16_Li16ELi16ELi32ELi32ELi8ELi32ELi8ELi8ELi32ELc67ELc84EKPKDF16_S3_KPDF16_EEvlllT_PT11_llS8_llS6_PT12_llPT13_lli.uses_vcc, 1
	.set _ZN12_GLOBAL__N_135rocblas_gemm_batched_general_kernelIDF16_Li16ELi16ELi32ELi32ELi8ELi32ELi8ELi8ELi32ELc67ELc84EKPKDF16_S3_KPDF16_EEvlllT_PT11_llS8_llS6_PT12_llPT13_lli.uses_flat_scratch, 0
	.set _ZN12_GLOBAL__N_135rocblas_gemm_batched_general_kernelIDF16_Li16ELi16ELi32ELi32ELi8ELi32ELi8ELi8ELi32ELc67ELc84EKPKDF16_S3_KPDF16_EEvlllT_PT11_llS8_llS6_PT12_llPT13_lli.has_dyn_sized_stack, 0
	.set _ZN12_GLOBAL__N_135rocblas_gemm_batched_general_kernelIDF16_Li16ELi16ELi32ELi32ELi8ELi32ELi8ELi8ELi32ELc67ELc84EKPKDF16_S3_KPDF16_EEvlllT_PT11_llS8_llS6_PT12_llPT13_lli.has_recursion, 0
	.set _ZN12_GLOBAL__N_135rocblas_gemm_batched_general_kernelIDF16_Li16ELi16ELi32ELi32ELi8ELi32ELi8ELi8ELi32ELc67ELc84EKPKDF16_S3_KPDF16_EEvlllT_PT11_llS8_llS6_PT12_llPT13_lli.has_indirect_call, 0
	.section	.AMDGPU.csdata,"",@progbits
; Kernel info:
; codeLenInByte = 2376
; TotalNumSgprs: 46
; NumVgprs: 43
; ScratchSize: 0
; MemoryBound: 0
; FloatMode: 240
; IeeeMode: 1
; LDSByteSize: 1024 bytes/workgroup (compile time only)
; SGPRBlocks: 0
; VGPRBlocks: 5
; NumSGPRsForWavesPerEU: 46
; NumVGPRsForWavesPerEU: 43
; Occupancy: 16
; WaveLimiterHint : 1
; COMPUTE_PGM_RSRC2:SCRATCH_EN: 0
; COMPUTE_PGM_RSRC2:USER_SGPR: 2
; COMPUTE_PGM_RSRC2:TRAP_HANDLER: 0
; COMPUTE_PGM_RSRC2:TGID_X_EN: 1
; COMPUTE_PGM_RSRC2:TGID_Y_EN: 1
; COMPUTE_PGM_RSRC2:TGID_Z_EN: 1
; COMPUTE_PGM_RSRC2:TIDIG_COMP_CNT: 1
	.section	.text._ZN12_GLOBAL__N_135rocblas_gemm_batched_general_kernelIDF16_Li16ELi16ELi32ELi32ELi8ELi32ELi8ELi8ELi32ELc78ELc67EKPKDF16_S3_KPDF16_EEvlllT_PT11_llS8_llS6_PT12_llPT13_lli,"axG",@progbits,_ZN12_GLOBAL__N_135rocblas_gemm_batched_general_kernelIDF16_Li16ELi16ELi32ELi32ELi8ELi32ELi8ELi8ELi32ELc78ELc67EKPKDF16_S3_KPDF16_EEvlllT_PT11_llS8_llS6_PT12_llPT13_lli,comdat
	.globl	_ZN12_GLOBAL__N_135rocblas_gemm_batched_general_kernelIDF16_Li16ELi16ELi32ELi32ELi8ELi32ELi8ELi8ELi32ELc78ELc67EKPKDF16_S3_KPDF16_EEvlllT_PT11_llS8_llS6_PT12_llPT13_lli ; -- Begin function _ZN12_GLOBAL__N_135rocblas_gemm_batched_general_kernelIDF16_Li16ELi16ELi32ELi32ELi8ELi32ELi8ELi8ELi32ELc78ELc67EKPKDF16_S3_KPDF16_EEvlllT_PT11_llS8_llS6_PT12_llPT13_lli
	.p2align	8
	.type	_ZN12_GLOBAL__N_135rocblas_gemm_batched_general_kernelIDF16_Li16ELi16ELi32ELi32ELi8ELi32ELi8ELi8ELi32ELc78ELc67EKPKDF16_S3_KPDF16_EEvlllT_PT11_llS8_llS6_PT12_llPT13_lli,@function
_ZN12_GLOBAL__N_135rocblas_gemm_batched_general_kernelIDF16_Li16ELi16ELi32ELi32ELi8ELi32ELi8ELi8ELi32ELc78ELc67EKPKDF16_S3_KPDF16_EEvlllT_PT11_llS8_llS6_PT12_llPT13_lli: ; @_ZN12_GLOBAL__N_135rocblas_gemm_batched_general_kernelIDF16_Li16ELi16ELi32ELi32ELi8ELi32ELi8ELi8ELi32ELc78ELc67EKPKDF16_S3_KPDF16_EEvlllT_PT11_llS8_llS6_PT12_llPT13_lli
; %bb.0:
	s_load_b32 s33, s[0:1], 0x88
	s_lshr_b32 s34, ttmp7, 16
	s_wait_kmcnt 0x0
	s_cmp_ge_i32 s34, s33
	s_cbranch_scc1 .LBB172_35
; %bb.1:
	v_bfe_u32 v4, v0, 10, 10
	s_mov_b32 s40, ttmp9
	s_ashr_i32 s41, ttmp9, 31
	s_clause 0x1
	s_load_b128 s[4:7], s[0:1], 0x0
	s_load_b96 s[36:38], s[0:1], 0x10
	s_lshl_b64 s[2:3], s[40:41], 5
	v_and_b32_e32 v6, 0x3ff, v0
	v_dual_mov_b32 v16, 0 :: v_dual_lshlrev_b32 v5, 4, v4
	s_clause 0x4
	s_load_b256 s[8:15], s[0:1], 0x20
	s_load_b128 s[28:31], s[0:1], 0x40
	s_load_b32 s39, s[0:1], 0x50
	s_load_b128 s[24:27], s[0:1], 0x78
	s_load_b256 s[16:23], s[0:1], 0x58
	s_and_b32 s43, ttmp7, 0xffff
	v_add_nc_u32_e32 v1, v5, v6
	v_and_b32_e32 v14, 7, v0
	s_lshl_b32 s42, s43, 5
	v_add_nc_u32_e32 v20, 0x200, v5
	s_mov_b32 s35, 0
	v_and_b32_e32 v2, 31, v1
	v_lshrrev_b32_e32 v23, 3, v1
	v_lshrrev_b32_e32 v15, 5, v1
	v_mov_b32_e32 v1, s3
	v_lshlrev_b32_e32 v19, 1, v6
	v_or_b32_e32 v0, s2, v2
	v_lshlrev_b32_e32 v24, 1, v2
	v_add_co_u32 v2, s0, v23, s42
	s_delay_alu instid0(VALU_DEP_1)
	v_add_co_ci_u32_e64 v3, null, 0, 0, s0
	v_add_co_u32 v4, s42, s42, v4
	s_wait_kmcnt 0x0
	v_cmp_gt_i64_e64 s0, s[4:5], v[0:1]
	v_add_co_u32 v0, s2, s2, v6
	s_wait_alu 0xf1ff
	v_add_co_ci_u32_e64 v1, null, s3, 0, s2
	v_cmp_gt_i64_e64 s1, s[6:7], v[2:3]
	v_mad_co_u64_u32 v[2:3], null, v4, s24, 0
	v_mad_co_u64_u32 v[10:11], null, v4, s18, 0
	v_add_co_u32 v8, vcc_lo, v0, 16
	s_delay_alu instid0(VALU_DEP_1) | instskip(SKIP_2) | instid1(VALU_DEP_3)
	v_add_co_ci_u32_e64 v9, null, 0, v1, vcc_lo
	v_cmp_gt_i64_e64 s3, s[4:5], v[0:1]
	v_add_co_ci_u32_e64 v5, null, 0, 0, s42
	v_cmp_gt_i64_e64 s4, s[4:5], v[8:9]
	v_mad_co_u64_u32 v[8:9], null, v4, s25, v[3:4]
	v_mov_b32_e32 v3, v11
	v_lshlrev_b32_e32 v7, 1, v14
	v_add_co_u32 v21, vcc_lo, v4, 16
	v_cmp_gt_i64_e64 s2, s[6:7], v[4:5]
	s_wait_alu 0xfffd
	v_add_co_ci_u32_e64 v22, null, 0, v5, vcc_lo
	v_lshl_or_b32 v7, v23, 4, v7
	v_mad_co_u64_u32 v[4:5], null, v4, s19, v[3:4]
	v_mov_b32_e32 v3, v8
	s_cmp_eq_f16 s39, 0
	s_delay_alu instid0(VALU_DEP_3)
	v_add_nc_u32_e32 v18, 0x200, v7
	v_mad_co_u64_u32 v[6:7], null, s28, v14, 0
	s_cselect_b32 s42, -1, 0
	v_cmp_gt_i64_e64 s5, s[6:7], v[21:22]
	s_lshl_b64 s[6:7], s[24:25], 4
	s_lshl_b32 s24, s43, 6
	s_mov_b32 s25, s35
	s_lshl_b64 s[30:31], s[30:31], 1
	v_mad_co_u64_u32 v[11:12], null, s29, v14, v[7:8]
	v_mad_co_u64_u32 v[12:13], null, s10, v15, 0
	s_lshl_b64 s[44:45], s[18:19], 4
	s_wait_alu 0xfffe
	s_add_nc_u64 s[18:19], s[30:31], s[24:25]
	s_lshl_b64 s[12:13], s[12:13], 1
	s_lshl_b64 s[20:21], s[20:21], 1
	v_mov_b32_e32 v7, v11
	v_mov_b32_e32 v11, v4
	;; [unrolled: 1-line block ×3, first 2 shown]
	v_lshl_or_b32 v17, v15, 6, v24
	s_lshl_b64 s[24:25], s[44:45], 1
	s_delay_alu instid0(VALU_DEP_2) | instskip(SKIP_2) | instid1(VALU_DEP_2)
	v_mad_co_u64_u32 v[8:9], null, s11, v15, v[5:6]
	v_lshlrev_b64_e32 v[4:5], 1, v[6:7]
	s_lshl_b64 s[10:11], s[10:11], 4
	v_dual_mov_b32 v13, v8 :: v_dual_lshlrev_b32 v8, 1, v23
	s_wait_alu 0xfffe
	s_delay_alu instid0(VALU_DEP_2)
	v_add_co_u32 v6, vcc_lo, s18, v4
	s_wait_alu 0xfffd
	v_add_co_ci_u32_e64 v7, null, s19, v5, vcc_lo
	v_lshlrev_b64_e32 v[4:5], 1, v[12:13]
	s_lshl_b64 s[18:19], s[40:41], 6
	v_add_co_u32 v21, vcc_lo, v6, v8
	s_wait_alu 0xfffe
	s_add_nc_u64 s[12:13], s[12:13], s[18:19]
	s_wait_alu 0xfffd
	v_add_co_ci_u32_e64 v22, null, 0, v7, vcc_lo
	v_add_co_u32 v4, vcc_lo, s12, v4
	s_wait_alu 0xfffd
	v_add_co_ci_u32_e64 v5, null, s13, v5, vcc_lo
	s_lshl_b64 s[12:13], s[28:29], 4
	v_add_co_u32 v23, vcc_lo, v4, v24
	s_wait_alu 0xfffd
	v_add_co_ci_u32_e64 v24, null, 0, v5, vcc_lo
	v_lshlrev_b64_e32 v[4:5], 1, v[10:11]
	v_cmp_gt_i64_e64 s28, s[36:37], 0
	s_lshl_b64 s[18:19], s[26:27], 1
	s_branch .LBB172_4
.LBB172_2:                              ;   in Loop: Header=BB172_4 Depth=1
	s_wait_alu 0xfffe
	s_or_b32 exec_lo, exec_lo, s26
.LBB172_3:                              ;   in Loop: Header=BB172_4 Depth=1
	s_add_co_i32 s34, s34, 0x10000
	s_delay_alu instid0(SALU_CYCLE_1)
	s_cmp_lt_i32 s34, s33
	s_cbranch_scc0 .LBB172_35
.LBB172_4:                              ; =>This Loop Header: Depth=1
                                        ;     Child Loop BB172_7 Depth 2
	s_lshl_b64 s[26:27], s[34:35], 3
	s_and_not1_b32 vcc_lo, exec_lo, s28
	s_wait_alu 0xfffe
	s_add_nc_u64 s[30:31], s[16:17], s[26:27]
	s_add_nc_u64 s[40:41], s[22:23], s[26:27]
	s_clause 0x1
	global_load_b64 v[6:7], v16, s[30:31]
	global_load_b64 v[8:9], v16, s[40:41]
	s_cbranch_vccnz .LBB172_11
; %bb.5:                                ;   in Loop: Header=BB172_4 Depth=1
	s_add_nc_u64 s[30:31], s[14:15], s[26:27]
	s_add_nc_u64 s[26:27], s[8:9], s[26:27]
	s_clause 0x1
	global_load_b64 v[10:11], v16, s[30:31]
	global_load_b64 v[12:13], v16, s[26:27]
	v_dual_mov_b32 v26, 0 :: v_dual_mov_b32 v25, 0
	s_mov_b64 s[26:27], 0
	s_wait_loadcnt 0x1
	v_add_co_u32 v10, vcc_lo, v10, v21
	s_wait_alu 0xfffd
	v_add_co_ci_u32_e64 v11, null, v11, v22, vcc_lo
	s_wait_loadcnt 0x0
	v_add_co_u32 v12, vcc_lo, v12, v23
	s_wait_alu 0xfffd
	v_add_co_ci_u32_e64 v13, null, v13, v24, vcc_lo
	s_branch .LBB172_7
.LBB172_6:                              ;   in Loop: Header=BB172_7 Depth=2
	s_wait_alu 0xfffe
	s_or_b32 exec_lo, exec_lo, s29
	s_wait_loadcnt_dscnt 0x0
	ds_store_b16 v18, v28
	s_wait_dscnt 0x0
	s_barrier_signal -1
	s_barrier_wait -1
	global_inv scope:SCOPE_SE
	ds_load_u16 v35, v19
	ds_load_u16 v36, v19 offset:64
	ds_load_u16 v37, v19 offset:128
	;; [unrolled: 1-line block ×7, first 2 shown]
	s_add_nc_u64 s[26:27], s[26:27], 8
	v_add_co_u32 v10, vcc_lo, v10, s12
	s_wait_alu 0xfffe
	v_cmp_lt_i64_e64 s29, s[26:27], s[36:37]
	s_wait_alu 0xfffd
	v_add_co_ci_u32_e64 v11, null, s13, v11, vcc_lo
	v_add_co_u32 v12, vcc_lo, v12, s10
	s_wait_alu 0xfffd
	v_add_co_ci_u32_e64 v13, null, s11, v13, vcc_lo
	s_and_b32 vcc_lo, exec_lo, s29
	s_wait_dscnt 0x7
	ds_load_u16_d16_hi v35, v19 offset:32
	ds_load_b128 v[27:30], v20
	ds_load_b128 v[31:34], v20 offset:256
	s_wait_dscnt 0x9
	ds_load_u16_d16_hi v36, v19 offset:96
	s_wait_dscnt 0x9
	ds_load_u16_d16_hi v37, v19 offset:160
	;; [unrolled: 2-line block ×7, first 2 shown]
	s_wait_loadcnt_dscnt 0x0
	s_barrier_signal -1
	s_barrier_wait -1
	global_inv scope:SCOPE_SE
	v_pk_fma_f16 v26, v35, v27, v26 op_sel_hi:[1,0,1]
	v_pk_fma_f16 v25, v35, v31, v25 op_sel_hi:[1,0,1]
	s_delay_alu instid0(VALU_DEP_2) | instskip(NEXT) | instid1(VALU_DEP_2)
	v_pk_fma_f16 v26, v36, v27, v26 op_sel:[0,1,0]
	v_pk_fma_f16 v25, v36, v31, v25 op_sel:[0,1,0]
	s_delay_alu instid0(VALU_DEP_2) | instskip(NEXT) | instid1(VALU_DEP_2)
	v_pk_fma_f16 v26, v37, v28, v26 op_sel_hi:[1,0,1]
	v_pk_fma_f16 v25, v37, v32, v25 op_sel_hi:[1,0,1]
	s_delay_alu instid0(VALU_DEP_2) | instskip(NEXT) | instid1(VALU_DEP_2)
	v_pk_fma_f16 v26, v38, v28, v26 op_sel:[0,1,0]
	v_pk_fma_f16 v25, v38, v32, v25 op_sel:[0,1,0]
	s_delay_alu instid0(VALU_DEP_2) | instskip(NEXT) | instid1(VALU_DEP_2)
	;; [unrolled: 6-line block ×3, first 2 shown]
	v_pk_fma_f16 v26, v41, v30, v26 op_sel_hi:[1,0,1]
	v_pk_fma_f16 v25, v41, v34, v25 op_sel_hi:[1,0,1]
	s_delay_alu instid0(VALU_DEP_2) | instskip(NEXT) | instid1(VALU_DEP_2)
	v_pk_fma_f16 v26, v42, v30, v26 op_sel:[0,1,0]
	v_pk_fma_f16 v25, v42, v34, v25 op_sel:[0,1,0]
	s_wait_alu 0xfffe
	s_cbranch_vccz .LBB172_12
.LBB172_7:                              ;   Parent Loop BB172_4 Depth=1
                                        ; =>  This Inner Loop Header: Depth=2
	s_wait_alu 0xfffe
	v_add_co_u32 v27, s29, v15, s26
	s_wait_alu 0xf1ff
	v_add_co_ci_u32_e64 v28, null, 0, s27, s29
	s_delay_alu instid0(VALU_DEP_1)
	v_cmp_gt_i64_e32 vcc_lo, s[36:37], v[27:28]
	v_mov_b32_e32 v27, 0
	s_and_b32 s30, s0, vcc_lo
	s_wait_alu 0xfffe
	s_and_saveexec_b32 s29, s30
	s_cbranch_execz .LBB172_9
; %bb.8:                                ;   in Loop: Header=BB172_7 Depth=2
	flat_load_u16 v27, v[12:13]
.LBB172_9:                              ;   in Loop: Header=BB172_7 Depth=2
	s_wait_alu 0xfffe
	s_or_b32 exec_lo, exec_lo, s29
	v_add_co_u32 v28, s29, v14, s26
	s_wait_alu 0xf1ff
	v_add_co_ci_u32_e64 v29, null, 0, s27, s29
	s_wait_loadcnt_dscnt 0x0
	ds_store_b16 v17, v27
	v_cmp_gt_i64_e32 vcc_lo, s[36:37], v[28:29]
	v_mov_b32_e32 v28, 0
	s_and_b32 s30, vcc_lo, s1
	s_wait_alu 0xfffe
	s_and_saveexec_b32 s29, s30
	s_cbranch_execz .LBB172_6
; %bb.10:                               ;   in Loop: Header=BB172_7 Depth=2
	flat_load_u16 v28, v[10:11]
	s_branch .LBB172_6
.LBB172_11:                             ;   in Loop: Header=BB172_4 Depth=1
	v_dual_mov_b32 v26, 0 :: v_dual_mov_b32 v25, 0
.LBB172_12:                             ;   in Loop: Header=BB172_4 Depth=1
	s_wait_loadcnt 0x0
	v_add_co_u32 v10, vcc_lo, v8, s18
	s_wait_alu 0xfffd
	v_add_co_ci_u32_e64 v11, null, s19, v9, vcc_lo
	s_and_not1_b32 vcc_lo, exec_lo, s42
	s_wait_alu 0xfffe
	s_cbranch_vccnz .LBB172_17
; %bb.13:                               ;   in Loop: Header=BB172_4 Depth=1
	s_and_saveexec_b32 s26, s2
	s_cbranch_execz .LBB172_24
; %bb.14:                               ;   in Loop: Header=BB172_4 Depth=1
	v_lshlrev_b64_e32 v[8:9], 1, v[2:3]
	s_delay_alu instid0(VALU_DEP_1) | instskip(SKIP_1) | instid1(VALU_DEP_2)
	v_add_co_u32 v8, vcc_lo, v10, v8
	s_wait_alu 0xfffd
	v_add_co_ci_u32_e64 v9, null, v11, v9, vcc_lo
	s_and_saveexec_b32 s27, s3
	s_cbranch_execnz .LBB172_18
; %bb.15:                               ;   in Loop: Header=BB172_4 Depth=1
	s_wait_alu 0xfffe
	s_or_b32 exec_lo, exec_lo, s27
	s_and_saveexec_b32 s27, s4
	s_cbranch_execnz .LBB172_19
.LBB172_16:                             ;   in Loop: Header=BB172_4 Depth=1
	s_wait_alu 0xfffe
	s_or_b32 exec_lo, exec_lo, s27
	s_delay_alu instid0(SALU_CYCLE_1)
	s_and_b32 exec_lo, exec_lo, s5
	s_cbranch_execnz .LBB172_20
	s_branch .LBB172_24
.LBB172_17:                             ;   in Loop: Header=BB172_4 Depth=1
	s_branch .LBB172_25
.LBB172_18:                             ;   in Loop: Header=BB172_4 Depth=1
	v_lshlrev_b64_e32 v[12:13], 1, v[0:1]
	v_mul_f16_e32 v27, s38, v26
	s_delay_alu instid0(VALU_DEP_2) | instskip(SKIP_1) | instid1(VALU_DEP_3)
	v_add_co_u32 v12, vcc_lo, v8, v12
	s_wait_alu 0xfffd
	v_add_co_ci_u32_e64 v13, null, v9, v13, vcc_lo
	flat_store_b16 v[12:13], v27
	s_wait_alu 0xfffe
	s_or_b32 exec_lo, exec_lo, s27
	s_and_saveexec_b32 s27, s4
	s_cbranch_execz .LBB172_16
.LBB172_19:                             ;   in Loop: Header=BB172_4 Depth=1
	v_lshlrev_b64_e32 v[12:13], 1, v[0:1]
	v_lshrrev_b32_e32 v27, 16, v26
	s_delay_alu instid0(VALU_DEP_1) | instskip(NEXT) | instid1(VALU_DEP_3)
	v_mul_f16_e32 v27, s38, v27
	v_add_co_u32 v12, vcc_lo, v8, v12
	s_wait_alu 0xfffd
	s_delay_alu instid0(VALU_DEP_4) | instskip(SKIP_3) | instid1(SALU_CYCLE_1)
	v_add_co_ci_u32_e64 v13, null, v9, v13, vcc_lo
	flat_store_b16 v[12:13], v27 offset:32
	s_wait_alu 0xfffe
	s_or_b32 exec_lo, exec_lo, s27
	s_and_b32 exec_lo, exec_lo, s5
	s_cbranch_execz .LBB172_24
.LBB172_20:                             ;   in Loop: Header=BB172_4 Depth=1
	s_lshl_b64 s[30:31], s[6:7], 1
	v_lshlrev_b64_e32 v[12:13], 1, v[0:1]
	s_wait_alu 0xfffe
	v_add_co_u32 v8, vcc_lo, v8, s30
	s_wait_alu 0xfffd
	v_add_co_ci_u32_e64 v9, null, s31, v9, vcc_lo
	s_delay_alu instid0(VALU_DEP_2) | instskip(SKIP_1) | instid1(VALU_DEP_2)
	v_add_co_u32 v8, vcc_lo, v8, v12
	s_wait_alu 0xfffd
	v_add_co_ci_u32_e64 v9, null, v9, v13, vcc_lo
	s_and_saveexec_b32 s27, s3
	s_cbranch_execz .LBB172_22
; %bb.21:                               ;   in Loop: Header=BB172_4 Depth=1
	v_mul_f16_e32 v12, s38, v25
	flat_store_b16 v[8:9], v12
.LBB172_22:                             ;   in Loop: Header=BB172_4 Depth=1
	s_wait_alu 0xfffe
	s_or_b32 exec_lo, exec_lo, s27
	s_delay_alu instid0(SALU_CYCLE_1)
	s_and_b32 exec_lo, exec_lo, s4
	s_cbranch_execz .LBB172_24
; %bb.23:                               ;   in Loop: Header=BB172_4 Depth=1
	v_lshrrev_b32_e32 v12, 16, v25
	s_delay_alu instid0(VALU_DEP_1)
	v_mul_f16_e32 v12, s38, v12
	flat_store_b16 v[8:9], v12 offset:32
.LBB172_24:                             ;   in Loop: Header=BB172_4 Depth=1
	s_wait_alu 0xfffe
	s_or_b32 exec_lo, exec_lo, s26
	s_cbranch_execnz .LBB172_3
.LBB172_25:                             ;   in Loop: Header=BB172_4 Depth=1
	s_and_saveexec_b32 s26, s2
	s_cbranch_execz .LBB172_2
; %bb.26:                               ;   in Loop: Header=BB172_4 Depth=1
	v_add_co_u32 v6, vcc_lo, v6, s20
	v_lshlrev_b64_e32 v[12:13], 1, v[2:3]
	s_wait_alu 0xfffd
	v_add_co_ci_u32_e64 v7, null, s21, v7, vcc_lo
	s_delay_alu instid0(VALU_DEP_3) | instskip(SKIP_1) | instid1(VALU_DEP_2)
	v_add_co_u32 v8, vcc_lo, v6, v4
	s_wait_alu 0xfffd
	v_add_co_ci_u32_e64 v9, null, v7, v5, vcc_lo
	v_add_co_u32 v10, vcc_lo, v10, v12
	v_lshlrev_b64_e32 v[6:7], 1, v[0:1]
	s_wait_alu 0xfffd
	v_add_co_ci_u32_e64 v11, null, v11, v13, vcc_lo
	s_and_saveexec_b32 s27, s3
	s_cbranch_execnz .LBB172_29
; %bb.27:                               ;   in Loop: Header=BB172_4 Depth=1
	s_wait_alu 0xfffe
	s_or_b32 exec_lo, exec_lo, s27
	s_and_saveexec_b32 s27, s4
	s_cbranch_execnz .LBB172_30
.LBB172_28:                             ;   in Loop: Header=BB172_4 Depth=1
	s_wait_alu 0xfffe
	s_or_b32 exec_lo, exec_lo, s27
	s_delay_alu instid0(SALU_CYCLE_1)
	s_and_b32 exec_lo, exec_lo, s5
	s_cbranch_execz .LBB172_2
	s_branch .LBB172_31
.LBB172_29:                             ;   in Loop: Header=BB172_4 Depth=1
	v_add_co_u32 v12, vcc_lo, v8, v6
	s_wait_alu 0xfffd
	v_add_co_ci_u32_e64 v13, null, v9, v7, vcc_lo
	flat_load_u16 v12, v[12:13]
	s_wait_loadcnt_dscnt 0x0
	v_mul_f16_e32 v27, s39, v12
	v_add_co_u32 v12, vcc_lo, v10, v6
	s_wait_alu 0xfffd
	v_add_co_ci_u32_e64 v13, null, v11, v7, vcc_lo
	s_delay_alu instid0(VALU_DEP_3)
	v_fmac_f16_e32 v27, s38, v26
	flat_store_b16 v[12:13], v27
	s_wait_alu 0xfffe
	s_or_b32 exec_lo, exec_lo, s27
	s_and_saveexec_b32 s27, s4
	s_cbranch_execz .LBB172_28
.LBB172_30:                             ;   in Loop: Header=BB172_4 Depth=1
	v_add_co_u32 v12, vcc_lo, v8, v6
	s_wait_alu 0xfffd
	v_add_co_ci_u32_e64 v13, null, v9, v7, vcc_lo
	flat_load_u16 v12, v[12:13] offset:32
	v_lshrrev_b32_e32 v13, 16, v26
	s_wait_loadcnt_dscnt 0x0
	v_mul_f16_e32 v26, s39, v12
	v_add_co_u32 v12, vcc_lo, v10, v6
	s_delay_alu instid0(VALU_DEP_2)
	v_fmac_f16_e32 v26, s38, v13
	s_wait_alu 0xfffd
	v_add_co_ci_u32_e64 v13, null, v11, v7, vcc_lo
	flat_store_b16 v[12:13], v26 offset:32
	s_wait_alu 0xfffe
	s_or_b32 exec_lo, exec_lo, s27
	s_delay_alu instid0(SALU_CYCLE_1)
	s_and_b32 exec_lo, exec_lo, s5
	s_cbranch_execz .LBB172_2
.LBB172_31:                             ;   in Loop: Header=BB172_4 Depth=1
	v_add_co_u32 v8, vcc_lo, v8, s24
	s_lshl_b64 s[30:31], s[6:7], 1
	s_wait_alu 0xfffd
	v_add_co_ci_u32_e64 v9, null, s25, v9, vcc_lo
	s_wait_alu 0xfffe
	v_add_co_u32 v10, vcc_lo, v10, s30
	s_wait_alu 0xfffd
	v_add_co_ci_u32_e64 v11, null, s31, v11, vcc_lo
	v_add_co_u32 v8, vcc_lo, v8, v6
	s_wait_alu 0xfffd
	v_add_co_ci_u32_e64 v9, null, v9, v7, vcc_lo
	;; [unrolled: 3-line block ×3, first 2 shown]
	s_and_saveexec_b32 s27, s3
	s_cbranch_execz .LBB172_33
; %bb.32:                               ;   in Loop: Header=BB172_4 Depth=1
	flat_load_u16 v10, v[8:9]
	s_wait_loadcnt_dscnt 0x0
	v_mul_f16_e32 v10, s39, v10
	s_delay_alu instid0(VALU_DEP_1)
	v_fmac_f16_e32 v10, s38, v25
	flat_store_b16 v[6:7], v10
.LBB172_33:                             ;   in Loop: Header=BB172_4 Depth=1
	s_wait_alu 0xfffe
	s_or_b32 exec_lo, exec_lo, s27
	s_delay_alu instid0(SALU_CYCLE_1)
	s_and_b32 exec_lo, exec_lo, s4
	s_cbranch_execz .LBB172_2
; %bb.34:                               ;   in Loop: Header=BB172_4 Depth=1
	flat_load_u16 v8, v[8:9] offset:32
	v_lshrrev_b32_e32 v9, 16, v25
	s_wait_loadcnt_dscnt 0x0
	v_mul_f16_e32 v8, s39, v8
	s_delay_alu instid0(VALU_DEP_1)
	v_fmac_f16_e32 v8, s38, v9
	flat_store_b16 v[6:7], v8 offset:32
	s_branch .LBB172_2
.LBB172_35:
	s_endpgm
	.section	.rodata,"a",@progbits
	.p2align	6, 0x0
	.amdhsa_kernel _ZN12_GLOBAL__N_135rocblas_gemm_batched_general_kernelIDF16_Li16ELi16ELi32ELi32ELi8ELi32ELi8ELi8ELi32ELc78ELc67EKPKDF16_S3_KPDF16_EEvlllT_PT11_llS8_llS6_PT12_llPT13_lli
		.amdhsa_group_segment_fixed_size 1024
		.amdhsa_private_segment_fixed_size 0
		.amdhsa_kernarg_size 140
		.amdhsa_user_sgpr_count 2
		.amdhsa_user_sgpr_dispatch_ptr 0
		.amdhsa_user_sgpr_queue_ptr 0
		.amdhsa_user_sgpr_kernarg_segment_ptr 1
		.amdhsa_user_sgpr_dispatch_id 0
		.amdhsa_user_sgpr_private_segment_size 0
		.amdhsa_wavefront_size32 1
		.amdhsa_uses_dynamic_stack 0
		.amdhsa_enable_private_segment 0
		.amdhsa_system_sgpr_workgroup_id_x 1
		.amdhsa_system_sgpr_workgroup_id_y 1
		.amdhsa_system_sgpr_workgroup_id_z 1
		.amdhsa_system_sgpr_workgroup_info 0
		.amdhsa_system_vgpr_workitem_id 1
		.amdhsa_next_free_vgpr 43
		.amdhsa_next_free_sgpr 46
		.amdhsa_reserve_vcc 1
		.amdhsa_float_round_mode_32 0
		.amdhsa_float_round_mode_16_64 0
		.amdhsa_float_denorm_mode_32 3
		.amdhsa_float_denorm_mode_16_64 3
		.amdhsa_fp16_overflow 0
		.amdhsa_workgroup_processor_mode 1
		.amdhsa_memory_ordered 1
		.amdhsa_forward_progress 1
		.amdhsa_inst_pref_size 19
		.amdhsa_round_robin_scheduling 0
		.amdhsa_exception_fp_ieee_invalid_op 0
		.amdhsa_exception_fp_denorm_src 0
		.amdhsa_exception_fp_ieee_div_zero 0
		.amdhsa_exception_fp_ieee_overflow 0
		.amdhsa_exception_fp_ieee_underflow 0
		.amdhsa_exception_fp_ieee_inexact 0
		.amdhsa_exception_int_div_zero 0
	.end_amdhsa_kernel
	.section	.text._ZN12_GLOBAL__N_135rocblas_gemm_batched_general_kernelIDF16_Li16ELi16ELi32ELi32ELi8ELi32ELi8ELi8ELi32ELc78ELc67EKPKDF16_S3_KPDF16_EEvlllT_PT11_llS8_llS6_PT12_llPT13_lli,"axG",@progbits,_ZN12_GLOBAL__N_135rocblas_gemm_batched_general_kernelIDF16_Li16ELi16ELi32ELi32ELi8ELi32ELi8ELi8ELi32ELc78ELc67EKPKDF16_S3_KPDF16_EEvlllT_PT11_llS8_llS6_PT12_llPT13_lli,comdat
.Lfunc_end172:
	.size	_ZN12_GLOBAL__N_135rocblas_gemm_batched_general_kernelIDF16_Li16ELi16ELi32ELi32ELi8ELi32ELi8ELi8ELi32ELc78ELc67EKPKDF16_S3_KPDF16_EEvlllT_PT11_llS8_llS6_PT12_llPT13_lli, .Lfunc_end172-_ZN12_GLOBAL__N_135rocblas_gemm_batched_general_kernelIDF16_Li16ELi16ELi32ELi32ELi8ELi32ELi8ELi8ELi32ELc78ELc67EKPKDF16_S3_KPDF16_EEvlllT_PT11_llS8_llS6_PT12_llPT13_lli
                                        ; -- End function
	.set _ZN12_GLOBAL__N_135rocblas_gemm_batched_general_kernelIDF16_Li16ELi16ELi32ELi32ELi8ELi32ELi8ELi8ELi32ELc78ELc67EKPKDF16_S3_KPDF16_EEvlllT_PT11_llS8_llS6_PT12_llPT13_lli.num_vgpr, 43
	.set _ZN12_GLOBAL__N_135rocblas_gemm_batched_general_kernelIDF16_Li16ELi16ELi32ELi32ELi8ELi32ELi8ELi8ELi32ELc78ELc67EKPKDF16_S3_KPDF16_EEvlllT_PT11_llS8_llS6_PT12_llPT13_lli.num_agpr, 0
	.set _ZN12_GLOBAL__N_135rocblas_gemm_batched_general_kernelIDF16_Li16ELi16ELi32ELi32ELi8ELi32ELi8ELi8ELi32ELc78ELc67EKPKDF16_S3_KPDF16_EEvlllT_PT11_llS8_llS6_PT12_llPT13_lli.numbered_sgpr, 46
	.set _ZN12_GLOBAL__N_135rocblas_gemm_batched_general_kernelIDF16_Li16ELi16ELi32ELi32ELi8ELi32ELi8ELi8ELi32ELc78ELc67EKPKDF16_S3_KPDF16_EEvlllT_PT11_llS8_llS6_PT12_llPT13_lli.num_named_barrier, 0
	.set _ZN12_GLOBAL__N_135rocblas_gemm_batched_general_kernelIDF16_Li16ELi16ELi32ELi32ELi8ELi32ELi8ELi8ELi32ELc78ELc67EKPKDF16_S3_KPDF16_EEvlllT_PT11_llS8_llS6_PT12_llPT13_lli.private_seg_size, 0
	.set _ZN12_GLOBAL__N_135rocblas_gemm_batched_general_kernelIDF16_Li16ELi16ELi32ELi32ELi8ELi32ELi8ELi8ELi32ELc78ELc67EKPKDF16_S3_KPDF16_EEvlllT_PT11_llS8_llS6_PT12_llPT13_lli.uses_vcc, 1
	.set _ZN12_GLOBAL__N_135rocblas_gemm_batched_general_kernelIDF16_Li16ELi16ELi32ELi32ELi8ELi32ELi8ELi8ELi32ELc78ELc67EKPKDF16_S3_KPDF16_EEvlllT_PT11_llS8_llS6_PT12_llPT13_lli.uses_flat_scratch, 0
	.set _ZN12_GLOBAL__N_135rocblas_gemm_batched_general_kernelIDF16_Li16ELi16ELi32ELi32ELi8ELi32ELi8ELi8ELi32ELc78ELc67EKPKDF16_S3_KPDF16_EEvlllT_PT11_llS8_llS6_PT12_llPT13_lli.has_dyn_sized_stack, 0
	.set _ZN12_GLOBAL__N_135rocblas_gemm_batched_general_kernelIDF16_Li16ELi16ELi32ELi32ELi8ELi32ELi8ELi8ELi32ELc78ELc67EKPKDF16_S3_KPDF16_EEvlllT_PT11_llS8_llS6_PT12_llPT13_lli.has_recursion, 0
	.set _ZN12_GLOBAL__N_135rocblas_gemm_batched_general_kernelIDF16_Li16ELi16ELi32ELi32ELi8ELi32ELi8ELi8ELi32ELc78ELc67EKPKDF16_S3_KPDF16_EEvlllT_PT11_llS8_llS6_PT12_llPT13_lli.has_indirect_call, 0
	.section	.AMDGPU.csdata,"",@progbits
; Kernel info:
; codeLenInByte = 2368
; TotalNumSgprs: 48
; NumVgprs: 43
; ScratchSize: 0
; MemoryBound: 0
; FloatMode: 240
; IeeeMode: 1
; LDSByteSize: 1024 bytes/workgroup (compile time only)
; SGPRBlocks: 0
; VGPRBlocks: 5
; NumSGPRsForWavesPerEU: 48
; NumVGPRsForWavesPerEU: 43
; Occupancy: 16
; WaveLimiterHint : 1
; COMPUTE_PGM_RSRC2:SCRATCH_EN: 0
; COMPUTE_PGM_RSRC2:USER_SGPR: 2
; COMPUTE_PGM_RSRC2:TRAP_HANDLER: 0
; COMPUTE_PGM_RSRC2:TGID_X_EN: 1
; COMPUTE_PGM_RSRC2:TGID_Y_EN: 1
; COMPUTE_PGM_RSRC2:TGID_Z_EN: 1
; COMPUTE_PGM_RSRC2:TIDIG_COMP_CNT: 1
	.section	.text._ZN12_GLOBAL__N_135rocblas_gemm_batched_general_kernelIDF16_Li16ELi16ELi32ELi32ELi8ELi32ELi8ELi8ELi32ELc84ELc67EKPKDF16_S3_KPDF16_EEvlllT_PT11_llS8_llS6_PT12_llPT13_lli,"axG",@progbits,_ZN12_GLOBAL__N_135rocblas_gemm_batched_general_kernelIDF16_Li16ELi16ELi32ELi32ELi8ELi32ELi8ELi8ELi32ELc84ELc67EKPKDF16_S3_KPDF16_EEvlllT_PT11_llS8_llS6_PT12_llPT13_lli,comdat
	.globl	_ZN12_GLOBAL__N_135rocblas_gemm_batched_general_kernelIDF16_Li16ELi16ELi32ELi32ELi8ELi32ELi8ELi8ELi32ELc84ELc67EKPKDF16_S3_KPDF16_EEvlllT_PT11_llS8_llS6_PT12_llPT13_lli ; -- Begin function _ZN12_GLOBAL__N_135rocblas_gemm_batched_general_kernelIDF16_Li16ELi16ELi32ELi32ELi8ELi32ELi8ELi8ELi32ELc84ELc67EKPKDF16_S3_KPDF16_EEvlllT_PT11_llS8_llS6_PT12_llPT13_lli
	.p2align	8
	.type	_ZN12_GLOBAL__N_135rocblas_gemm_batched_general_kernelIDF16_Li16ELi16ELi32ELi32ELi8ELi32ELi8ELi8ELi32ELc84ELc67EKPKDF16_S3_KPDF16_EEvlllT_PT11_llS8_llS6_PT12_llPT13_lli,@function
_ZN12_GLOBAL__N_135rocblas_gemm_batched_general_kernelIDF16_Li16ELi16ELi32ELi32ELi8ELi32ELi8ELi8ELi32ELc84ELc67EKPKDF16_S3_KPDF16_EEvlllT_PT11_llS8_llS6_PT12_llPT13_lli: ; @_ZN12_GLOBAL__N_135rocblas_gemm_batched_general_kernelIDF16_Li16ELi16ELi32ELi32ELi8ELi32ELi8ELi8ELi32ELc84ELc67EKPKDF16_S3_KPDF16_EEvlllT_PT11_llS8_llS6_PT12_llPT13_lli
; %bb.0:
	s_load_b32 s33, s[0:1], 0x88
	s_lshr_b32 s34, ttmp7, 16
	s_wait_kmcnt 0x0
	s_cmp_ge_i32 s34, s33
	s_cbranch_scc1 .LBB173_35
; %bb.1:
	s_clause 0x5
	s_load_b128 s[4:7], s[0:1], 0x0
	s_load_b96 s[36:38], s[0:1], 0x10
	s_load_b256 s[8:15], s[0:1], 0x20
	s_load_b128 s[28:31], s[0:1], 0x40
	s_load_b32 s39, s[0:1], 0x50
	s_load_b128 s[24:27], s[0:1], 0x78
	s_mov_b32 s2, ttmp9
	s_ashr_i32 s3, ttmp9, 31
	v_bfe_u32 v2, v0, 10, 10
	s_lshl_b64 s[42:43], s[2:3], 5
	s_delay_alu instid0(SALU_CYCLE_1) | instskip(SKIP_3) | instid1(VALU_DEP_2)
	v_dual_mov_b32 v5, s43 :: v_dual_and_b32 v14, 7, v0
	v_dual_mov_b32 v16, 0 :: v_dual_and_b32 v3, 0x3ff, v0
	s_load_b256 s[16:23], s[0:1], 0x58
	s_and_b32 s41, ttmp7, 0xffff
	v_lshlrev_b32_e32 v8, 1, v14
	s_lshl_b32 s2, s41, 5
	s_mov_b32 s35, 0
	s_wait_kmcnt 0x0
	v_mad_co_u64_u32 v[9:10], null, s28, v14, 0
	v_lshlrev_b32_e32 v7, 4, v2
	s_cmp_eq_f16 s39, 0
	s_delay_alu instid0(VALU_DEP_1) | instskip(SKIP_3) | instid1(VALU_DEP_2)
	v_add_nc_u32_e32 v1, v7, v3
	v_add_nc_u32_e32 v20, 0x200, v7
	s_cselect_b32 s40, -1, 0
	s_lshl_b64 s[30:31], s[30:31], 1
	v_and_b32_e32 v0, 31, v1
	v_lshrrev_b32_e32 v13, 3, v1
	v_lshrrev_b32_e32 v15, 5, v1
	s_delay_alu instid0(VALU_DEP_3) | instskip(SKIP_1) | instid1(VALU_DEP_4)
	v_or_b32_e32 v4, s42, v0
	v_lshlrev_b32_e32 v6, 1, v0
	v_add_co_u32 v0, s0, v13, s2
	s_delay_alu instid0(VALU_DEP_1) | instskip(SKIP_3) | instid1(VALU_DEP_4)
	v_add_co_ci_u32_e64 v1, null, 0, 0, s0
	v_lshl_or_b32 v8, v13, 4, v8
	v_cmp_gt_i64_e64 s0, s[4:5], v[4:5]
	v_add_co_u32 v5, s2, s2, v2
	v_cmp_gt_i64_e64 s1, s[6:7], v[0:1]
	s_delay_alu instid0(VALU_DEP_4) | instskip(SKIP_1) | instid1(VALU_DEP_4)
	v_add_nc_u32_e32 v18, 0x200, v8
	v_add_co_u32 v2, s3, s42, v3
	v_mad_co_u64_u32 v[0:1], null, v5, s24, 0
	v_mad_co_u64_u32 v[7:8], null, v5, s18, 0
	v_lshl_or_b32 v17, v15, 6, v6
	s_wait_alu 0xf1ff
	v_add_co_ci_u32_e64 v6, null, 0, 0, s2
	v_add_co_u32 v11, vcc_lo, v2, 16
	v_mad_co_u64_u32 v[21:22], null, v5, s25, v[1:2]
	v_dual_mov_b32 v1, v8 :: v_dual_mov_b32 v8, v10
	s_delay_alu instid0(VALU_DEP_4) | instskip(NEXT) | instid1(VALU_DEP_2)
	v_cmp_gt_i64_e64 s2, s[6:7], v[5:6]
	v_mad_co_u64_u32 v[24:25], null, s29, v14, v[8:9]
	v_lshlrev_b32_e32 v19, 1, v3
	v_add_co_ci_u32_e64 v3, null, s43, 0, s3
	s_delay_alu instid0(VALU_DEP_1)
	v_add_co_ci_u32_e64 v12, null, 0, v3, vcc_lo
	v_add_co_u32 v22, vcc_lo, v5, 16
	s_wait_alu 0xfffd
	v_add_co_ci_u32_e64 v23, null, 0, v6, vcc_lo
	v_mad_co_u64_u32 v[5:6], null, v5, s19, v[1:2]
	v_mul_lo_u32 v6, s11, v4
	v_mov_b32_e32 v10, v24
	v_cmp_gt_i64_e64 s3, s[4:5], v[2:3]
	v_cmp_gt_i64_e64 s4, s[4:5], v[11:12]
	;; [unrolled: 1-line block ×3, first 2 shown]
	s_lshl_b64 s[6:7], s[24:25], 4
	v_mov_b32_e32 v8, v5
	v_mad_co_u64_u32 v[4:5], null, s10, v4, 0
	v_lshlrev_b64_e32 v[9:10], 1, v[9:10]
	s_mul_i32 s10, s10, s43
	s_lshl_b64 s[24:25], s[18:19], 4
	s_lshl_b32 s18, s41, 6
	s_mov_b32 s19, s35
	v_lshlrev_b32_e32 v11, 1, v13
	s_wait_alu 0xfffe
	v_add3_u32 v5, v5, s10, v6
	s_add_nc_u64 s[18:19], s[30:31], s[18:19]
	v_mov_b32_e32 v1, v21
	s_wait_alu 0xfffe
	v_add_co_u32 v6, vcc_lo, s18, v9
	v_lshlrev_b64_e32 v[4:5], 1, v[4:5]
	s_wait_alu 0xfffd
	v_add_co_ci_u32_e64 v9, null, s19, v10, vcc_lo
	s_delay_alu instid0(VALU_DEP_3)
	v_add_co_u32 v21, vcc_lo, v6, v11
	s_lshl_b64 s[10:11], s[12:13], 1
	s_wait_alu 0xfffd
	v_add_co_ci_u32_e64 v22, null, 0, v9, vcc_lo
	v_lshlrev_b32_e32 v6, 1, v15
	s_wait_alu 0xfffe
	v_add_co_u32 v4, vcc_lo, v4, s10
	s_wait_alu 0xfffd
	v_add_co_ci_u32_e64 v5, null, s11, v5, vcc_lo
	s_lshl_b64 s[10:11], s[28:29], 4
	v_add_co_u32 v23, vcc_lo, v4, v6
	s_wait_alu 0xfffd
	v_add_co_ci_u32_e64 v24, null, 0, v5, vcc_lo
	v_lshlrev_b64_e32 v[4:5], 1, v[7:8]
	v_cmp_gt_i64_e64 s28, s[36:37], 0
	s_lshl_b64 s[12:13], s[26:27], 1
	s_lshl_b64 s[18:19], s[20:21], 1
	;; [unrolled: 1-line block ×3, first 2 shown]
	s_branch .LBB173_4
.LBB173_2:                              ;   in Loop: Header=BB173_4 Depth=1
	s_wait_alu 0xfffe
	s_or_b32 exec_lo, exec_lo, s24
.LBB173_3:                              ;   in Loop: Header=BB173_4 Depth=1
	s_add_co_i32 s34, s34, 0x10000
	s_delay_alu instid0(SALU_CYCLE_1)
	s_cmp_lt_i32 s34, s33
	s_cbranch_scc0 .LBB173_35
.LBB173_4:                              ; =>This Loop Header: Depth=1
                                        ;     Child Loop BB173_7 Depth 2
	s_lshl_b64 s[24:25], s[34:35], 3
	s_and_not1_b32 vcc_lo, exec_lo, s28
	s_wait_alu 0xfffe
	s_add_nc_u64 s[26:27], s[16:17], s[24:25]
	s_add_nc_u64 s[30:31], s[22:23], s[24:25]
	s_clause 0x1
	global_load_b64 v[6:7], v16, s[26:27]
	global_load_b64 v[8:9], v16, s[30:31]
	s_cbranch_vccnz .LBB173_11
; %bb.5:                                ;   in Loop: Header=BB173_4 Depth=1
	s_add_nc_u64 s[26:27], s[14:15], s[24:25]
	s_add_nc_u64 s[24:25], s[8:9], s[24:25]
	s_clause 0x1
	global_load_b64 v[10:11], v16, s[26:27]
	global_load_b64 v[12:13], v16, s[24:25]
	v_dual_mov_b32 v26, 0 :: v_dual_mov_b32 v25, 0
	s_mov_b64 s[24:25], 0
	s_wait_loadcnt 0x1
	v_add_co_u32 v10, vcc_lo, v10, v21
	s_wait_alu 0xfffd
	v_add_co_ci_u32_e64 v11, null, v11, v22, vcc_lo
	s_wait_loadcnt 0x0
	v_add_co_u32 v12, vcc_lo, v12, v23
	s_wait_alu 0xfffd
	v_add_co_ci_u32_e64 v13, null, v13, v24, vcc_lo
	s_branch .LBB173_7
.LBB173_6:                              ;   in Loop: Header=BB173_7 Depth=2
	s_wait_alu 0xfffe
	s_or_b32 exec_lo, exec_lo, s26
	s_wait_loadcnt_dscnt 0x0
	ds_store_b16 v18, v28
	s_wait_dscnt 0x0
	s_barrier_signal -1
	s_barrier_wait -1
	global_inv scope:SCOPE_SE
	ds_load_u16 v35, v19
	ds_load_u16 v36, v19 offset:64
	ds_load_u16 v37, v19 offset:128
	;; [unrolled: 1-line block ×7, first 2 shown]
	s_add_nc_u64 s[24:25], s[24:25], 8
	v_add_co_u32 v10, vcc_lo, v10, s10
	s_wait_alu 0xfffe
	v_cmp_lt_i64_e64 s26, s[24:25], s[36:37]
	s_wait_alu 0xfffd
	v_add_co_ci_u32_e64 v11, null, s11, v11, vcc_lo
	v_add_co_u32 v12, vcc_lo, v12, 16
	s_wait_alu 0xfffd
	v_add_co_ci_u32_e64 v13, null, 0, v13, vcc_lo
	s_and_b32 vcc_lo, exec_lo, s26
	s_wait_dscnt 0x7
	ds_load_u16_d16_hi v35, v19 offset:32
	ds_load_b128 v[27:30], v20
	ds_load_b128 v[31:34], v20 offset:256
	s_wait_dscnt 0x9
	ds_load_u16_d16_hi v36, v19 offset:96
	s_wait_dscnt 0x9
	ds_load_u16_d16_hi v37, v19 offset:160
	;; [unrolled: 2-line block ×7, first 2 shown]
	s_wait_loadcnt_dscnt 0x0
	s_barrier_signal -1
	s_barrier_wait -1
	global_inv scope:SCOPE_SE
	v_pk_fma_f16 v26, v35, v27, v26 op_sel_hi:[1,0,1]
	v_pk_fma_f16 v25, v35, v31, v25 op_sel_hi:[1,0,1]
	s_delay_alu instid0(VALU_DEP_2) | instskip(NEXT) | instid1(VALU_DEP_2)
	v_pk_fma_f16 v26, v36, v27, v26 op_sel:[0,1,0]
	v_pk_fma_f16 v25, v36, v31, v25 op_sel:[0,1,0]
	s_delay_alu instid0(VALU_DEP_2) | instskip(NEXT) | instid1(VALU_DEP_2)
	v_pk_fma_f16 v26, v37, v28, v26 op_sel_hi:[1,0,1]
	v_pk_fma_f16 v25, v37, v32, v25 op_sel_hi:[1,0,1]
	s_delay_alu instid0(VALU_DEP_2) | instskip(NEXT) | instid1(VALU_DEP_2)
	v_pk_fma_f16 v26, v38, v28, v26 op_sel:[0,1,0]
	v_pk_fma_f16 v25, v38, v32, v25 op_sel:[0,1,0]
	s_delay_alu instid0(VALU_DEP_2) | instskip(NEXT) | instid1(VALU_DEP_2)
	;; [unrolled: 6-line block ×3, first 2 shown]
	v_pk_fma_f16 v26, v41, v30, v26 op_sel_hi:[1,0,1]
	v_pk_fma_f16 v25, v41, v34, v25 op_sel_hi:[1,0,1]
	s_delay_alu instid0(VALU_DEP_2) | instskip(NEXT) | instid1(VALU_DEP_2)
	v_pk_fma_f16 v26, v42, v30, v26 op_sel:[0,1,0]
	v_pk_fma_f16 v25, v42, v34, v25 op_sel:[0,1,0]
	s_wait_alu 0xfffe
	s_cbranch_vccz .LBB173_12
.LBB173_7:                              ;   Parent Loop BB173_4 Depth=1
                                        ; =>  This Inner Loop Header: Depth=2
	s_wait_alu 0xfffe
	v_add_co_u32 v27, s26, v15, s24
	s_wait_alu 0xf1ff
	v_add_co_ci_u32_e64 v28, null, 0, s25, s26
	s_delay_alu instid0(VALU_DEP_1)
	v_cmp_gt_i64_e32 vcc_lo, s[36:37], v[27:28]
	v_mov_b32_e32 v27, 0
	s_and_b32 s27, s0, vcc_lo
	s_wait_alu 0xfffe
	s_and_saveexec_b32 s26, s27
	s_cbranch_execz .LBB173_9
; %bb.8:                                ;   in Loop: Header=BB173_7 Depth=2
	flat_load_u16 v27, v[12:13]
.LBB173_9:                              ;   in Loop: Header=BB173_7 Depth=2
	s_wait_alu 0xfffe
	s_or_b32 exec_lo, exec_lo, s26
	v_add_co_u32 v28, s26, v14, s24
	s_wait_alu 0xf1ff
	v_add_co_ci_u32_e64 v29, null, 0, s25, s26
	s_wait_loadcnt_dscnt 0x0
	ds_store_b16 v17, v27
	v_cmp_gt_i64_e32 vcc_lo, s[36:37], v[28:29]
	v_mov_b32_e32 v28, 0
	s_and_b32 s27, vcc_lo, s1
	s_wait_alu 0xfffe
	s_and_saveexec_b32 s26, s27
	s_cbranch_execz .LBB173_6
; %bb.10:                               ;   in Loop: Header=BB173_7 Depth=2
	flat_load_u16 v28, v[10:11]
	s_branch .LBB173_6
.LBB173_11:                             ;   in Loop: Header=BB173_4 Depth=1
	v_dual_mov_b32 v26, 0 :: v_dual_mov_b32 v25, 0
.LBB173_12:                             ;   in Loop: Header=BB173_4 Depth=1
	s_wait_loadcnt 0x0
	v_add_co_u32 v10, vcc_lo, v8, s12
	s_wait_alu 0xfffd
	v_add_co_ci_u32_e64 v11, null, s13, v9, vcc_lo
	s_and_not1_b32 vcc_lo, exec_lo, s40
	s_wait_alu 0xfffe
	s_cbranch_vccnz .LBB173_17
; %bb.13:                               ;   in Loop: Header=BB173_4 Depth=1
	s_and_saveexec_b32 s24, s2
	s_cbranch_execz .LBB173_24
; %bb.14:                               ;   in Loop: Header=BB173_4 Depth=1
	v_lshlrev_b64_e32 v[8:9], 1, v[0:1]
	s_delay_alu instid0(VALU_DEP_1) | instskip(SKIP_1) | instid1(VALU_DEP_2)
	v_add_co_u32 v8, vcc_lo, v10, v8
	s_wait_alu 0xfffd
	v_add_co_ci_u32_e64 v9, null, v11, v9, vcc_lo
	s_and_saveexec_b32 s25, s3
	s_cbranch_execnz .LBB173_18
; %bb.15:                               ;   in Loop: Header=BB173_4 Depth=1
	s_wait_alu 0xfffe
	s_or_b32 exec_lo, exec_lo, s25
	s_and_saveexec_b32 s25, s4
	s_cbranch_execnz .LBB173_19
.LBB173_16:                             ;   in Loop: Header=BB173_4 Depth=1
	s_wait_alu 0xfffe
	s_or_b32 exec_lo, exec_lo, s25
	s_delay_alu instid0(SALU_CYCLE_1)
	s_and_b32 exec_lo, exec_lo, s5
	s_cbranch_execnz .LBB173_20
	s_branch .LBB173_24
.LBB173_17:                             ;   in Loop: Header=BB173_4 Depth=1
	s_branch .LBB173_25
.LBB173_18:                             ;   in Loop: Header=BB173_4 Depth=1
	v_lshlrev_b64_e32 v[12:13], 1, v[2:3]
	v_mul_f16_e32 v27, s38, v26
	s_delay_alu instid0(VALU_DEP_2) | instskip(SKIP_1) | instid1(VALU_DEP_3)
	v_add_co_u32 v12, vcc_lo, v8, v12
	s_wait_alu 0xfffd
	v_add_co_ci_u32_e64 v13, null, v9, v13, vcc_lo
	flat_store_b16 v[12:13], v27
	s_wait_alu 0xfffe
	s_or_b32 exec_lo, exec_lo, s25
	s_and_saveexec_b32 s25, s4
	s_cbranch_execz .LBB173_16
.LBB173_19:                             ;   in Loop: Header=BB173_4 Depth=1
	v_lshlrev_b64_e32 v[12:13], 1, v[2:3]
	v_lshrrev_b32_e32 v27, 16, v26
	s_delay_alu instid0(VALU_DEP_1) | instskip(NEXT) | instid1(VALU_DEP_3)
	v_mul_f16_e32 v27, s38, v27
	v_add_co_u32 v12, vcc_lo, v8, v12
	s_wait_alu 0xfffd
	s_delay_alu instid0(VALU_DEP_4) | instskip(SKIP_3) | instid1(SALU_CYCLE_1)
	v_add_co_ci_u32_e64 v13, null, v9, v13, vcc_lo
	flat_store_b16 v[12:13], v27 offset:32
	s_wait_alu 0xfffe
	s_or_b32 exec_lo, exec_lo, s25
	s_and_b32 exec_lo, exec_lo, s5
	s_cbranch_execz .LBB173_24
.LBB173_20:                             ;   in Loop: Header=BB173_4 Depth=1
	s_lshl_b64 s[26:27], s[6:7], 1
	v_lshlrev_b64_e32 v[12:13], 1, v[2:3]
	s_wait_alu 0xfffe
	v_add_co_u32 v8, vcc_lo, v8, s26
	s_wait_alu 0xfffd
	v_add_co_ci_u32_e64 v9, null, s27, v9, vcc_lo
	s_delay_alu instid0(VALU_DEP_2) | instskip(SKIP_1) | instid1(VALU_DEP_2)
	v_add_co_u32 v8, vcc_lo, v8, v12
	s_wait_alu 0xfffd
	v_add_co_ci_u32_e64 v9, null, v9, v13, vcc_lo
	s_and_saveexec_b32 s25, s3
	s_cbranch_execz .LBB173_22
; %bb.21:                               ;   in Loop: Header=BB173_4 Depth=1
	v_mul_f16_e32 v12, s38, v25
	flat_store_b16 v[8:9], v12
.LBB173_22:                             ;   in Loop: Header=BB173_4 Depth=1
	s_wait_alu 0xfffe
	s_or_b32 exec_lo, exec_lo, s25
	s_delay_alu instid0(SALU_CYCLE_1)
	s_and_b32 exec_lo, exec_lo, s4
	s_cbranch_execz .LBB173_24
; %bb.23:                               ;   in Loop: Header=BB173_4 Depth=1
	v_lshrrev_b32_e32 v12, 16, v25
	s_delay_alu instid0(VALU_DEP_1)
	v_mul_f16_e32 v12, s38, v12
	flat_store_b16 v[8:9], v12 offset:32
.LBB173_24:                             ;   in Loop: Header=BB173_4 Depth=1
	s_wait_alu 0xfffe
	s_or_b32 exec_lo, exec_lo, s24
	s_cbranch_execnz .LBB173_3
.LBB173_25:                             ;   in Loop: Header=BB173_4 Depth=1
	s_and_saveexec_b32 s24, s2
	s_cbranch_execz .LBB173_2
; %bb.26:                               ;   in Loop: Header=BB173_4 Depth=1
	v_add_co_u32 v6, vcc_lo, v6, s18
	v_lshlrev_b64_e32 v[12:13], 1, v[0:1]
	s_wait_alu 0xfffd
	v_add_co_ci_u32_e64 v7, null, s19, v7, vcc_lo
	s_delay_alu instid0(VALU_DEP_3) | instskip(SKIP_1) | instid1(VALU_DEP_2)
	v_add_co_u32 v8, vcc_lo, v6, v4
	s_wait_alu 0xfffd
	v_add_co_ci_u32_e64 v9, null, v7, v5, vcc_lo
	v_add_co_u32 v10, vcc_lo, v10, v12
	v_lshlrev_b64_e32 v[6:7], 1, v[2:3]
	s_wait_alu 0xfffd
	v_add_co_ci_u32_e64 v11, null, v11, v13, vcc_lo
	s_and_saveexec_b32 s25, s3
	s_cbranch_execnz .LBB173_29
; %bb.27:                               ;   in Loop: Header=BB173_4 Depth=1
	s_wait_alu 0xfffe
	s_or_b32 exec_lo, exec_lo, s25
	s_and_saveexec_b32 s25, s4
	s_cbranch_execnz .LBB173_30
.LBB173_28:                             ;   in Loop: Header=BB173_4 Depth=1
	s_wait_alu 0xfffe
	s_or_b32 exec_lo, exec_lo, s25
	s_delay_alu instid0(SALU_CYCLE_1)
	s_and_b32 exec_lo, exec_lo, s5
	s_cbranch_execz .LBB173_2
	s_branch .LBB173_31
.LBB173_29:                             ;   in Loop: Header=BB173_4 Depth=1
	v_add_co_u32 v12, vcc_lo, v8, v6
	s_wait_alu 0xfffd
	v_add_co_ci_u32_e64 v13, null, v9, v7, vcc_lo
	flat_load_u16 v12, v[12:13]
	s_wait_loadcnt_dscnt 0x0
	v_mul_f16_e32 v27, s39, v12
	v_add_co_u32 v12, vcc_lo, v10, v6
	s_wait_alu 0xfffd
	v_add_co_ci_u32_e64 v13, null, v11, v7, vcc_lo
	s_delay_alu instid0(VALU_DEP_3)
	v_fmac_f16_e32 v27, s38, v26
	flat_store_b16 v[12:13], v27
	s_wait_alu 0xfffe
	s_or_b32 exec_lo, exec_lo, s25
	s_and_saveexec_b32 s25, s4
	s_cbranch_execz .LBB173_28
.LBB173_30:                             ;   in Loop: Header=BB173_4 Depth=1
	v_add_co_u32 v12, vcc_lo, v8, v6
	s_wait_alu 0xfffd
	v_add_co_ci_u32_e64 v13, null, v9, v7, vcc_lo
	flat_load_u16 v12, v[12:13] offset:32
	v_lshrrev_b32_e32 v13, 16, v26
	s_wait_loadcnt_dscnt 0x0
	v_mul_f16_e32 v26, s39, v12
	v_add_co_u32 v12, vcc_lo, v10, v6
	s_delay_alu instid0(VALU_DEP_2)
	v_fmac_f16_e32 v26, s38, v13
	s_wait_alu 0xfffd
	v_add_co_ci_u32_e64 v13, null, v11, v7, vcc_lo
	flat_store_b16 v[12:13], v26 offset:32
	s_wait_alu 0xfffe
	s_or_b32 exec_lo, exec_lo, s25
	s_delay_alu instid0(SALU_CYCLE_1)
	s_and_b32 exec_lo, exec_lo, s5
	s_cbranch_execz .LBB173_2
.LBB173_31:                             ;   in Loop: Header=BB173_4 Depth=1
	v_add_co_u32 v8, vcc_lo, v8, s20
	s_lshl_b64 s[26:27], s[6:7], 1
	s_wait_alu 0xfffd
	v_add_co_ci_u32_e64 v9, null, s21, v9, vcc_lo
	s_wait_alu 0xfffe
	v_add_co_u32 v10, vcc_lo, v10, s26
	s_wait_alu 0xfffd
	v_add_co_ci_u32_e64 v11, null, s27, v11, vcc_lo
	v_add_co_u32 v8, vcc_lo, v8, v6
	s_wait_alu 0xfffd
	v_add_co_ci_u32_e64 v9, null, v9, v7, vcc_lo
	;; [unrolled: 3-line block ×3, first 2 shown]
	s_and_saveexec_b32 s25, s3
	s_cbranch_execz .LBB173_33
; %bb.32:                               ;   in Loop: Header=BB173_4 Depth=1
	flat_load_u16 v10, v[8:9]
	s_wait_loadcnt_dscnt 0x0
	v_mul_f16_e32 v10, s39, v10
	s_delay_alu instid0(VALU_DEP_1)
	v_fmac_f16_e32 v10, s38, v25
	flat_store_b16 v[6:7], v10
.LBB173_33:                             ;   in Loop: Header=BB173_4 Depth=1
	s_wait_alu 0xfffe
	s_or_b32 exec_lo, exec_lo, s25
	s_delay_alu instid0(SALU_CYCLE_1)
	s_and_b32 exec_lo, exec_lo, s4
	s_cbranch_execz .LBB173_2
; %bb.34:                               ;   in Loop: Header=BB173_4 Depth=1
	flat_load_u16 v8, v[8:9] offset:32
	v_lshrrev_b32_e32 v9, 16, v25
	s_wait_loadcnt_dscnt 0x0
	v_mul_f16_e32 v8, s39, v8
	s_delay_alu instid0(VALU_DEP_1)
	v_fmac_f16_e32 v8, s38, v9
	flat_store_b16 v[6:7], v8 offset:32
	s_branch .LBB173_2
.LBB173_35:
	s_endpgm
	.section	.rodata,"a",@progbits
	.p2align	6, 0x0
	.amdhsa_kernel _ZN12_GLOBAL__N_135rocblas_gemm_batched_general_kernelIDF16_Li16ELi16ELi32ELi32ELi8ELi32ELi8ELi8ELi32ELc84ELc67EKPKDF16_S3_KPDF16_EEvlllT_PT11_llS8_llS6_PT12_llPT13_lli
		.amdhsa_group_segment_fixed_size 1024
		.amdhsa_private_segment_fixed_size 0
		.amdhsa_kernarg_size 140
		.amdhsa_user_sgpr_count 2
		.amdhsa_user_sgpr_dispatch_ptr 0
		.amdhsa_user_sgpr_queue_ptr 0
		.amdhsa_user_sgpr_kernarg_segment_ptr 1
		.amdhsa_user_sgpr_dispatch_id 0
		.amdhsa_user_sgpr_private_segment_size 0
		.amdhsa_wavefront_size32 1
		.amdhsa_uses_dynamic_stack 0
		.amdhsa_enable_private_segment 0
		.amdhsa_system_sgpr_workgroup_id_x 1
		.amdhsa_system_sgpr_workgroup_id_y 1
		.amdhsa_system_sgpr_workgroup_id_z 1
		.amdhsa_system_sgpr_workgroup_info 0
		.amdhsa_system_vgpr_workitem_id 1
		.amdhsa_next_free_vgpr 43
		.amdhsa_next_free_sgpr 44
		.amdhsa_reserve_vcc 1
		.amdhsa_float_round_mode_32 0
		.amdhsa_float_round_mode_16_64 0
		.amdhsa_float_denorm_mode_32 3
		.amdhsa_float_denorm_mode_16_64 3
		.amdhsa_fp16_overflow 0
		.amdhsa_workgroup_processor_mode 1
		.amdhsa_memory_ordered 1
		.amdhsa_forward_progress 1
		.amdhsa_inst_pref_size 19
		.amdhsa_round_robin_scheduling 0
		.amdhsa_exception_fp_ieee_invalid_op 0
		.amdhsa_exception_fp_denorm_src 0
		.amdhsa_exception_fp_ieee_div_zero 0
		.amdhsa_exception_fp_ieee_overflow 0
		.amdhsa_exception_fp_ieee_underflow 0
		.amdhsa_exception_fp_ieee_inexact 0
		.amdhsa_exception_int_div_zero 0
	.end_amdhsa_kernel
	.section	.text._ZN12_GLOBAL__N_135rocblas_gemm_batched_general_kernelIDF16_Li16ELi16ELi32ELi32ELi8ELi32ELi8ELi8ELi32ELc84ELc67EKPKDF16_S3_KPDF16_EEvlllT_PT11_llS8_llS6_PT12_llPT13_lli,"axG",@progbits,_ZN12_GLOBAL__N_135rocblas_gemm_batched_general_kernelIDF16_Li16ELi16ELi32ELi32ELi8ELi32ELi8ELi8ELi32ELc84ELc67EKPKDF16_S3_KPDF16_EEvlllT_PT11_llS8_llS6_PT12_llPT13_lli,comdat
.Lfunc_end173:
	.size	_ZN12_GLOBAL__N_135rocblas_gemm_batched_general_kernelIDF16_Li16ELi16ELi32ELi32ELi8ELi32ELi8ELi8ELi32ELc84ELc67EKPKDF16_S3_KPDF16_EEvlllT_PT11_llS8_llS6_PT12_llPT13_lli, .Lfunc_end173-_ZN12_GLOBAL__N_135rocblas_gemm_batched_general_kernelIDF16_Li16ELi16ELi32ELi32ELi8ELi32ELi8ELi8ELi32ELc84ELc67EKPKDF16_S3_KPDF16_EEvlllT_PT11_llS8_llS6_PT12_llPT13_lli
                                        ; -- End function
	.set _ZN12_GLOBAL__N_135rocblas_gemm_batched_general_kernelIDF16_Li16ELi16ELi32ELi32ELi8ELi32ELi8ELi8ELi32ELc84ELc67EKPKDF16_S3_KPDF16_EEvlllT_PT11_llS8_llS6_PT12_llPT13_lli.num_vgpr, 43
	.set _ZN12_GLOBAL__N_135rocblas_gemm_batched_general_kernelIDF16_Li16ELi16ELi32ELi32ELi8ELi32ELi8ELi8ELi32ELc84ELc67EKPKDF16_S3_KPDF16_EEvlllT_PT11_llS8_llS6_PT12_llPT13_lli.num_agpr, 0
	.set _ZN12_GLOBAL__N_135rocblas_gemm_batched_general_kernelIDF16_Li16ELi16ELi32ELi32ELi8ELi32ELi8ELi8ELi32ELc84ELc67EKPKDF16_S3_KPDF16_EEvlllT_PT11_llS8_llS6_PT12_llPT13_lli.numbered_sgpr, 44
	.set _ZN12_GLOBAL__N_135rocblas_gemm_batched_general_kernelIDF16_Li16ELi16ELi32ELi32ELi8ELi32ELi8ELi8ELi32ELc84ELc67EKPKDF16_S3_KPDF16_EEvlllT_PT11_llS8_llS6_PT12_llPT13_lli.num_named_barrier, 0
	.set _ZN12_GLOBAL__N_135rocblas_gemm_batched_general_kernelIDF16_Li16ELi16ELi32ELi32ELi8ELi32ELi8ELi8ELi32ELc84ELc67EKPKDF16_S3_KPDF16_EEvlllT_PT11_llS8_llS6_PT12_llPT13_lli.private_seg_size, 0
	.set _ZN12_GLOBAL__N_135rocblas_gemm_batched_general_kernelIDF16_Li16ELi16ELi32ELi32ELi8ELi32ELi8ELi8ELi32ELc84ELc67EKPKDF16_S3_KPDF16_EEvlllT_PT11_llS8_llS6_PT12_llPT13_lli.uses_vcc, 1
	.set _ZN12_GLOBAL__N_135rocblas_gemm_batched_general_kernelIDF16_Li16ELi16ELi32ELi32ELi8ELi32ELi8ELi8ELi32ELc84ELc67EKPKDF16_S3_KPDF16_EEvlllT_PT11_llS8_llS6_PT12_llPT13_lli.uses_flat_scratch, 0
	.set _ZN12_GLOBAL__N_135rocblas_gemm_batched_general_kernelIDF16_Li16ELi16ELi32ELi32ELi8ELi32ELi8ELi8ELi32ELc84ELc67EKPKDF16_S3_KPDF16_EEvlllT_PT11_llS8_llS6_PT12_llPT13_lli.has_dyn_sized_stack, 0
	.set _ZN12_GLOBAL__N_135rocblas_gemm_batched_general_kernelIDF16_Li16ELi16ELi32ELi32ELi8ELi32ELi8ELi8ELi32ELc84ELc67EKPKDF16_S3_KPDF16_EEvlllT_PT11_llS8_llS6_PT12_llPT13_lli.has_recursion, 0
	.set _ZN12_GLOBAL__N_135rocblas_gemm_batched_general_kernelIDF16_Li16ELi16ELi32ELi32ELi8ELi32ELi8ELi8ELi32ELc84ELc67EKPKDF16_S3_KPDF16_EEvlllT_PT11_llS8_llS6_PT12_llPT13_lli.has_indirect_call, 0
	.section	.AMDGPU.csdata,"",@progbits
; Kernel info:
; codeLenInByte = 2376
; TotalNumSgprs: 46
; NumVgprs: 43
; ScratchSize: 0
; MemoryBound: 0
; FloatMode: 240
; IeeeMode: 1
; LDSByteSize: 1024 bytes/workgroup (compile time only)
; SGPRBlocks: 0
; VGPRBlocks: 5
; NumSGPRsForWavesPerEU: 46
; NumVGPRsForWavesPerEU: 43
; Occupancy: 16
; WaveLimiterHint : 1
; COMPUTE_PGM_RSRC2:SCRATCH_EN: 0
; COMPUTE_PGM_RSRC2:USER_SGPR: 2
; COMPUTE_PGM_RSRC2:TRAP_HANDLER: 0
; COMPUTE_PGM_RSRC2:TGID_X_EN: 1
; COMPUTE_PGM_RSRC2:TGID_Y_EN: 1
; COMPUTE_PGM_RSRC2:TGID_Z_EN: 1
; COMPUTE_PGM_RSRC2:TIDIG_COMP_CNT: 1
	.section	.text._ZN12_GLOBAL__N_125rocblas_gemm_scale_kernelILi32ELi32EfPKPfEEviiT1_T2_llli,"axG",@progbits,_ZN12_GLOBAL__N_125rocblas_gemm_scale_kernelILi32ELi32EfPKPfEEviiT1_T2_llli,comdat
	.globl	_ZN12_GLOBAL__N_125rocblas_gemm_scale_kernelILi32ELi32EfPKPfEEviiT1_T2_llli ; -- Begin function _ZN12_GLOBAL__N_125rocblas_gemm_scale_kernelILi32ELi32EfPKPfEEviiT1_T2_llli
	.p2align	8
	.type	_ZN12_GLOBAL__N_125rocblas_gemm_scale_kernelILi32ELi32EfPKPfEEviiT1_T2_llli,@function
_ZN12_GLOBAL__N_125rocblas_gemm_scale_kernelILi32ELi32EfPKPfEEviiT1_T2_llli: ; @_ZN12_GLOBAL__N_125rocblas_gemm_scale_kernelILi32ELi32EfPKPfEEviiT1_T2_llli
; %bb.0:
	s_load_b32 s11, s[0:1], 0x30
	s_lshr_b32 s2, ttmp7, 16
	s_wait_kmcnt 0x0
	s_cmp_ge_u32 s2, s11
	s_cbranch_scc1 .LBB174_8
; %bb.1:
	s_load_b64 s[12:13], s[0:1], 0x20
	v_bfe_u32 v1, v0, 10, 10
	s_and_b32 s3, ttmp7, 0xffff
	s_clause 0x1
	s_load_b96 s[8:10], s[0:1], 0x0
	s_load_b128 s[4:7], s[0:1], 0x10
	v_lshl_add_u32 v5, s3, 5, v1
	s_mov_b32 s3, 0
	s_wait_kmcnt 0x0
	s_delay_alu instid0(VALU_DEP_1) | instskip(SKIP_2) | instid1(VALU_DEP_3)
	v_mad_co_u64_u32 v[2:3], null, s12, v5, 0
	v_and_b32_e32 v1, 0x3ff, v0
	v_cmp_gt_u32_e64 s0, s9, v5
	v_mov_b32_e32 v0, v3
	s_delay_alu instid0(VALU_DEP_3) | instskip(NEXT) | instid1(VALU_DEP_2)
	v_lshl_add_u32 v4, ttmp9, 5, v1
	v_mad_co_u64_u32 v[0:1], null, s13, v5, v[0:1]
	s_delay_alu instid0(VALU_DEP_2) | instskip(SKIP_2) | instid1(VALU_DEP_3)
	v_cmp_gt_u32_e32 vcc_lo, s8, v4
	v_mov_b32_e32 v5, 0
	s_and_b32 s8, vcc_lo, s0
	v_mov_b32_e32 v3, v0
	s_cmp_neq_f32 s10, 0
	s_delay_alu instid0(VALU_DEP_2) | instskip(SKIP_1) | instid1(VALU_DEP_2)
	v_lshlrev_b64_e32 v[0:1], 2, v[4:5]
	s_cselect_b32 s9, -1, 0
	v_lshlrev_b64_e32 v[2:3], 2, v[2:3]
	s_lshl_b64 s[0:1], s[6:7], 2
	s_branch .LBB174_5
.LBB174_2:                              ;   in Loop: Header=BB174_5 Depth=1
	s_wait_alu 0xfffe
	v_add_co_u32 v4, vcc_lo, s6, v2
	s_wait_alu 0xfffd
	v_add_co_ci_u32_e64 v5, null, s7, v3, vcc_lo
	s_delay_alu instid0(VALU_DEP_2) | instskip(SKIP_1) | instid1(VALU_DEP_2)
	v_add_co_u32 v4, vcc_lo, v4, v0
	s_wait_alu 0xfffd
	v_add_co_ci_u32_e64 v5, null, v5, v1, vcc_lo
	flat_load_b32 v4, v[4:5]
	s_wait_loadcnt_dscnt 0x0
	v_mul_f32_e32 v4, s10, v4
.LBB174_3:                              ;   in Loop: Header=BB174_5 Depth=1
	s_wait_alu 0xfffe
	v_add_co_u32 v5, vcc_lo, s6, v2
	s_wait_alu 0xfffd
	v_add_co_ci_u32_e64 v6, null, s7, v3, vcc_lo
	s_delay_alu instid0(VALU_DEP_2) | instskip(SKIP_1) | instid1(VALU_DEP_2)
	v_add_co_u32 v5, vcc_lo, v5, v0
	s_wait_alu 0xfffd
	v_add_co_ci_u32_e64 v6, null, v6, v1, vcc_lo
	flat_store_b32 v[5:6], v4
.LBB174_4:                              ;   in Loop: Header=BB174_5 Depth=1
	s_wait_alu 0xfffe
	s_or_b32 exec_lo, exec_lo, s12
	s_add_co_i32 s2, s2, 0x10000
	s_wait_alu 0xfffe
	s_cmp_lt_u32 s2, s11
	s_cbranch_scc0 .LBB174_8
.LBB174_5:                              ; =>This Inner Loop Header: Depth=1
	s_wait_alu 0xfffe
	s_and_saveexec_b32 s12, s8
	s_cbranch_execz .LBB174_4
; %bb.6:                                ;   in Loop: Header=BB174_5 Depth=1
	s_lshl_b64 s[6:7], s[2:3], 3
	s_and_not1_b32 vcc_lo, exec_lo, s9
	s_wait_alu 0xfffe
	s_add_nc_u64 s[6:7], s[4:5], s[6:7]
	s_load_b64 s[6:7], s[6:7], 0x0
	s_wait_kmcnt 0x0
	s_add_nc_u64 s[6:7], s[6:7], s[0:1]
	s_cbranch_vccz .LBB174_2
; %bb.7:                                ;   in Loop: Header=BB174_5 Depth=1
	v_mov_b32_e32 v4, 0
	s_branch .LBB174_3
.LBB174_8:
	s_endpgm
	.section	.rodata,"a",@progbits
	.p2align	6, 0x0
	.amdhsa_kernel _ZN12_GLOBAL__N_125rocblas_gemm_scale_kernelILi32ELi32EfPKPfEEviiT1_T2_llli
		.amdhsa_group_segment_fixed_size 0
		.amdhsa_private_segment_fixed_size 0
		.amdhsa_kernarg_size 52
		.amdhsa_user_sgpr_count 2
		.amdhsa_user_sgpr_dispatch_ptr 0
		.amdhsa_user_sgpr_queue_ptr 0
		.amdhsa_user_sgpr_kernarg_segment_ptr 1
		.amdhsa_user_sgpr_dispatch_id 0
		.amdhsa_user_sgpr_private_segment_size 0
		.amdhsa_wavefront_size32 1
		.amdhsa_uses_dynamic_stack 0
		.amdhsa_enable_private_segment 0
		.amdhsa_system_sgpr_workgroup_id_x 1
		.amdhsa_system_sgpr_workgroup_id_y 1
		.amdhsa_system_sgpr_workgroup_id_z 1
		.amdhsa_system_sgpr_workgroup_info 0
		.amdhsa_system_vgpr_workitem_id 1
		.amdhsa_next_free_vgpr 7
		.amdhsa_next_free_sgpr 14
		.amdhsa_reserve_vcc 1
		.amdhsa_float_round_mode_32 0
		.amdhsa_float_round_mode_16_64 0
		.amdhsa_float_denorm_mode_32 3
		.amdhsa_float_denorm_mode_16_64 3
		.amdhsa_fp16_overflow 0
		.amdhsa_workgroup_processor_mode 1
		.amdhsa_memory_ordered 1
		.amdhsa_forward_progress 1
		.amdhsa_inst_pref_size 4
		.amdhsa_round_robin_scheduling 0
		.amdhsa_exception_fp_ieee_invalid_op 0
		.amdhsa_exception_fp_denorm_src 0
		.amdhsa_exception_fp_ieee_div_zero 0
		.amdhsa_exception_fp_ieee_overflow 0
		.amdhsa_exception_fp_ieee_underflow 0
		.amdhsa_exception_fp_ieee_inexact 0
		.amdhsa_exception_int_div_zero 0
	.end_amdhsa_kernel
	.section	.text._ZN12_GLOBAL__N_125rocblas_gemm_scale_kernelILi32ELi32EfPKPfEEviiT1_T2_llli,"axG",@progbits,_ZN12_GLOBAL__N_125rocblas_gemm_scale_kernelILi32ELi32EfPKPfEEviiT1_T2_llli,comdat
.Lfunc_end174:
	.size	_ZN12_GLOBAL__N_125rocblas_gemm_scale_kernelILi32ELi32EfPKPfEEviiT1_T2_llli, .Lfunc_end174-_ZN12_GLOBAL__N_125rocblas_gemm_scale_kernelILi32ELi32EfPKPfEEviiT1_T2_llli
                                        ; -- End function
	.set _ZN12_GLOBAL__N_125rocblas_gemm_scale_kernelILi32ELi32EfPKPfEEviiT1_T2_llli.num_vgpr, 7
	.set _ZN12_GLOBAL__N_125rocblas_gemm_scale_kernelILi32ELi32EfPKPfEEviiT1_T2_llli.num_agpr, 0
	.set _ZN12_GLOBAL__N_125rocblas_gemm_scale_kernelILi32ELi32EfPKPfEEviiT1_T2_llli.numbered_sgpr, 14
	.set _ZN12_GLOBAL__N_125rocblas_gemm_scale_kernelILi32ELi32EfPKPfEEviiT1_T2_llli.num_named_barrier, 0
	.set _ZN12_GLOBAL__N_125rocblas_gemm_scale_kernelILi32ELi32EfPKPfEEviiT1_T2_llli.private_seg_size, 0
	.set _ZN12_GLOBAL__N_125rocblas_gemm_scale_kernelILi32ELi32EfPKPfEEviiT1_T2_llli.uses_vcc, 1
	.set _ZN12_GLOBAL__N_125rocblas_gemm_scale_kernelILi32ELi32EfPKPfEEviiT1_T2_llli.uses_flat_scratch, 0
	.set _ZN12_GLOBAL__N_125rocblas_gemm_scale_kernelILi32ELi32EfPKPfEEviiT1_T2_llli.has_dyn_sized_stack, 0
	.set _ZN12_GLOBAL__N_125rocblas_gemm_scale_kernelILi32ELi32EfPKPfEEviiT1_T2_llli.has_recursion, 0
	.set _ZN12_GLOBAL__N_125rocblas_gemm_scale_kernelILi32ELi32EfPKPfEEviiT1_T2_llli.has_indirect_call, 0
	.section	.AMDGPU.csdata,"",@progbits
; Kernel info:
; codeLenInByte = 400
; TotalNumSgprs: 16
; NumVgprs: 7
; ScratchSize: 0
; MemoryBound: 0
; FloatMode: 240
; IeeeMode: 1
; LDSByteSize: 0 bytes/workgroup (compile time only)
; SGPRBlocks: 0
; VGPRBlocks: 0
; NumSGPRsForWavesPerEU: 16
; NumVGPRsForWavesPerEU: 7
; Occupancy: 16
; WaveLimiterHint : 1
; COMPUTE_PGM_RSRC2:SCRATCH_EN: 0
; COMPUTE_PGM_RSRC2:USER_SGPR: 2
; COMPUTE_PGM_RSRC2:TRAP_HANDLER: 0
; COMPUTE_PGM_RSRC2:TGID_X_EN: 1
; COMPUTE_PGM_RSRC2:TGID_Y_EN: 1
; COMPUTE_PGM_RSRC2:TGID_Z_EN: 1
; COMPUTE_PGM_RSRC2:TIDIG_COMP_CNT: 1
	.section	.text._ZN12_GLOBAL__N_120gemm_ex_scale_kernelILi32ELi32EfPKPKfPKPfEEviiT1_T2_lllT3_llli,"axG",@progbits,_ZN12_GLOBAL__N_120gemm_ex_scale_kernelILi32ELi32EfPKPKfPKPfEEviiT1_T2_lllT3_llli,comdat
	.globl	_ZN12_GLOBAL__N_120gemm_ex_scale_kernelILi32ELi32EfPKPKfPKPfEEviiT1_T2_lllT3_llli ; -- Begin function _ZN12_GLOBAL__N_120gemm_ex_scale_kernelILi32ELi32EfPKPKfPKPfEEviiT1_T2_lllT3_llli
	.p2align	8
	.type	_ZN12_GLOBAL__N_120gemm_ex_scale_kernelILi32ELi32EfPKPKfPKPfEEviiT1_T2_lllT3_llli,@function
_ZN12_GLOBAL__N_120gemm_ex_scale_kernelILi32ELi32EfPKPKfPKPfEEviiT1_T2_lllT3_llli: ; @_ZN12_GLOBAL__N_120gemm_ex_scale_kernelILi32ELi32EfPKPKfPKPfEEviiT1_T2_lllT3_llli
; %bb.0:
	s_load_b32 s15, s[0:1], 0x50
	s_lshr_b32 s2, ttmp7, 16
	s_wait_kmcnt 0x0
	s_cmp_ge_u32 s2, s15
	s_cbranch_scc1 .LBB175_10
; %bb.1:
	s_clause 0x3
	s_load_b96 s[12:14], s[0:1], 0x0
	s_load_b64 s[18:19], s[0:1], 0x20
	s_load_b64 s[20:21], s[0:1], 0x40
	s_load_b128 s[4:7], s[0:1], 0x10
	v_bfe_u32 v1, v0, 10, 10
	s_load_b128 s[8:11], s[0:1], 0x30
	v_and_b32_e32 v7, 0x3ff, v0
	s_wait_kmcnt 0x0
	s_cmp_neq_f32 s14, 0
	s_cselect_b32 s16, -1, 0
	s_and_b32 s3, ttmp7, 0xffff
	s_delay_alu instid0(SALU_CYCLE_1) | instskip(SKIP_1) | instid1(VALU_DEP_1)
	v_lshl_add_u32 v8, s3, 5, v1
	s_mov_b32 s3, 0
	v_mad_co_u64_u32 v[2:3], null, s18, v8, 0
	v_mad_co_u64_u32 v[4:5], null, s20, v8, 0
	v_cmp_gt_u32_e64 s0, s13, v8
	s_delay_alu instid0(VALU_DEP_3) | instskip(NEXT) | instid1(VALU_DEP_3)
	v_mov_b32_e32 v1, v3
	v_mov_b32_e32 v3, v5
	s_delay_alu instid0(VALU_DEP_2) | instskip(NEXT) | instid1(VALU_DEP_2)
	v_mad_co_u64_u32 v[0:1], null, s19, v8, v[1:2]
	v_mad_co_u64_u32 v[5:6], null, s21, v8, v[3:4]
	v_lshl_add_u32 v6, ttmp9, 5, v7
	v_mov_b32_e32 v7, 0
	s_delay_alu instid0(VALU_DEP_4) | instskip(NEXT) | instid1(VALU_DEP_3)
	v_mov_b32_e32 v3, v0
	v_cmp_gt_u32_e32 vcc_lo, s12, v6
	s_delay_alu instid0(VALU_DEP_3) | instskip(SKIP_1) | instid1(VALU_DEP_4)
	v_lshlrev_b64_e32 v[0:1], 2, v[6:7]
	v_lshlrev_b64_e32 v[4:5], 2, v[4:5]
	;; [unrolled: 1-line block ×3, first 2 shown]
	s_and_b32 s12, vcc_lo, s0
	s_lshl_b64 s[0:1], s[6:7], 2
	s_lshl_b64 s[6:7], s[10:11], 2
	s_branch .LBB175_5
.LBB175_2:                              ;   in Loop: Header=BB175_5 Depth=1
	v_add_co_u32 v6, vcc_lo, s10, v2
	s_wait_alu 0xfffd
	v_add_co_ci_u32_e64 v7, null, s11, v3, vcc_lo
	s_delay_alu instid0(VALU_DEP_2) | instskip(SKIP_1) | instid1(VALU_DEP_2)
	v_add_co_u32 v6, vcc_lo, v6, v0
	s_wait_alu 0xfffd
	v_add_co_ci_u32_e64 v7, null, v7, v1, vcc_lo
	flat_load_b32 v6, v[6:7]
	s_wait_loadcnt_dscnt 0x0
	v_mul_f32_e32 v6, s14, v6
.LBB175_3:                              ;   in Loop: Header=BB175_5 Depth=1
	s_lshl_b64 s[10:11], s[2:3], 3
	s_wait_alu 0xfffe
	s_add_nc_u64 s[10:11], s[8:9], s[10:11]
	s_load_b64 s[10:11], s[10:11], 0x0
	s_wait_kmcnt 0x0
	s_add_nc_u64 s[10:11], s[10:11], s[6:7]
	s_wait_alu 0xfffe
	v_add_co_u32 v7, vcc_lo, s10, v4
	s_wait_alu 0xfffd
	v_add_co_ci_u32_e64 v8, null, s11, v5, vcc_lo
	s_delay_alu instid0(VALU_DEP_2) | instskip(SKIP_1) | instid1(VALU_DEP_2)
	v_add_co_u32 v7, vcc_lo, v7, v0
	s_wait_alu 0xfffd
	v_add_co_ci_u32_e64 v8, null, v8, v1, vcc_lo
	flat_store_b32 v[7:8], v6
.LBB175_4:                              ;   in Loop: Header=BB175_5 Depth=1
	s_wait_alu 0xfffe
	s_or_b32 exec_lo, exec_lo, s13
	s_add_co_i32 s2, s2, 0x10000
	s_wait_alu 0xfffe
	s_cmp_lt_u32 s2, s15
	s_cbranch_scc0 .LBB175_10
.LBB175_5:                              ; =>This Inner Loop Header: Depth=1
	s_and_not1_b32 vcc_lo, exec_lo, s16
	s_wait_alu 0xfffe
	s_cbranch_vccnz .LBB175_7
; %bb.6:                                ;   in Loop: Header=BB175_5 Depth=1
	s_lshl_b64 s[10:11], s[2:3], 3
	s_wait_alu 0xfffe
	s_add_nc_u64 s[10:11], s[4:5], s[10:11]
	s_load_b64 s[10:11], s[10:11], 0x0
	s_wait_kmcnt 0x0
	s_add_nc_u64 s[10:11], s[10:11], s[0:1]
	s_and_saveexec_b32 s13, s12
	s_cbranch_execz .LBB175_4
	s_branch .LBB175_8
.LBB175_7:                              ;   in Loop: Header=BB175_5 Depth=1
	s_mov_b64 s[10:11], 0
	s_and_saveexec_b32 s13, s12
	s_cbranch_execz .LBB175_4
.LBB175_8:                              ;   in Loop: Header=BB175_5 Depth=1
	s_and_not1_b32 vcc_lo, exec_lo, s16
	s_wait_alu 0xfffe
	s_cbranch_vccz .LBB175_2
; %bb.9:                                ;   in Loop: Header=BB175_5 Depth=1
	v_mov_b32_e32 v6, 0
	s_branch .LBB175_3
.LBB175_10:
	s_endpgm
	.section	.rodata,"a",@progbits
	.p2align	6, 0x0
	.amdhsa_kernel _ZN12_GLOBAL__N_120gemm_ex_scale_kernelILi32ELi32EfPKPKfPKPfEEviiT1_T2_lllT3_llli
		.amdhsa_group_segment_fixed_size 0
		.amdhsa_private_segment_fixed_size 0
		.amdhsa_kernarg_size 84
		.amdhsa_user_sgpr_count 2
		.amdhsa_user_sgpr_dispatch_ptr 0
		.amdhsa_user_sgpr_queue_ptr 0
		.amdhsa_user_sgpr_kernarg_segment_ptr 1
		.amdhsa_user_sgpr_dispatch_id 0
		.amdhsa_user_sgpr_private_segment_size 0
		.amdhsa_wavefront_size32 1
		.amdhsa_uses_dynamic_stack 0
		.amdhsa_enable_private_segment 0
		.amdhsa_system_sgpr_workgroup_id_x 1
		.amdhsa_system_sgpr_workgroup_id_y 1
		.amdhsa_system_sgpr_workgroup_id_z 1
		.amdhsa_system_sgpr_workgroup_info 0
		.amdhsa_system_vgpr_workitem_id 1
		.amdhsa_next_free_vgpr 9
		.amdhsa_next_free_sgpr 22
		.amdhsa_reserve_vcc 1
		.amdhsa_float_round_mode_32 0
		.amdhsa_float_round_mode_16_64 0
		.amdhsa_float_denorm_mode_32 3
		.amdhsa_float_denorm_mode_16_64 3
		.amdhsa_fp16_overflow 0
		.amdhsa_workgroup_processor_mode 1
		.amdhsa_memory_ordered 1
		.amdhsa_forward_progress 1
		.amdhsa_inst_pref_size 4
		.amdhsa_round_robin_scheduling 0
		.amdhsa_exception_fp_ieee_invalid_op 0
		.amdhsa_exception_fp_denorm_src 0
		.amdhsa_exception_fp_ieee_div_zero 0
		.amdhsa_exception_fp_ieee_overflow 0
		.amdhsa_exception_fp_ieee_underflow 0
		.amdhsa_exception_fp_ieee_inexact 0
		.amdhsa_exception_int_div_zero 0
	.end_amdhsa_kernel
	.section	.text._ZN12_GLOBAL__N_120gemm_ex_scale_kernelILi32ELi32EfPKPKfPKPfEEviiT1_T2_lllT3_llli,"axG",@progbits,_ZN12_GLOBAL__N_120gemm_ex_scale_kernelILi32ELi32EfPKPKfPKPfEEviiT1_T2_lllT3_llli,comdat
.Lfunc_end175:
	.size	_ZN12_GLOBAL__N_120gemm_ex_scale_kernelILi32ELi32EfPKPKfPKPfEEviiT1_T2_lllT3_llli, .Lfunc_end175-_ZN12_GLOBAL__N_120gemm_ex_scale_kernelILi32ELi32EfPKPKfPKPfEEviiT1_T2_lllT3_llli
                                        ; -- End function
	.set _ZN12_GLOBAL__N_120gemm_ex_scale_kernelILi32ELi32EfPKPKfPKPfEEviiT1_T2_lllT3_llli.num_vgpr, 9
	.set _ZN12_GLOBAL__N_120gemm_ex_scale_kernelILi32ELi32EfPKPKfPKPfEEviiT1_T2_lllT3_llli.num_agpr, 0
	.set _ZN12_GLOBAL__N_120gemm_ex_scale_kernelILi32ELi32EfPKPKfPKPfEEviiT1_T2_lllT3_llli.numbered_sgpr, 22
	.set _ZN12_GLOBAL__N_120gemm_ex_scale_kernelILi32ELi32EfPKPKfPKPfEEviiT1_T2_lllT3_llli.num_named_barrier, 0
	.set _ZN12_GLOBAL__N_120gemm_ex_scale_kernelILi32ELi32EfPKPKfPKPfEEviiT1_T2_lllT3_llli.private_seg_size, 0
	.set _ZN12_GLOBAL__N_120gemm_ex_scale_kernelILi32ELi32EfPKPKfPKPfEEviiT1_T2_lllT3_llli.uses_vcc, 1
	.set _ZN12_GLOBAL__N_120gemm_ex_scale_kernelILi32ELi32EfPKPKfPKPfEEviiT1_T2_lllT3_llli.uses_flat_scratch, 0
	.set _ZN12_GLOBAL__N_120gemm_ex_scale_kernelILi32ELi32EfPKPKfPKPfEEviiT1_T2_lllT3_llli.has_dyn_sized_stack, 0
	.set _ZN12_GLOBAL__N_120gemm_ex_scale_kernelILi32ELi32EfPKPKfPKPfEEviiT1_T2_lllT3_llli.has_recursion, 0
	.set _ZN12_GLOBAL__N_120gemm_ex_scale_kernelILi32ELi32EfPKPKfPKPfEEviiT1_T2_lllT3_llli.has_indirect_call, 0
	.section	.AMDGPU.csdata,"",@progbits
; Kernel info:
; codeLenInByte = 500
; TotalNumSgprs: 24
; NumVgprs: 9
; ScratchSize: 0
; MemoryBound: 0
; FloatMode: 240
; IeeeMode: 1
; LDSByteSize: 0 bytes/workgroup (compile time only)
; SGPRBlocks: 0
; VGPRBlocks: 1
; NumSGPRsForWavesPerEU: 24
; NumVGPRsForWavesPerEU: 9
; Occupancy: 16
; WaveLimiterHint : 1
; COMPUTE_PGM_RSRC2:SCRATCH_EN: 0
; COMPUTE_PGM_RSRC2:USER_SGPR: 2
; COMPUTE_PGM_RSRC2:TRAP_HANDLER: 0
; COMPUTE_PGM_RSRC2:TGID_X_EN: 1
; COMPUTE_PGM_RSRC2:TGID_Y_EN: 1
; COMPUTE_PGM_RSRC2:TGID_Z_EN: 1
; COMPUTE_PGM_RSRC2:TIDIG_COMP_CNT: 1
	.section	.text._ZN12_GLOBAL__N_127rocblas_gemm_batched_kernelIfLi16ELi16ELi64ELi64ELi4ELi64ELi4ELi4ELi64ELc78ELc78EKPKfS3_KPfEEvlllT_PT11_llS8_llS6_PT12_llPT13_lli,"axG",@progbits,_ZN12_GLOBAL__N_127rocblas_gemm_batched_kernelIfLi16ELi16ELi64ELi64ELi4ELi64ELi4ELi4ELi64ELc78ELc78EKPKfS3_KPfEEvlllT_PT11_llS8_llS6_PT12_llPT13_lli,comdat
	.globl	_ZN12_GLOBAL__N_127rocblas_gemm_batched_kernelIfLi16ELi16ELi64ELi64ELi4ELi64ELi4ELi4ELi64ELc78ELc78EKPKfS3_KPfEEvlllT_PT11_llS8_llS6_PT12_llPT13_lli ; -- Begin function _ZN12_GLOBAL__N_127rocblas_gemm_batched_kernelIfLi16ELi16ELi64ELi64ELi4ELi64ELi4ELi4ELi64ELc78ELc78EKPKfS3_KPfEEvlllT_PT11_llS8_llS6_PT12_llPT13_lli
	.p2align	8
	.type	_ZN12_GLOBAL__N_127rocblas_gemm_batched_kernelIfLi16ELi16ELi64ELi64ELi4ELi64ELi4ELi4ELi64ELc78ELc78EKPKfS3_KPfEEvlllT_PT11_llS8_llS6_PT12_llPT13_lli,@function
_ZN12_GLOBAL__N_127rocblas_gemm_batched_kernelIfLi16ELi16ELi64ELi64ELi4ELi64ELi4ELi4ELi64ELc78ELc78EKPKfS3_KPfEEvlllT_PT11_llS8_llS6_PT12_llPT13_lli: ; @_ZN12_GLOBAL__N_127rocblas_gemm_batched_kernelIfLi16ELi16ELi64ELi64ELi4ELi64ELi4ELi4ELi64ELc78ELc78EKPKfS3_KPfEEvlllT_PT11_llS8_llS6_PT12_llPT13_lli
; %bb.0:
	s_load_b32 s31, s[0:1], 0x88
	s_lshr_b32 s2, ttmp7, 16
	s_wait_kmcnt 0x0
	s_cmp_ge_i32 s2, s31
	s_cbranch_scc1 .LBB176_10
; %bb.1:
	v_bfe_u32 v1, v0, 10, 10
	v_and_b32_e32 v12, 0x3ff, v0
	s_clause 0x5
	s_load_b96 s[28:30], s[0:1], 0x10
	s_load_b256 s[4:11], s[0:1], 0x20
	s_load_b128 s[20:23], s[0:1], 0x78
	s_load_b128 s[24:27], s[0:1], 0x40
	s_load_b32 s33, s[0:1], 0x50
	s_load_b256 s[12:19], s[0:1], 0x58
	v_lshlrev_b32_e32 v0, 2, v0
	v_lshlrev_b32_e32 v6, 4, v1
	s_lshl_b32 s0, ttmp7, 6
	s_mov_b32 s34, ttmp9
	s_and_b32 s3, s0, 0x3fffc0
	v_and_b32_e32 v21, 12, v0
	v_add_nc_u32_e32 v2, v6, v12
	v_dual_mov_b32 v14, 0 :: v_dual_add_nc_u32 v9, s3, v1
	s_ashr_i32 s35, ttmp9, 31
	v_add_nc_u32_e32 v18, 0x400, v6
	s_delay_alu instid0(VALU_DEP_3) | instskip(SKIP_3) | instid1(VALU_DEP_3)
	v_and_b32_e32 v13, 63, v2
	v_lshrrev_b32_e32 v0, 2, v2
	v_lshrrev_b32_e32 v19, 6, v2
	s_lshl_b64 s[0:1], s[34:35], 6
	v_lshlrev_b32_e32 v2, 2, v13
	s_delay_alu instid0(VALU_DEP_3)
	v_add_nc_u32_e32 v11, s3, v0
	v_lshl_or_b32 v1, v0, 4, v21
	s_wait_kmcnt 0x0
	s_cmp_eq_f32 s33, 0
	s_mov_b32 s3, 0
	v_lshl_or_b32 v15, v19, 8, v2
	v_mad_co_u64_u32 v[2:3], null, v9, s20, 0
	v_mad_co_u64_u32 v[4:5], null, s24, v11, 0
	v_add_nc_u32_e32 v16, 0x400, v1
	v_mad_co_u64_u32 v[0:1], null, v9, s14, 0
	s_cselect_b32 s24, -1, 0
	s_lshl_b64 s[34:35], s[14:15], 4
	v_mad_co_u64_u32 v[6:7], null, v9, s21, v[3:4]
	v_mov_b32_e32 v3, v5
	v_mad_co_u64_u32 v[7:8], null, s6, v19, s[0:1]
	v_mad_co_u64_u32 v[9:10], null, v9, s15, v[1:2]
	s_delay_alu instid0(VALU_DEP_3) | instskip(SKIP_1) | instid1(VALU_DEP_4)
	v_mad_co_u64_u32 v[10:11], null, s25, v11, v[3:4]
	v_add_co_u32 v11, s0, s0, v12
	v_mov_b32_e32 v1, v8
	v_mov_b32_e32 v3, v6
	v_add_co_u32 v6, vcc_lo, v7, v13
	v_mov_b32_e32 v5, v10
	s_delay_alu instid0(VALU_DEP_4)
	v_mad_co_u64_u32 v[19:20], null, s7, v19, v[1:2]
	v_lshlrev_b32_e32 v17, 2, v12
	s_wait_alu 0xf1ff
	v_add_co_ci_u32_e64 v12, null, s1, 0, s0
	v_lshlrev_b64_e32 v[4:5], 2, v[4:5]
	s_lshl_b64 s[0:1], s[26:27], 2
	v_mov_b32_e32 v1, v9
	v_add_co_ci_u32_e64 v7, null, 0, v19, vcc_lo
	v_lshlrev_b64_e32 v[2:3], 2, v[2:3]
	s_wait_alu 0xfffe
	v_add_co_u32 v8, vcc_lo, v4, s0
	s_wait_alu 0xfffd
	v_add_co_ci_u32_e64 v9, null, s1, v5, vcc_lo
	s_lshl_b64 s[0:1], s[8:9], 2
	v_cmp_gt_i64_e64 s8, s[28:29], 0
	v_lshlrev_b64_e32 v[4:5], 2, v[6:7]
	v_add_co_u32 v19, vcc_lo, v8, v21
	s_wait_alu 0xfffd
	v_add_co_ci_u32_e64 v20, null, 0, v9, vcc_lo
	s_delay_alu instid0(VALU_DEP_4)
	v_cndmask_b32_e64 v6, 0, 1, s8
	s_wait_alu 0xfffe
	v_add_co_u32 v21, vcc_lo, s0, v4
	s_wait_alu 0xfffd
	v_add_co_ci_u32_e64 v22, null, s1, v5, vcc_lo
	v_lshlrev_b64_e32 v[0:1], 2, v[0:1]
	v_lshlrev_b64_e32 v[4:5], 2, v[11:12]
	v_cmp_ne_u32_e64 s0, 1, v6
	s_lshl_b64 s[20:21], s[20:21], 4
	s_lshl_b64 s[6:7], s[6:7], 4
	;; [unrolled: 1-line block ×5, first 2 shown]
	s_wait_alu 0xfffe
	s_lshl_b64 s[20:21], s[20:21], 2
	s_branch .LBB176_3
.LBB176_2:                              ;   in Loop: Header=BB176_3 Depth=1
	s_add_co_i32 s2, s2, 0x10000
	s_wait_alu 0xfffe
	s_cmp_lt_i32 s2, s31
	s_cbranch_scc0 .LBB176_10
.LBB176_3:                              ; =>This Loop Header: Depth=1
                                        ;     Child Loop BB176_5 Depth 2
	s_lshl_b64 s[22:23], s[2:3], 3
	v_dual_mov_b32 v38, 0 :: v_dual_mov_b32 v37, 0
	s_wait_alu 0xfffe
	s_add_nc_u64 s[26:27], s[12:13], s[22:23]
	s_add_nc_u64 s[34:35], s[18:19], s[22:23]
	s_clause 0x1
	global_load_b64 v[6:7], v14, s[26:27]
	global_load_b64 v[8:9], v14, s[34:35]
	v_dual_mov_b32 v36, 0 :: v_dual_mov_b32 v35, 0
	v_dual_mov_b32 v34, 0 :: v_dual_mov_b32 v33, 0
	;; [unrolled: 1-line block ×7, first 2 shown]
	s_and_b32 vcc_lo, exec_lo, s0
	s_wait_alu 0xfffe
	s_cbranch_vccnz .LBB176_6
; %bb.4:                                ;   in Loop: Header=BB176_3 Depth=1
	s_add_nc_u64 s[26:27], s[10:11], s[22:23]
	s_add_nc_u64 s[22:23], s[4:5], s[22:23]
	s_clause 0x1
	global_load_b64 v[10:11], v14, s[26:27]
	global_load_b64 v[12:13], v14, s[22:23]
	v_dual_mov_b32 v23, 0 :: v_dual_mov_b32 v24, 0
	v_dual_mov_b32 v25, 0 :: v_dual_mov_b32 v26, 0
	;; [unrolled: 1-line block ×8, first 2 shown]
	s_mov_b64 s[22:23], 0
	s_wait_loadcnt 0x1
	v_add_co_u32 v10, vcc_lo, v10, v19
	s_wait_alu 0xfffd
	v_add_co_ci_u32_e64 v11, null, v11, v20, vcc_lo
	s_wait_loadcnt 0x0
	v_add_co_u32 v12, vcc_lo, v12, v21
	s_wait_alu 0xfffd
	v_add_co_ci_u32_e64 v13, null, v13, v22, vcc_lo
.LBB176_5:                              ;   Parent Loop BB176_3 Depth=1
                                        ; =>  This Inner Loop Header: Depth=2
	flat_load_b32 v39, v[12:13]
	s_wait_alu 0xfffe
	s_add_nc_u64 s[22:23], s[22:23], 4
	v_add_co_u32 v12, vcc_lo, v12, s6
	s_wait_alu 0xfffe
	v_cmp_lt_i64_e64 s1, s[22:23], s[28:29]
	s_wait_alu 0xfffd
	v_add_co_ci_u32_e64 v13, null, s7, v13, vcc_lo
	s_and_b32 vcc_lo, exec_lo, s1
	s_wait_loadcnt_dscnt 0x0
	ds_store_b32 v15, v39
	flat_load_b32 v39, v[10:11]
	v_add_co_u32 v10, s1, v10, 16
	s_wait_alu 0xf1ff
	v_add_co_ci_u32_e64 v11, null, 0, v11, s1
	s_wait_loadcnt_dscnt 0x0
	ds_store_b32 v16, v39
	s_wait_dscnt 0x0
	s_barrier_signal -1
	s_barrier_wait -1
	global_inv scope:SCOPE_SE
	ds_load_b128 v[39:42], v18
	ds_load_2addr_b32 v[55:56], v17 offset1:16
	ds_load_2addr_b32 v[57:58], v17 offset0:32 offset1:48
	ds_load_b128 v[43:46], v18 offset:256
	ds_load_b128 v[47:50], v18 offset:512
	;; [unrolled: 1-line block ×3, first 2 shown]
	ds_load_2addr_b32 v[59:60], v17 offset0:64 offset1:80
	ds_load_2addr_b32 v[61:62], v17 offset0:96 offset1:112
	;; [unrolled: 1-line block ×6, first 2 shown]
	s_wait_loadcnt_dscnt 0x0
	s_barrier_signal -1
	s_barrier_wait -1
	global_inv scope:SCOPE_SE
	v_fmac_f32_e32 v37, v56, v39
	v_fmac_f32_e32 v38, v55, v39
	;; [unrolled: 1-line block ×15, first 2 shown]
	v_dual_fmac_f32 v24, v57, v51 :: v_dual_fmac_f32 v37, v60, v40
	v_fmac_f32_e32 v38, v59, v40
	v_fmac_f32_e32 v35, v62, v40
	v_fmac_f32_e32 v36, v61, v40
	v_fmac_f32_e32 v33, v60, v44
	v_fmac_f32_e32 v34, v59, v44
	v_fmac_f32_e32 v31, v62, v44
	v_fmac_f32_e32 v32, v61, v44
	v_fmac_f32_e32 v29, v60, v48
	v_fmac_f32_e32 v30, v59, v48
	v_fmac_f32_e32 v27, v62, v48
	v_fmac_f32_e32 v28, v61, v48
	v_fmac_f32_e32 v25, v60, v52
	v_fmac_f32_e32 v26, v59, v52
	v_fmac_f32_e32 v23, v62, v52
	v_dual_fmac_f32 v24, v61, v52 :: v_dual_fmac_f32 v37, v64, v41
	v_fmac_f32_e32 v38, v63, v41
	v_fmac_f32_e32 v35, v66, v41
	v_fmac_f32_e32 v36, v65, v41
	v_fmac_f32_e32 v33, v64, v45
	v_fmac_f32_e32 v34, v63, v45
	v_fmac_f32_e32 v31, v66, v45
	v_fmac_f32_e32 v32, v65, v45
	v_fmac_f32_e32 v29, v64, v49
	v_fmac_f32_e32 v30, v63, v49
	v_fmac_f32_e32 v27, v66, v49
	v_fmac_f32_e32 v28, v65, v49
	v_fmac_f32_e32 v25, v64, v53
	v_fmac_f32_e32 v26, v63, v53
	v_fmac_f32_e32 v23, v66, v53
	;; [unrolled: 15-line block ×3, first 2 shown]
	v_fmac_f32_e32 v24, v69, v54
	s_wait_alu 0xfffe
	s_cbranch_vccnz .LBB176_5
.LBB176_6:                              ;   in Loop: Header=BB176_3 Depth=1
	s_wait_loadcnt 0x0
	v_add_co_u32 v8, vcc_lo, v8, s8
	s_wait_alu 0xfffd
	v_add_co_ci_u32_e64 v9, null, s9, v9, vcc_lo
	s_and_not1_b32 vcc_lo, exec_lo, s24
	s_wait_alu 0xfffe
	s_cbranch_vccnz .LBB176_8
; %bb.7:                                ;   in Loop: Header=BB176_3 Depth=1
	v_add_co_u32 v12, vcc_lo, v8, v2
	s_wait_alu 0xfffd
	v_add_co_ci_u32_e64 v13, null, v9, v3, vcc_lo
	v_dual_mul_f32 v39, s30, v38 :: v_dual_mul_f32 v40, s30, v37
	s_delay_alu instid0(VALU_DEP_3) | instskip(SKIP_1) | instid1(VALU_DEP_3)
	v_add_co_u32 v10, vcc_lo, v12, v4
	s_wait_alu 0xfffd
	v_add_co_ci_u32_e64 v11, null, v13, v5, vcc_lo
	v_add_co_u32 v12, vcc_lo, v12, s20
	v_dual_mul_f32 v41, s30, v36 :: v_dual_mul_f32 v42, s30, v35
	s_wait_alu 0xfffd
	v_add_co_ci_u32_e64 v13, null, s21, v13, vcc_lo
	s_clause 0x3
	flat_store_b32 v[10:11], v39
	flat_store_b32 v[10:11], v40 offset:64
	flat_store_b32 v[10:11], v41 offset:128
	;; [unrolled: 1-line block ×3, first 2 shown]
	v_add_co_u32 v10, vcc_lo, v12, v4
	s_wait_alu 0xfffd
	v_add_co_ci_u32_e64 v11, null, v13, v5, vcc_lo
	v_add_co_u32 v43, vcc_lo, v12, s20
	s_wait_alu 0xfffd
	v_add_co_ci_u32_e64 v44, null, s21, v13, vcc_lo
	v_dual_mul_f32 v39, s30, v34 :: v_dual_mul_f32 v40, s30, v33
	v_dual_mul_f32 v41, s30, v32 :: v_dual_mul_f32 v42, s30, v31
	v_add_co_u32 v12, vcc_lo, v43, v4
	v_dual_mul_f32 v45, s30, v30 :: v_dual_mul_f32 v46, s30, v29
	s_wait_alu 0xfffd
	v_add_co_ci_u32_e64 v13, null, v44, v5, vcc_lo
	v_dual_mul_f32 v47, s30, v28 :: v_dual_mul_f32 v48, s30, v27
	s_clause 0x7
	flat_store_b32 v[10:11], v39
	flat_store_b32 v[10:11], v40 offset:64
	flat_store_b32 v[10:11], v41 offset:128
	;; [unrolled: 1-line block ×3, first 2 shown]
	flat_store_b32 v[12:13], v45
	flat_store_b32 v[12:13], v46 offset:64
	flat_store_b32 v[12:13], v47 offset:128
	;; [unrolled: 1-line block ×3, first 2 shown]
	v_add_co_u32 v10, vcc_lo, v43, s20
	s_wait_alu 0xfffd
	v_add_co_ci_u32_e64 v11, null, s21, v44, vcc_lo
	v_dual_mul_f32 v12, s30, v26 :: v_dual_mul_f32 v13, s30, v25
	s_delay_alu instid0(VALU_DEP_3) | instskip(SKIP_1) | instid1(VALU_DEP_3)
	v_add_co_u32 v10, vcc_lo, v10, v4
	s_wait_alu 0xfffd
	v_add_co_ci_u32_e64 v11, null, v11, v5, vcc_lo
	v_dual_mul_f32 v39, s30, v24 :: v_dual_mul_f32 v40, s30, v23
	s_clause 0x3
	flat_store_b32 v[10:11], v12
	flat_store_b32 v[10:11], v13 offset:64
	flat_store_b32 v[10:11], v39 offset:128
	;; [unrolled: 1-line block ×3, first 2 shown]
	s_cbranch_execnz .LBB176_2
	s_branch .LBB176_9
.LBB176_8:                              ;   in Loop: Header=BB176_3 Depth=1
.LBB176_9:                              ;   in Loop: Header=BB176_3 Depth=1
	v_add_co_u32 v6, vcc_lo, v6, s14
	s_wait_alu 0xfffd
	v_add_co_ci_u32_e64 v7, null, s15, v7, vcc_lo
	s_delay_alu instid0(VALU_DEP_2) | instskip(SKIP_1) | instid1(VALU_DEP_2)
	v_add_co_u32 v10, vcc_lo, v6, v0
	s_wait_alu 0xfffd
	v_add_co_ci_u32_e64 v11, null, v7, v1, vcc_lo
	s_delay_alu instid0(VALU_DEP_2) | instskip(SKIP_1) | instid1(VALU_DEP_2)
	v_add_co_u32 v6, vcc_lo, v10, v4
	s_wait_alu 0xfffd
	v_add_co_ci_u32_e64 v7, null, v11, v5, vcc_lo
	v_add_co_u32 v13, vcc_lo, v8, v2
	s_wait_alu 0xfffd
	v_add_co_ci_u32_e64 v39, null, v9, v3, vcc_lo
	flat_load_b32 v12, v[6:7]
	v_add_co_u32 v8, vcc_lo, v13, v4
	s_wait_alu 0xfffd
	v_add_co_ci_u32_e64 v9, null, v39, v5, vcc_lo
	v_add_co_u32 v10, vcc_lo, v10, s16
	s_wait_alu 0xfffd
	v_add_co_ci_u32_e64 v11, null, s17, v11, vcc_lo
	s_wait_loadcnt_dscnt 0x0
	v_mul_f32_e32 v12, s33, v12
	s_delay_alu instid0(VALU_DEP_1) | instskip(SKIP_4) | instid1(VALU_DEP_1)
	v_fmac_f32_e32 v12, s30, v38
	flat_store_b32 v[8:9], v12
	flat_load_b32 v12, v[6:7] offset:64
	s_wait_loadcnt_dscnt 0x0
	v_mul_f32_e32 v12, s33, v12
	v_fmac_f32_e32 v12, s30, v37
	flat_store_b32 v[8:9], v12 offset:64
	flat_load_b32 v12, v[6:7] offset:128
	s_wait_loadcnt_dscnt 0x0
	v_mul_f32_e32 v12, s33, v12
	s_delay_alu instid0(VALU_DEP_1)
	v_fmac_f32_e32 v12, s30, v36
	flat_store_b32 v[8:9], v12 offset:128
	flat_load_b32 v6, v[6:7] offset:192
	s_wait_loadcnt_dscnt 0x0
	v_mul_f32_e32 v12, s33, v6
	v_add_co_u32 v6, vcc_lo, v10, v4
	s_wait_alu 0xfffd
	v_add_co_ci_u32_e64 v7, null, v11, v5, vcc_lo
	s_delay_alu instid0(VALU_DEP_3)
	v_fmac_f32_e32 v12, s30, v35
	flat_store_b32 v[8:9], v12 offset:192
	flat_load_b32 v8, v[6:7]
	v_add_co_u32 v12, vcc_lo, v13, s20
	s_wait_alu 0xfffd
	v_add_co_ci_u32_e64 v13, null, s21, v39, vcc_lo
	s_wait_loadcnt_dscnt 0x0
	v_mul_f32_e32 v35, s33, v8
	v_add_co_u32 v8, vcc_lo, v12, v4
	s_wait_alu 0xfffd
	v_add_co_ci_u32_e64 v9, null, v13, v5, vcc_lo
	s_delay_alu instid0(VALU_DEP_3)
	v_fmac_f32_e32 v35, s30, v34
	v_add_co_u32 v10, vcc_lo, v10, s16
	s_wait_alu 0xfffd
	v_add_co_ci_u32_e64 v11, null, s17, v11, vcc_lo
	flat_store_b32 v[8:9], v35
	flat_load_b32 v34, v[6:7] offset:64
	s_wait_loadcnt_dscnt 0x0
	v_mul_f32_e32 v34, s33, v34
	s_delay_alu instid0(VALU_DEP_1) | instskip(SKIP_4) | instid1(VALU_DEP_1)
	v_fmac_f32_e32 v34, s30, v33
	flat_store_b32 v[8:9], v34 offset:64
	flat_load_b32 v33, v[6:7] offset:128
	s_wait_loadcnt_dscnt 0x0
	v_mul_f32_e32 v33, s33, v33
	v_fmac_f32_e32 v33, s30, v32
	flat_store_b32 v[8:9], v33 offset:128
	flat_load_b32 v6, v[6:7] offset:192
	s_wait_loadcnt_dscnt 0x0
	v_mul_f32_e32 v32, s33, v6
	v_add_co_u32 v6, vcc_lo, v10, v4
	s_wait_alu 0xfffd
	v_add_co_ci_u32_e64 v7, null, v11, v5, vcc_lo
	s_delay_alu instid0(VALU_DEP_3)
	v_fmac_f32_e32 v32, s30, v31
	v_add_co_u32 v12, vcc_lo, v12, s20
	s_wait_alu 0xfffd
	v_add_co_ci_u32_e64 v13, null, s21, v13, vcc_lo
	flat_store_b32 v[8:9], v32 offset:192
	flat_load_b32 v8, v[6:7]
	s_wait_loadcnt_dscnt 0x0
	v_mul_f32_e32 v31, s33, v8
	v_add_co_u32 v8, vcc_lo, v12, v4
	s_wait_alu 0xfffd
	v_add_co_ci_u32_e64 v9, null, v13, v5, vcc_lo
	s_delay_alu instid0(VALU_DEP_3) | instskip(SKIP_4) | instid1(VALU_DEP_1)
	v_fmac_f32_e32 v31, s30, v30
	flat_store_b32 v[8:9], v31
	flat_load_b32 v30, v[6:7] offset:64
	s_wait_loadcnt_dscnt 0x0
	v_mul_f32_e32 v30, s33, v30
	v_fmac_f32_e32 v30, s30, v29
	flat_store_b32 v[8:9], v30 offset:64
	flat_load_b32 v29, v[6:7] offset:128
	s_wait_loadcnt_dscnt 0x0
	v_mul_f32_e32 v29, s33, v29
	s_delay_alu instid0(VALU_DEP_1)
	v_fmac_f32_e32 v29, s30, v28
	flat_store_b32 v[8:9], v29 offset:128
	flat_load_b32 v6, v[6:7] offset:192
	s_wait_loadcnt_dscnt 0x0
	v_mul_f32_e32 v28, s33, v6
	v_add_co_u32 v6, vcc_lo, v10, s16
	s_wait_alu 0xfffd
	v_add_co_ci_u32_e64 v7, null, s17, v11, vcc_lo
	s_delay_alu instid0(VALU_DEP_3) | instskip(NEXT) | instid1(VALU_DEP_3)
	v_fmac_f32_e32 v28, s30, v27
	v_add_co_u32 v6, vcc_lo, v6, v4
	s_wait_alu 0xfffd
	s_delay_alu instid0(VALU_DEP_3)
	v_add_co_ci_u32_e64 v7, null, v7, v5, vcc_lo
	flat_store_b32 v[8:9], v28 offset:192
	flat_load_b32 v8, v[6:7]
	s_wait_loadcnt_dscnt 0x0
	v_mul_f32_e32 v10, s33, v8
	v_add_co_u32 v8, vcc_lo, v12, s20
	s_wait_alu 0xfffd
	v_add_co_ci_u32_e64 v9, null, s21, v13, vcc_lo
	s_delay_alu instid0(VALU_DEP_3) | instskip(NEXT) | instid1(VALU_DEP_3)
	v_fmac_f32_e32 v10, s30, v26
	v_add_co_u32 v8, vcc_lo, v8, v4
	s_wait_alu 0xfffd
	s_delay_alu instid0(VALU_DEP_3) | instskip(SKIP_4) | instid1(VALU_DEP_1)
	v_add_co_ci_u32_e64 v9, null, v9, v5, vcc_lo
	flat_store_b32 v[8:9], v10
	flat_load_b32 v10, v[6:7] offset:64
	s_wait_loadcnt_dscnt 0x0
	v_mul_f32_e32 v10, s33, v10
	v_fmac_f32_e32 v10, s30, v25
	flat_store_b32 v[8:9], v10 offset:64
	flat_load_b32 v10, v[6:7] offset:128
	s_wait_loadcnt_dscnt 0x0
	v_mul_f32_e32 v10, s33, v10
	s_delay_alu instid0(VALU_DEP_1) | instskip(SKIP_4) | instid1(VALU_DEP_1)
	v_fmac_f32_e32 v10, s30, v24
	flat_store_b32 v[8:9], v10 offset:128
	flat_load_b32 v6, v[6:7] offset:192
	s_wait_loadcnt_dscnt 0x0
	v_mul_f32_e32 v6, s33, v6
	v_fmac_f32_e32 v6, s30, v23
	flat_store_b32 v[8:9], v6 offset:192
	s_branch .LBB176_2
.LBB176_10:
	s_endpgm
	.section	.rodata,"a",@progbits
	.p2align	6, 0x0
	.amdhsa_kernel _ZN12_GLOBAL__N_127rocblas_gemm_batched_kernelIfLi16ELi16ELi64ELi64ELi4ELi64ELi4ELi4ELi64ELc78ELc78EKPKfS3_KPfEEvlllT_PT11_llS8_llS6_PT12_llPT13_lli
		.amdhsa_group_segment_fixed_size 2048
		.amdhsa_private_segment_fixed_size 0
		.amdhsa_kernarg_size 140
		.amdhsa_user_sgpr_count 2
		.amdhsa_user_sgpr_dispatch_ptr 0
		.amdhsa_user_sgpr_queue_ptr 0
		.amdhsa_user_sgpr_kernarg_segment_ptr 1
		.amdhsa_user_sgpr_dispatch_id 0
		.amdhsa_user_sgpr_private_segment_size 0
		.amdhsa_wavefront_size32 1
		.amdhsa_uses_dynamic_stack 0
		.amdhsa_enable_private_segment 0
		.amdhsa_system_sgpr_workgroup_id_x 1
		.amdhsa_system_sgpr_workgroup_id_y 1
		.amdhsa_system_sgpr_workgroup_id_z 1
		.amdhsa_system_sgpr_workgroup_info 0
		.amdhsa_system_vgpr_workitem_id 1
		.amdhsa_next_free_vgpr 71
		.amdhsa_next_free_sgpr 36
		.amdhsa_reserve_vcc 1
		.amdhsa_float_round_mode_32 0
		.amdhsa_float_round_mode_16_64 0
		.amdhsa_float_denorm_mode_32 3
		.amdhsa_float_denorm_mode_16_64 3
		.amdhsa_fp16_overflow 0
		.amdhsa_workgroup_processor_mode 1
		.amdhsa_memory_ordered 1
		.amdhsa_forward_progress 1
		.amdhsa_inst_pref_size 22
		.amdhsa_round_robin_scheduling 0
		.amdhsa_exception_fp_ieee_invalid_op 0
		.amdhsa_exception_fp_denorm_src 0
		.amdhsa_exception_fp_ieee_div_zero 0
		.amdhsa_exception_fp_ieee_overflow 0
		.amdhsa_exception_fp_ieee_underflow 0
		.amdhsa_exception_fp_ieee_inexact 0
		.amdhsa_exception_int_div_zero 0
	.end_amdhsa_kernel
	.section	.text._ZN12_GLOBAL__N_127rocblas_gemm_batched_kernelIfLi16ELi16ELi64ELi64ELi4ELi64ELi4ELi4ELi64ELc78ELc78EKPKfS3_KPfEEvlllT_PT11_llS8_llS6_PT12_llPT13_lli,"axG",@progbits,_ZN12_GLOBAL__N_127rocblas_gemm_batched_kernelIfLi16ELi16ELi64ELi64ELi4ELi64ELi4ELi4ELi64ELc78ELc78EKPKfS3_KPfEEvlllT_PT11_llS8_llS6_PT12_llPT13_lli,comdat
.Lfunc_end176:
	.size	_ZN12_GLOBAL__N_127rocblas_gemm_batched_kernelIfLi16ELi16ELi64ELi64ELi4ELi64ELi4ELi4ELi64ELc78ELc78EKPKfS3_KPfEEvlllT_PT11_llS8_llS6_PT12_llPT13_lli, .Lfunc_end176-_ZN12_GLOBAL__N_127rocblas_gemm_batched_kernelIfLi16ELi16ELi64ELi64ELi4ELi64ELi4ELi4ELi64ELc78ELc78EKPKfS3_KPfEEvlllT_PT11_llS8_llS6_PT12_llPT13_lli
                                        ; -- End function
	.set _ZN12_GLOBAL__N_127rocblas_gemm_batched_kernelIfLi16ELi16ELi64ELi64ELi4ELi64ELi4ELi4ELi64ELc78ELc78EKPKfS3_KPfEEvlllT_PT11_llS8_llS6_PT12_llPT13_lli.num_vgpr, 71
	.set _ZN12_GLOBAL__N_127rocblas_gemm_batched_kernelIfLi16ELi16ELi64ELi64ELi4ELi64ELi4ELi4ELi64ELc78ELc78EKPKfS3_KPfEEvlllT_PT11_llS8_llS6_PT12_llPT13_lli.num_agpr, 0
	.set _ZN12_GLOBAL__N_127rocblas_gemm_batched_kernelIfLi16ELi16ELi64ELi64ELi4ELi64ELi4ELi4ELi64ELc78ELc78EKPKfS3_KPfEEvlllT_PT11_llS8_llS6_PT12_llPT13_lli.numbered_sgpr, 36
	.set _ZN12_GLOBAL__N_127rocblas_gemm_batched_kernelIfLi16ELi16ELi64ELi64ELi4ELi64ELi4ELi4ELi64ELc78ELc78EKPKfS3_KPfEEvlllT_PT11_llS8_llS6_PT12_llPT13_lli.num_named_barrier, 0
	.set _ZN12_GLOBAL__N_127rocblas_gemm_batched_kernelIfLi16ELi16ELi64ELi64ELi4ELi64ELi4ELi4ELi64ELc78ELc78EKPKfS3_KPfEEvlllT_PT11_llS8_llS6_PT12_llPT13_lli.private_seg_size, 0
	.set _ZN12_GLOBAL__N_127rocblas_gemm_batched_kernelIfLi16ELi16ELi64ELi64ELi4ELi64ELi4ELi4ELi64ELc78ELc78EKPKfS3_KPfEEvlllT_PT11_llS8_llS6_PT12_llPT13_lli.uses_vcc, 1
	.set _ZN12_GLOBAL__N_127rocblas_gemm_batched_kernelIfLi16ELi16ELi64ELi64ELi4ELi64ELi4ELi4ELi64ELc78ELc78EKPKfS3_KPfEEvlllT_PT11_llS8_llS6_PT12_llPT13_lli.uses_flat_scratch, 1
	.set _ZN12_GLOBAL__N_127rocblas_gemm_batched_kernelIfLi16ELi16ELi64ELi64ELi4ELi64ELi4ELi4ELi64ELc78ELc78EKPKfS3_KPfEEvlllT_PT11_llS8_llS6_PT12_llPT13_lli.has_dyn_sized_stack, 0
	.set _ZN12_GLOBAL__N_127rocblas_gemm_batched_kernelIfLi16ELi16ELi64ELi64ELi4ELi64ELi4ELi4ELi64ELc78ELc78EKPKfS3_KPfEEvlllT_PT11_llS8_llS6_PT12_llPT13_lli.has_recursion, 0
	.set _ZN12_GLOBAL__N_127rocblas_gemm_batched_kernelIfLi16ELi16ELi64ELi64ELi4ELi64ELi4ELi4ELi64ELc78ELc78EKPKfS3_KPfEEvlllT_PT11_llS8_llS6_PT12_llPT13_lli.has_indirect_call, 0
	.section	.AMDGPU.csdata,"",@progbits
; Kernel info:
; codeLenInByte = 2784
; TotalNumSgprs: 38
; NumVgprs: 71
; ScratchSize: 0
; MemoryBound: 0
; FloatMode: 240
; IeeeMode: 1
; LDSByteSize: 2048 bytes/workgroup (compile time only)
; SGPRBlocks: 0
; VGPRBlocks: 8
; NumSGPRsForWavesPerEU: 38
; NumVGPRsForWavesPerEU: 71
; Occupancy: 16
; WaveLimiterHint : 1
; COMPUTE_PGM_RSRC2:SCRATCH_EN: 0
; COMPUTE_PGM_RSRC2:USER_SGPR: 2
; COMPUTE_PGM_RSRC2:TRAP_HANDLER: 0
; COMPUTE_PGM_RSRC2:TGID_X_EN: 1
; COMPUTE_PGM_RSRC2:TGID_Y_EN: 1
; COMPUTE_PGM_RSRC2:TGID_Z_EN: 1
; COMPUTE_PGM_RSRC2:TIDIG_COMP_CNT: 1
	.section	.text._ZN12_GLOBAL__N_127rocblas_gemm_batched_kernelIfLi16ELi16ELi64ELi64ELi4ELi64ELi4ELi4ELi64ELc84ELc78EKPKfS3_KPfEEvlllT_PT11_llS8_llS6_PT12_llPT13_lli,"axG",@progbits,_ZN12_GLOBAL__N_127rocblas_gemm_batched_kernelIfLi16ELi16ELi64ELi64ELi4ELi64ELi4ELi4ELi64ELc84ELc78EKPKfS3_KPfEEvlllT_PT11_llS8_llS6_PT12_llPT13_lli,comdat
	.globl	_ZN12_GLOBAL__N_127rocblas_gemm_batched_kernelIfLi16ELi16ELi64ELi64ELi4ELi64ELi4ELi4ELi64ELc84ELc78EKPKfS3_KPfEEvlllT_PT11_llS8_llS6_PT12_llPT13_lli ; -- Begin function _ZN12_GLOBAL__N_127rocblas_gemm_batched_kernelIfLi16ELi16ELi64ELi64ELi4ELi64ELi4ELi4ELi64ELc84ELc78EKPKfS3_KPfEEvlllT_PT11_llS8_llS6_PT12_llPT13_lli
	.p2align	8
	.type	_ZN12_GLOBAL__N_127rocblas_gemm_batched_kernelIfLi16ELi16ELi64ELi64ELi4ELi64ELi4ELi4ELi64ELc84ELc78EKPKfS3_KPfEEvlllT_PT11_llS8_llS6_PT12_llPT13_lli,@function
_ZN12_GLOBAL__N_127rocblas_gemm_batched_kernelIfLi16ELi16ELi64ELi64ELi4ELi64ELi4ELi4ELi64ELc84ELc78EKPKfS3_KPfEEvlllT_PT11_llS8_llS6_PT12_llPT13_lli: ; @_ZN12_GLOBAL__N_127rocblas_gemm_batched_kernelIfLi16ELi16ELi64ELi64ELi4ELi64ELi4ELi4ELi64ELc84ELc78EKPKfS3_KPfEEvlllT_PT11_llS8_llS6_PT12_llPT13_lli
; %bb.0:
	s_load_b32 s31, s[0:1], 0x88
	s_lshr_b32 s2, ttmp7, 16
	s_wait_kmcnt 0x0
	s_cmp_ge_i32 s2, s31
	s_cbranch_scc1 .LBB177_10
; %bb.1:
	v_bfe_u32 v1, v0, 10, 10
	s_clause 0x1
	s_load_b96 s[28:30], s[0:1], 0x10
	s_load_b256 s[4:11], s[0:1], 0x20
	v_and_b32_e32 v10, 0x3ff, v0
	s_clause 0x3
	s_load_b128 s[24:27], s[0:1], 0x40
	s_load_b32 s33, s[0:1], 0x50
	s_load_b128 s[20:23], s[0:1], 0x78
	s_load_b256 s[12:19], s[0:1], 0x58
	v_lshlrev_b32_e32 v6, 4, v1
	v_lshlrev_b32_e32 v0, 2, v0
	v_mov_b32_e32 v14, 0
	s_lshl_b32 s0, ttmp7, 6
	s_mov_b32 s34, ttmp9
	v_add_nc_u32_e32 v2, v6, v10
	v_and_b32_e32 v13, 12, v0
	s_and_b32 s3, s0, 0x3fffc0
	s_ashr_i32 s35, ttmp9, 31
	v_add_nc_u32_e32 v9, s3, v1
	v_and_b32_e32 v11, 63, v2
	v_lshrrev_b32_e32 v0, 2, v2
	v_lshrrev_b32_e32 v21, 6, v2
	v_add_nc_u32_e32 v18, 0x400, v6
	s_lshl_b64 s[0:1], s[34:35], 6
	v_lshlrev_b32_e32 v2, 2, v11
	v_lshl_or_b32 v3, v0, 4, v13
	v_add_nc_u32_e32 v8, s3, v0
	s_wait_kmcnt 0x0
	s_cmp_eq_f32 s33, 0
	v_mad_co_u64_u32 v[4:5], null, v9, s14, 0
	v_lshl_or_b32 v15, v21, 8, v2
	v_add_nc_u32_e32 v16, 0x400, v3
	v_mad_co_u64_u32 v[2:3], null, v9, s20, 0
	v_mad_co_u64_u32 v[0:1], null, s24, v8, 0
	s_cselect_b32 s24, -1, 0
	s_lshl_b64 s[34:35], s[14:15], 4
	s_mov_b32 s3, 0
	v_mad_co_u64_u32 v[6:7], null, v9, s21, v[3:4]
	v_mad_co_u64_u32 v[7:8], null, s25, v8, v[1:2]
	v_or_b32_e32 v3, s0, v11
	s_lshl_b64 s[20:21], s[20:21], 4
	s_delay_alu instid0(VALU_DEP_3) | instskip(NEXT) | instid1(VALU_DEP_3)
	v_mad_co_u64_u32 v[8:9], null, v9, s15, v[5:6]
	v_mov_b32_e32 v1, v7
	s_delay_alu instid0(VALU_DEP_3)
	v_mul_lo_u32 v7, s7, v3
	v_mad_co_u64_u32 v[11:12], null, s6, v3, 0
	s_mul_i32 s6, s6, s1
	v_lshlrev_b64_e32 v[0:1], 2, v[0:1]
	v_add_co_u32 v9, s0, s0, v10
	v_lshlrev_b32_e32 v17, 2, v10
	s_wait_alu 0xf1ff
	v_add_co_ci_u32_e64 v10, null, s1, 0, s0
	s_wait_alu 0xfffe
	v_add3_u32 v12, v12, s6, v7
	s_lshl_b64 s[0:1], s[26:27], 2
	v_mov_b32_e32 v3, v6
	s_wait_alu 0xfffe
	v_add_co_u32 v6, vcc_lo, v0, s0
	s_delay_alu instid0(VALU_DEP_1) | instskip(SKIP_1) | instid1(VALU_DEP_3)
	v_add_co_ci_u32_e64 v7, null, s1, v1, vcc_lo
	v_lshlrev_b64_e32 v[0:1], 2, v[11:12]
	v_add_co_u32 v19, vcc_lo, v6, v13
	s_lshl_b64 s[0:1], s[8:9], 2
	s_wait_alu 0xfffd
	v_add_co_ci_u32_e64 v20, null, 0, v7, vcc_lo
	s_wait_alu 0xfffe
	v_add_co_u32 v0, vcc_lo, v0, s0
	v_cmp_gt_i64_e64 s0, s[28:29], 0
	v_dual_mov_b32 v5, v8 :: v_dual_lshlrev_b32 v6, 2, v21
	s_wait_alu 0xfffd
	v_add_co_ci_u32_e64 v1, null, s1, v1, vcc_lo
	v_lshlrev_b64_e32 v[2:3], 2, v[2:3]
	s_wait_alu 0xf1ff
	v_cndmask_b32_e64 v7, 0, 1, s0
	v_add_co_u32 v21, vcc_lo, v0, v6
	s_wait_alu 0xfffd
	v_add_co_ci_u32_e64 v22, null, 0, v1, vcc_lo
	v_lshlrev_b64_e32 v[0:1], 2, v[4:5]
	v_lshlrev_b64_e32 v[4:5], 2, v[9:10]
	v_cmp_ne_u32_e64 s0, 1, v7
	s_lshl_b64 s[6:7], s[22:23], 2
	s_lshl_b64 s[8:9], s[20:21], 2
	;; [unrolled: 1-line block ×4, first 2 shown]
	s_branch .LBB177_3
.LBB177_2:                              ;   in Loop: Header=BB177_3 Depth=1
	s_add_co_i32 s2, s2, 0x10000
	s_wait_alu 0xfffe
	s_cmp_lt_i32 s2, s31
	s_cbranch_scc0 .LBB177_10
.LBB177_3:                              ; =>This Loop Header: Depth=1
                                        ;     Child Loop BB177_5 Depth 2
	s_lshl_b64 s[20:21], s[2:3], 3
	v_dual_mov_b32 v38, 0 :: v_dual_mov_b32 v37, 0
	s_wait_alu 0xfffe
	s_add_nc_u64 s[22:23], s[12:13], s[20:21]
	s_add_nc_u64 s[26:27], s[18:19], s[20:21]
	s_clause 0x1
	global_load_b64 v[6:7], v14, s[22:23]
	global_load_b64 v[8:9], v14, s[26:27]
	v_dual_mov_b32 v36, 0 :: v_dual_mov_b32 v35, 0
	v_dual_mov_b32 v34, 0 :: v_dual_mov_b32 v33, 0
	;; [unrolled: 1-line block ×7, first 2 shown]
	s_and_b32 vcc_lo, exec_lo, s0
	s_wait_alu 0xfffe
	s_cbranch_vccnz .LBB177_6
; %bb.4:                                ;   in Loop: Header=BB177_3 Depth=1
	s_add_nc_u64 s[22:23], s[10:11], s[20:21]
	s_add_nc_u64 s[20:21], s[4:5], s[20:21]
	s_clause 0x1
	global_load_b64 v[10:11], v14, s[22:23]
	global_load_b64 v[12:13], v14, s[20:21]
	v_dual_mov_b32 v23, 0 :: v_dual_mov_b32 v24, 0
	v_dual_mov_b32 v25, 0 :: v_dual_mov_b32 v26, 0
	;; [unrolled: 1-line block ×8, first 2 shown]
	s_mov_b64 s[20:21], 0
	s_wait_loadcnt 0x1
	v_add_co_u32 v10, vcc_lo, v10, v19
	s_wait_alu 0xfffd
	v_add_co_ci_u32_e64 v11, null, v11, v20, vcc_lo
	s_wait_loadcnt 0x0
	v_add_co_u32 v12, vcc_lo, v12, v21
	s_wait_alu 0xfffd
	v_add_co_ci_u32_e64 v13, null, v13, v22, vcc_lo
.LBB177_5:                              ;   Parent Loop BB177_3 Depth=1
                                        ; =>  This Inner Loop Header: Depth=2
	flat_load_b32 v39, v[12:13]
	s_wait_alu 0xfffe
	s_add_nc_u64 s[20:21], s[20:21], 4
	v_add_co_u32 v12, vcc_lo, v12, 16
	s_wait_alu 0xfffe
	v_cmp_lt_i64_e64 s1, s[20:21], s[28:29]
	s_wait_alu 0xfffd
	v_add_co_ci_u32_e64 v13, null, 0, v13, vcc_lo
	s_and_b32 vcc_lo, exec_lo, s1
	s_wait_loadcnt_dscnt 0x0
	ds_store_b32 v15, v39
	flat_load_b32 v39, v[10:11]
	v_add_co_u32 v10, s1, v10, 16
	s_wait_alu 0xf1ff
	v_add_co_ci_u32_e64 v11, null, 0, v11, s1
	s_wait_loadcnt_dscnt 0x0
	ds_store_b32 v16, v39
	s_wait_dscnt 0x0
	s_barrier_signal -1
	s_barrier_wait -1
	global_inv scope:SCOPE_SE
	ds_load_b128 v[39:42], v18
	ds_load_2addr_b32 v[55:56], v17 offset1:16
	ds_load_2addr_b32 v[57:58], v17 offset0:32 offset1:48
	ds_load_b128 v[43:46], v18 offset:256
	ds_load_b128 v[47:50], v18 offset:512
	;; [unrolled: 1-line block ×3, first 2 shown]
	ds_load_2addr_b32 v[59:60], v17 offset0:64 offset1:80
	ds_load_2addr_b32 v[61:62], v17 offset0:96 offset1:112
	;; [unrolled: 1-line block ×6, first 2 shown]
	s_wait_loadcnt_dscnt 0x0
	s_barrier_signal -1
	s_barrier_wait -1
	global_inv scope:SCOPE_SE
	v_fmac_f32_e32 v37, v56, v39
	v_fmac_f32_e32 v38, v55, v39
	v_fmac_f32_e32 v35, v58, v39
	v_fmac_f32_e32 v36, v57, v39
	v_fmac_f32_e32 v33, v56, v43
	v_fmac_f32_e32 v34, v55, v43
	v_fmac_f32_e32 v31, v58, v43
	v_fmac_f32_e32 v32, v57, v43
	v_fmac_f32_e32 v29, v56, v47
	v_fmac_f32_e32 v30, v55, v47
	v_fmac_f32_e32 v27, v58, v47
	v_fmac_f32_e32 v28, v57, v47
	v_fmac_f32_e32 v25, v56, v51
	v_fmac_f32_e32 v26, v55, v51
	v_fmac_f32_e32 v23, v58, v51
	v_dual_fmac_f32 v24, v57, v51 :: v_dual_fmac_f32 v37, v60, v40
	v_fmac_f32_e32 v38, v59, v40
	v_fmac_f32_e32 v35, v62, v40
	v_fmac_f32_e32 v36, v61, v40
	v_fmac_f32_e32 v33, v60, v44
	v_fmac_f32_e32 v34, v59, v44
	v_fmac_f32_e32 v31, v62, v44
	v_fmac_f32_e32 v32, v61, v44
	v_fmac_f32_e32 v29, v60, v48
	v_fmac_f32_e32 v30, v59, v48
	v_fmac_f32_e32 v27, v62, v48
	v_fmac_f32_e32 v28, v61, v48
	v_fmac_f32_e32 v25, v60, v52
	v_fmac_f32_e32 v26, v59, v52
	v_fmac_f32_e32 v23, v62, v52
	v_dual_fmac_f32 v24, v61, v52 :: v_dual_fmac_f32 v37, v64, v41
	v_fmac_f32_e32 v38, v63, v41
	v_fmac_f32_e32 v35, v66, v41
	v_fmac_f32_e32 v36, v65, v41
	v_fmac_f32_e32 v33, v64, v45
	v_fmac_f32_e32 v34, v63, v45
	v_fmac_f32_e32 v31, v66, v45
	v_fmac_f32_e32 v32, v65, v45
	v_fmac_f32_e32 v29, v64, v49
	v_fmac_f32_e32 v30, v63, v49
	v_fmac_f32_e32 v27, v66, v49
	v_fmac_f32_e32 v28, v65, v49
	v_fmac_f32_e32 v25, v64, v53
	v_fmac_f32_e32 v26, v63, v53
	v_fmac_f32_e32 v23, v66, v53
	;; [unrolled: 15-line block ×3, first 2 shown]
	v_fmac_f32_e32 v24, v69, v54
	s_wait_alu 0xfffe
	s_cbranch_vccnz .LBB177_5
.LBB177_6:                              ;   in Loop: Header=BB177_3 Depth=1
	s_wait_loadcnt 0x0
	v_add_co_u32 v8, vcc_lo, v8, s6
	s_wait_alu 0xfffd
	v_add_co_ci_u32_e64 v9, null, s7, v9, vcc_lo
	s_and_not1_b32 vcc_lo, exec_lo, s24
	s_wait_alu 0xfffe
	s_cbranch_vccnz .LBB177_8
; %bb.7:                                ;   in Loop: Header=BB177_3 Depth=1
	v_add_co_u32 v12, vcc_lo, v8, v2
	s_wait_alu 0xfffd
	v_add_co_ci_u32_e64 v13, null, v9, v3, vcc_lo
	v_dual_mul_f32 v39, s30, v38 :: v_dual_mul_f32 v40, s30, v37
	s_delay_alu instid0(VALU_DEP_3) | instskip(SKIP_1) | instid1(VALU_DEP_3)
	v_add_co_u32 v10, vcc_lo, v12, v4
	s_wait_alu 0xfffd
	v_add_co_ci_u32_e64 v11, null, v13, v5, vcc_lo
	v_add_co_u32 v12, vcc_lo, v12, s8
	v_dual_mul_f32 v41, s30, v36 :: v_dual_mul_f32 v42, s30, v35
	s_wait_alu 0xfffd
	v_add_co_ci_u32_e64 v13, null, s9, v13, vcc_lo
	s_clause 0x3
	flat_store_b32 v[10:11], v39
	flat_store_b32 v[10:11], v40 offset:64
	flat_store_b32 v[10:11], v41 offset:128
	;; [unrolled: 1-line block ×3, first 2 shown]
	v_add_co_u32 v10, vcc_lo, v12, v4
	s_wait_alu 0xfffd
	v_add_co_ci_u32_e64 v11, null, v13, v5, vcc_lo
	v_add_co_u32 v43, vcc_lo, v12, s8
	s_wait_alu 0xfffd
	v_add_co_ci_u32_e64 v44, null, s9, v13, vcc_lo
	v_dual_mul_f32 v39, s30, v34 :: v_dual_mul_f32 v40, s30, v33
	v_dual_mul_f32 v41, s30, v32 :: v_dual_mul_f32 v42, s30, v31
	v_add_co_u32 v12, vcc_lo, v43, v4
	v_dual_mul_f32 v45, s30, v30 :: v_dual_mul_f32 v46, s30, v29
	s_wait_alu 0xfffd
	v_add_co_ci_u32_e64 v13, null, v44, v5, vcc_lo
	v_dual_mul_f32 v47, s30, v28 :: v_dual_mul_f32 v48, s30, v27
	s_clause 0x7
	flat_store_b32 v[10:11], v39
	flat_store_b32 v[10:11], v40 offset:64
	flat_store_b32 v[10:11], v41 offset:128
	;; [unrolled: 1-line block ×3, first 2 shown]
	flat_store_b32 v[12:13], v45
	flat_store_b32 v[12:13], v46 offset:64
	flat_store_b32 v[12:13], v47 offset:128
	;; [unrolled: 1-line block ×3, first 2 shown]
	v_add_co_u32 v10, vcc_lo, v43, s8
	s_wait_alu 0xfffd
	v_add_co_ci_u32_e64 v11, null, s9, v44, vcc_lo
	v_dual_mul_f32 v12, s30, v26 :: v_dual_mul_f32 v13, s30, v25
	s_delay_alu instid0(VALU_DEP_3) | instskip(SKIP_1) | instid1(VALU_DEP_3)
	v_add_co_u32 v10, vcc_lo, v10, v4
	s_wait_alu 0xfffd
	v_add_co_ci_u32_e64 v11, null, v11, v5, vcc_lo
	v_dual_mul_f32 v39, s30, v24 :: v_dual_mul_f32 v40, s30, v23
	s_clause 0x3
	flat_store_b32 v[10:11], v12
	flat_store_b32 v[10:11], v13 offset:64
	flat_store_b32 v[10:11], v39 offset:128
	;; [unrolled: 1-line block ×3, first 2 shown]
	s_cbranch_execnz .LBB177_2
	s_branch .LBB177_9
.LBB177_8:                              ;   in Loop: Header=BB177_3 Depth=1
.LBB177_9:                              ;   in Loop: Header=BB177_3 Depth=1
	v_add_co_u32 v6, vcc_lo, v6, s14
	s_wait_alu 0xfffd
	v_add_co_ci_u32_e64 v7, null, s15, v7, vcc_lo
	s_delay_alu instid0(VALU_DEP_2) | instskip(SKIP_1) | instid1(VALU_DEP_2)
	v_add_co_u32 v10, vcc_lo, v6, v0
	s_wait_alu 0xfffd
	v_add_co_ci_u32_e64 v11, null, v7, v1, vcc_lo
	s_delay_alu instid0(VALU_DEP_2) | instskip(SKIP_1) | instid1(VALU_DEP_2)
	v_add_co_u32 v6, vcc_lo, v10, v4
	s_wait_alu 0xfffd
	v_add_co_ci_u32_e64 v7, null, v11, v5, vcc_lo
	v_add_co_u32 v13, vcc_lo, v8, v2
	s_wait_alu 0xfffd
	v_add_co_ci_u32_e64 v39, null, v9, v3, vcc_lo
	flat_load_b32 v12, v[6:7]
	v_add_co_u32 v8, vcc_lo, v13, v4
	s_wait_alu 0xfffd
	v_add_co_ci_u32_e64 v9, null, v39, v5, vcc_lo
	v_add_co_u32 v10, vcc_lo, v10, s16
	s_wait_alu 0xfffd
	v_add_co_ci_u32_e64 v11, null, s17, v11, vcc_lo
	s_wait_loadcnt_dscnt 0x0
	v_mul_f32_e32 v12, s33, v12
	s_delay_alu instid0(VALU_DEP_1) | instskip(SKIP_4) | instid1(VALU_DEP_1)
	v_fmac_f32_e32 v12, s30, v38
	flat_store_b32 v[8:9], v12
	flat_load_b32 v12, v[6:7] offset:64
	s_wait_loadcnt_dscnt 0x0
	v_mul_f32_e32 v12, s33, v12
	v_fmac_f32_e32 v12, s30, v37
	flat_store_b32 v[8:9], v12 offset:64
	flat_load_b32 v12, v[6:7] offset:128
	s_wait_loadcnt_dscnt 0x0
	v_mul_f32_e32 v12, s33, v12
	s_delay_alu instid0(VALU_DEP_1)
	v_fmac_f32_e32 v12, s30, v36
	flat_store_b32 v[8:9], v12 offset:128
	flat_load_b32 v6, v[6:7] offset:192
	s_wait_loadcnt_dscnt 0x0
	v_mul_f32_e32 v12, s33, v6
	v_add_co_u32 v6, vcc_lo, v10, v4
	s_wait_alu 0xfffd
	v_add_co_ci_u32_e64 v7, null, v11, v5, vcc_lo
	s_delay_alu instid0(VALU_DEP_3)
	v_fmac_f32_e32 v12, s30, v35
	flat_store_b32 v[8:9], v12 offset:192
	flat_load_b32 v8, v[6:7]
	v_add_co_u32 v12, vcc_lo, v13, s8
	s_wait_alu 0xfffd
	v_add_co_ci_u32_e64 v13, null, s9, v39, vcc_lo
	s_wait_loadcnt_dscnt 0x0
	v_mul_f32_e32 v35, s33, v8
	v_add_co_u32 v8, vcc_lo, v12, v4
	s_wait_alu 0xfffd
	v_add_co_ci_u32_e64 v9, null, v13, v5, vcc_lo
	s_delay_alu instid0(VALU_DEP_3)
	v_fmac_f32_e32 v35, s30, v34
	v_add_co_u32 v10, vcc_lo, v10, s16
	s_wait_alu 0xfffd
	v_add_co_ci_u32_e64 v11, null, s17, v11, vcc_lo
	flat_store_b32 v[8:9], v35
	flat_load_b32 v34, v[6:7] offset:64
	s_wait_loadcnt_dscnt 0x0
	v_mul_f32_e32 v34, s33, v34
	s_delay_alu instid0(VALU_DEP_1) | instskip(SKIP_4) | instid1(VALU_DEP_1)
	v_fmac_f32_e32 v34, s30, v33
	flat_store_b32 v[8:9], v34 offset:64
	flat_load_b32 v33, v[6:7] offset:128
	s_wait_loadcnt_dscnt 0x0
	v_mul_f32_e32 v33, s33, v33
	v_fmac_f32_e32 v33, s30, v32
	flat_store_b32 v[8:9], v33 offset:128
	flat_load_b32 v6, v[6:7] offset:192
	s_wait_loadcnt_dscnt 0x0
	v_mul_f32_e32 v32, s33, v6
	v_add_co_u32 v6, vcc_lo, v10, v4
	s_wait_alu 0xfffd
	v_add_co_ci_u32_e64 v7, null, v11, v5, vcc_lo
	s_delay_alu instid0(VALU_DEP_3)
	v_fmac_f32_e32 v32, s30, v31
	v_add_co_u32 v12, vcc_lo, v12, s8
	s_wait_alu 0xfffd
	v_add_co_ci_u32_e64 v13, null, s9, v13, vcc_lo
	flat_store_b32 v[8:9], v32 offset:192
	flat_load_b32 v8, v[6:7]
	s_wait_loadcnt_dscnt 0x0
	v_mul_f32_e32 v31, s33, v8
	v_add_co_u32 v8, vcc_lo, v12, v4
	s_wait_alu 0xfffd
	v_add_co_ci_u32_e64 v9, null, v13, v5, vcc_lo
	s_delay_alu instid0(VALU_DEP_3) | instskip(SKIP_4) | instid1(VALU_DEP_1)
	v_fmac_f32_e32 v31, s30, v30
	flat_store_b32 v[8:9], v31
	flat_load_b32 v30, v[6:7] offset:64
	s_wait_loadcnt_dscnt 0x0
	v_mul_f32_e32 v30, s33, v30
	v_fmac_f32_e32 v30, s30, v29
	flat_store_b32 v[8:9], v30 offset:64
	flat_load_b32 v29, v[6:7] offset:128
	s_wait_loadcnt_dscnt 0x0
	v_mul_f32_e32 v29, s33, v29
	s_delay_alu instid0(VALU_DEP_1)
	v_fmac_f32_e32 v29, s30, v28
	flat_store_b32 v[8:9], v29 offset:128
	flat_load_b32 v6, v[6:7] offset:192
	s_wait_loadcnt_dscnt 0x0
	v_mul_f32_e32 v28, s33, v6
	v_add_co_u32 v6, vcc_lo, v10, s16
	s_wait_alu 0xfffd
	v_add_co_ci_u32_e64 v7, null, s17, v11, vcc_lo
	s_delay_alu instid0(VALU_DEP_3) | instskip(NEXT) | instid1(VALU_DEP_3)
	v_fmac_f32_e32 v28, s30, v27
	v_add_co_u32 v6, vcc_lo, v6, v4
	s_wait_alu 0xfffd
	s_delay_alu instid0(VALU_DEP_3)
	v_add_co_ci_u32_e64 v7, null, v7, v5, vcc_lo
	flat_store_b32 v[8:9], v28 offset:192
	flat_load_b32 v8, v[6:7]
	s_wait_loadcnt_dscnt 0x0
	v_mul_f32_e32 v10, s33, v8
	v_add_co_u32 v8, vcc_lo, v12, s8
	s_wait_alu 0xfffd
	v_add_co_ci_u32_e64 v9, null, s9, v13, vcc_lo
	s_delay_alu instid0(VALU_DEP_3) | instskip(NEXT) | instid1(VALU_DEP_3)
	v_fmac_f32_e32 v10, s30, v26
	v_add_co_u32 v8, vcc_lo, v8, v4
	s_wait_alu 0xfffd
	s_delay_alu instid0(VALU_DEP_3) | instskip(SKIP_4) | instid1(VALU_DEP_1)
	v_add_co_ci_u32_e64 v9, null, v9, v5, vcc_lo
	flat_store_b32 v[8:9], v10
	flat_load_b32 v10, v[6:7] offset:64
	s_wait_loadcnt_dscnt 0x0
	v_mul_f32_e32 v10, s33, v10
	v_fmac_f32_e32 v10, s30, v25
	flat_store_b32 v[8:9], v10 offset:64
	flat_load_b32 v10, v[6:7] offset:128
	s_wait_loadcnt_dscnt 0x0
	v_mul_f32_e32 v10, s33, v10
	s_delay_alu instid0(VALU_DEP_1) | instskip(SKIP_4) | instid1(VALU_DEP_1)
	v_fmac_f32_e32 v10, s30, v24
	flat_store_b32 v[8:9], v10 offset:128
	flat_load_b32 v6, v[6:7] offset:192
	s_wait_loadcnt_dscnt 0x0
	v_mul_f32_e32 v6, s33, v6
	v_fmac_f32_e32 v6, s30, v23
	flat_store_b32 v[8:9], v6 offset:192
	s_branch .LBB177_2
.LBB177_10:
	s_endpgm
	.section	.rodata,"a",@progbits
	.p2align	6, 0x0
	.amdhsa_kernel _ZN12_GLOBAL__N_127rocblas_gemm_batched_kernelIfLi16ELi16ELi64ELi64ELi4ELi64ELi4ELi4ELi64ELc84ELc78EKPKfS3_KPfEEvlllT_PT11_llS8_llS6_PT12_llPT13_lli
		.amdhsa_group_segment_fixed_size 2048
		.amdhsa_private_segment_fixed_size 0
		.amdhsa_kernarg_size 140
		.amdhsa_user_sgpr_count 2
		.amdhsa_user_sgpr_dispatch_ptr 0
		.amdhsa_user_sgpr_queue_ptr 0
		.amdhsa_user_sgpr_kernarg_segment_ptr 1
		.amdhsa_user_sgpr_dispatch_id 0
		.amdhsa_user_sgpr_private_segment_size 0
		.amdhsa_wavefront_size32 1
		.amdhsa_uses_dynamic_stack 0
		.amdhsa_enable_private_segment 0
		.amdhsa_system_sgpr_workgroup_id_x 1
		.amdhsa_system_sgpr_workgroup_id_y 1
		.amdhsa_system_sgpr_workgroup_id_z 1
		.amdhsa_system_sgpr_workgroup_info 0
		.amdhsa_system_vgpr_workitem_id 1
		.amdhsa_next_free_vgpr 71
		.amdhsa_next_free_sgpr 36
		.amdhsa_reserve_vcc 1
		.amdhsa_float_round_mode_32 0
		.amdhsa_float_round_mode_16_64 0
		.amdhsa_float_denorm_mode_32 3
		.amdhsa_float_denorm_mode_16_64 3
		.amdhsa_fp16_overflow 0
		.amdhsa_workgroup_processor_mode 1
		.amdhsa_memory_ordered 1
		.amdhsa_forward_progress 1
		.amdhsa_inst_pref_size 22
		.amdhsa_round_robin_scheduling 0
		.amdhsa_exception_fp_ieee_invalid_op 0
		.amdhsa_exception_fp_denorm_src 0
		.amdhsa_exception_fp_ieee_div_zero 0
		.amdhsa_exception_fp_ieee_overflow 0
		.amdhsa_exception_fp_ieee_underflow 0
		.amdhsa_exception_fp_ieee_inexact 0
		.amdhsa_exception_int_div_zero 0
	.end_amdhsa_kernel
	.section	.text._ZN12_GLOBAL__N_127rocblas_gemm_batched_kernelIfLi16ELi16ELi64ELi64ELi4ELi64ELi4ELi4ELi64ELc84ELc78EKPKfS3_KPfEEvlllT_PT11_llS8_llS6_PT12_llPT13_lli,"axG",@progbits,_ZN12_GLOBAL__N_127rocblas_gemm_batched_kernelIfLi16ELi16ELi64ELi64ELi4ELi64ELi4ELi4ELi64ELc84ELc78EKPKfS3_KPfEEvlllT_PT11_llS8_llS6_PT12_llPT13_lli,comdat
.Lfunc_end177:
	.size	_ZN12_GLOBAL__N_127rocblas_gemm_batched_kernelIfLi16ELi16ELi64ELi64ELi4ELi64ELi4ELi4ELi64ELc84ELc78EKPKfS3_KPfEEvlllT_PT11_llS8_llS6_PT12_llPT13_lli, .Lfunc_end177-_ZN12_GLOBAL__N_127rocblas_gemm_batched_kernelIfLi16ELi16ELi64ELi64ELi4ELi64ELi4ELi4ELi64ELc84ELc78EKPKfS3_KPfEEvlllT_PT11_llS8_llS6_PT12_llPT13_lli
                                        ; -- End function
	.set _ZN12_GLOBAL__N_127rocblas_gemm_batched_kernelIfLi16ELi16ELi64ELi64ELi4ELi64ELi4ELi4ELi64ELc84ELc78EKPKfS3_KPfEEvlllT_PT11_llS8_llS6_PT12_llPT13_lli.num_vgpr, 71
	.set _ZN12_GLOBAL__N_127rocblas_gemm_batched_kernelIfLi16ELi16ELi64ELi64ELi4ELi64ELi4ELi4ELi64ELc84ELc78EKPKfS3_KPfEEvlllT_PT11_llS8_llS6_PT12_llPT13_lli.num_agpr, 0
	.set _ZN12_GLOBAL__N_127rocblas_gemm_batched_kernelIfLi16ELi16ELi64ELi64ELi4ELi64ELi4ELi4ELi64ELc84ELc78EKPKfS3_KPfEEvlllT_PT11_llS8_llS6_PT12_llPT13_lli.numbered_sgpr, 36
	.set _ZN12_GLOBAL__N_127rocblas_gemm_batched_kernelIfLi16ELi16ELi64ELi64ELi4ELi64ELi4ELi4ELi64ELc84ELc78EKPKfS3_KPfEEvlllT_PT11_llS8_llS6_PT12_llPT13_lli.num_named_barrier, 0
	.set _ZN12_GLOBAL__N_127rocblas_gemm_batched_kernelIfLi16ELi16ELi64ELi64ELi4ELi64ELi4ELi4ELi64ELc84ELc78EKPKfS3_KPfEEvlllT_PT11_llS8_llS6_PT12_llPT13_lli.private_seg_size, 0
	.set _ZN12_GLOBAL__N_127rocblas_gemm_batched_kernelIfLi16ELi16ELi64ELi64ELi4ELi64ELi4ELi4ELi64ELc84ELc78EKPKfS3_KPfEEvlllT_PT11_llS8_llS6_PT12_llPT13_lli.uses_vcc, 1
	.set _ZN12_GLOBAL__N_127rocblas_gemm_batched_kernelIfLi16ELi16ELi64ELi64ELi4ELi64ELi4ELi4ELi64ELc84ELc78EKPKfS3_KPfEEvlllT_PT11_llS8_llS6_PT12_llPT13_lli.uses_flat_scratch, 1
	.set _ZN12_GLOBAL__N_127rocblas_gemm_batched_kernelIfLi16ELi16ELi64ELi64ELi4ELi64ELi4ELi4ELi64ELc84ELc78EKPKfS3_KPfEEvlllT_PT11_llS8_llS6_PT12_llPT13_lli.has_dyn_sized_stack, 0
	.set _ZN12_GLOBAL__N_127rocblas_gemm_batched_kernelIfLi16ELi16ELi64ELi64ELi4ELi64ELi4ELi4ELi64ELc84ELc78EKPKfS3_KPfEEvlllT_PT11_llS8_llS6_PT12_llPT13_lli.has_recursion, 0
	.set _ZN12_GLOBAL__N_127rocblas_gemm_batched_kernelIfLi16ELi16ELi64ELi64ELi4ELi64ELi4ELi4ELi64ELc84ELc78EKPKfS3_KPfEEvlllT_PT11_llS8_llS6_PT12_llPT13_lli.has_indirect_call, 0
	.section	.AMDGPU.csdata,"",@progbits
; Kernel info:
; codeLenInByte = 2792
; TotalNumSgprs: 38
; NumVgprs: 71
; ScratchSize: 0
; MemoryBound: 0
; FloatMode: 240
; IeeeMode: 1
; LDSByteSize: 2048 bytes/workgroup (compile time only)
; SGPRBlocks: 0
; VGPRBlocks: 8
; NumSGPRsForWavesPerEU: 38
; NumVGPRsForWavesPerEU: 71
; Occupancy: 16
; WaveLimiterHint : 1
; COMPUTE_PGM_RSRC2:SCRATCH_EN: 0
; COMPUTE_PGM_RSRC2:USER_SGPR: 2
; COMPUTE_PGM_RSRC2:TRAP_HANDLER: 0
; COMPUTE_PGM_RSRC2:TGID_X_EN: 1
; COMPUTE_PGM_RSRC2:TGID_Y_EN: 1
; COMPUTE_PGM_RSRC2:TGID_Z_EN: 1
; COMPUTE_PGM_RSRC2:TIDIG_COMP_CNT: 1
	.section	.text._ZN12_GLOBAL__N_127rocblas_gemm_batched_kernelIfLi16ELi16ELi64ELi64ELi4ELi64ELi4ELi4ELi64ELc78ELc84EKPKfS3_KPfEEvlllT_PT11_llS8_llS6_PT12_llPT13_lli,"axG",@progbits,_ZN12_GLOBAL__N_127rocblas_gemm_batched_kernelIfLi16ELi16ELi64ELi64ELi4ELi64ELi4ELi4ELi64ELc78ELc84EKPKfS3_KPfEEvlllT_PT11_llS8_llS6_PT12_llPT13_lli,comdat
	.globl	_ZN12_GLOBAL__N_127rocblas_gemm_batched_kernelIfLi16ELi16ELi64ELi64ELi4ELi64ELi4ELi4ELi64ELc78ELc84EKPKfS3_KPfEEvlllT_PT11_llS8_llS6_PT12_llPT13_lli ; -- Begin function _ZN12_GLOBAL__N_127rocblas_gemm_batched_kernelIfLi16ELi16ELi64ELi64ELi4ELi64ELi4ELi4ELi64ELc78ELc84EKPKfS3_KPfEEvlllT_PT11_llS8_llS6_PT12_llPT13_lli
	.p2align	8
	.type	_ZN12_GLOBAL__N_127rocblas_gemm_batched_kernelIfLi16ELi16ELi64ELi64ELi4ELi64ELi4ELi4ELi64ELc78ELc84EKPKfS3_KPfEEvlllT_PT11_llS8_llS6_PT12_llPT13_lli,@function
_ZN12_GLOBAL__N_127rocblas_gemm_batched_kernelIfLi16ELi16ELi64ELi64ELi4ELi64ELi4ELi4ELi64ELc78ELc84EKPKfS3_KPfEEvlllT_PT11_llS8_llS6_PT12_llPT13_lli: ; @_ZN12_GLOBAL__N_127rocblas_gemm_batched_kernelIfLi16ELi16ELi64ELi64ELi4ELi64ELi4ELi4ELi64ELc78ELc84EKPKfS3_KPfEEvlllT_PT11_llS8_llS6_PT12_llPT13_lli
; %bb.0:
	s_load_b32 s31, s[0:1], 0x88
	s_lshr_b32 s2, ttmp7, 16
	s_wait_kmcnt 0x0
	s_cmp_ge_i32 s2, s31
	s_cbranch_scc1 .LBB178_10
; %bb.1:
	v_bfe_u32 v1, v0, 10, 10
	s_load_b128 s[20:23], s[0:1], 0x78
	v_and_b32_e32 v10, 0x3ff, v0
	s_clause 0x4
	s_load_b96 s[28:30], s[0:1], 0x10
	s_load_b256 s[4:11], s[0:1], 0x20
	s_load_b128 s[24:27], s[0:1], 0x40
	s_load_b32 s33, s[0:1], 0x50
	s_load_b256 s[12:19], s[0:1], 0x58
	v_lshlrev_b32_e32 v2, 4, v1
	s_lshl_b32 s0, ttmp7, 6
	v_and_b32_e32 v14, 3, v0
	s_and_b32 s38, s0, 0x3fffc0
	s_mov_b32 s34, ttmp9
	v_dual_mov_b32 v1, 0 :: v_dual_add_nc_u32 v22, s38, v1
	v_add_nc_u32_e32 v3, v2, v10
	v_lshlrev_b32_e32 v4, 2, v14
	v_add_nc_u32_e32 v19, 0x400, v2
	s_ashr_i32 s35, ttmp9, 31
	v_lshlrev_b32_e32 v18, 2, v10
	v_lshrrev_b32_e32 v0, 2, v3
	s_lshl_b64 s[0:1], s[34:35], 6
	s_mov_b32 s3, 0
	v_add_co_u32 v10, s35, s0, v10
	s_delay_alu instid0(VALU_DEP_2) | instskip(SKIP_3) | instid1(VALU_DEP_3)
	v_lshl_or_b32 v6, v0, 4, v4
	s_wait_kmcnt 0x0
	v_mad_co_u64_u32 v[4:5], null, v22, s20, 0
	v_mad_co_u64_u32 v[8:9], null, v22, s14, 0
	v_add_nc_u32_e32 v17, 0x400, v6
	s_cmp_eq_f32 s33, 0
	v_add_co_ci_u32_e64 v11, null, s1, 0, s35
	s_delay_alu instid0(VALU_DEP_4)
	v_mov_b32_e32 v2, v5
	v_and_b32_e32 v20, 63, v3
	v_lshrrev_b32_e32 v21, 6, v3
	s_cselect_b32 s34, -1, 0
	s_lshl_b64 s[36:37], s[20:21], 4
	s_lshl_b64 s[16:17], s[16:17], 2
	v_lshlrev_b32_e32 v3, 2, v20
	v_mad_co_u64_u32 v[12:13], null, s6, v21, s[0:1]
	s_lshl_b64 s[0:1], s[26:27], 2
	v_lshl_or_b32 v16, v21, 8, v3
	v_mad_co_u64_u32 v[2:3], null, v22, s21, v[2:3]
	s_lshl_b64 s[20:21], s[14:15], 4
	s_wait_alu 0xfffe
	s_lshl_b64 s[20:21], s[20:21], 2
	v_mov_b32_e32 v5, v2
	v_mad_co_u64_u32 v[6:7], null, s24, v14, v[0:1]
	v_mov_b32_e32 v2, v9
	s_delay_alu instid0(VALU_DEP_3) | instskip(NEXT) | instid1(VALU_DEP_2)
	v_lshlrev_b64_e32 v[4:5], 2, v[4:5]
	v_mad_co_u64_u32 v[2:3], null, v22, s15, v[2:3]
	s_delay_alu instid0(VALU_DEP_4) | instskip(SKIP_4) | instid1(VALU_DEP_2)
	v_mov_b32_e32 v0, v7
	v_add_co_u32 v6, vcc_lo, v6, s38
	s_lshl_b64 s[14:15], s[24:25], 4
	v_mad_co_u64_u32 v[14:15], null, s25, v14, v[0:1]
	v_dual_mov_b32 v0, v13 :: v_dual_mov_b32 v9, v2
	v_add_co_ci_u32_e64 v7, null, 0, v14, vcc_lo
	s_delay_alu instid0(VALU_DEP_2)
	v_mad_co_u64_u32 v[13:14], null, s7, v21, v[0:1]
	s_lshl_b64 s[6:7], s[6:7], 4
	v_lshlrev_b64_e32 v[2:3], 2, v[6:7]
	v_add_co_u32 v6, vcc_lo, v12, v20
	s_wait_alu 0xfffd
	v_add_co_ci_u32_e64 v7, null, 0, v13, vcc_lo
	s_delay_alu instid0(VALU_DEP_3)
	v_add_co_u32 v0, vcc_lo, s0, v2
	s_wait_alu 0xfffd
	v_add_co_ci_u32_e64 v20, null, s1, v3, vcc_lo
	s_lshl_b64 s[0:1], s[8:9], 2
	v_cmp_gt_i64_e64 s8, s[28:29], 0
	v_lshlrev_b64_e32 v[2:3], 2, v[6:7]
	s_delay_alu instid0(VALU_DEP_2) | instskip(SKIP_1) | instid1(VALU_DEP_2)
	v_cndmask_b32_e64 v6, 0, 1, s8
	s_wait_alu 0xfffe
	v_add_co_u32 v21, vcc_lo, s0, v2
	s_wait_alu 0xfffd
	s_delay_alu instid0(VALU_DEP_3)
	v_add_co_ci_u32_e64 v22, null, s1, v3, vcc_lo
	v_cmp_ne_u32_e64 s0, 1, v6
	v_lshlrev_b64_e32 v[2:3], 2, v[8:9]
	v_lshlrev_b64_e32 v[6:7], 2, v[10:11]
	s_lshl_b64 s[8:9], s[22:23], 2
	s_lshl_b64 s[22:23], s[36:37], 2
	s_branch .LBB178_3
.LBB178_2:                              ;   in Loop: Header=BB178_3 Depth=1
	s_add_co_i32 s2, s2, 0x10000
	s_delay_alu instid0(SALU_CYCLE_1)
	s_cmp_lt_i32 s2, s31
	s_cbranch_scc0 .LBB178_10
.LBB178_3:                              ; =>This Loop Header: Depth=1
                                        ;     Child Loop BB178_5 Depth 2
	s_lshl_b64 s[24:25], s[2:3], 3
	v_dual_mov_b32 v38, 0 :: v_dual_mov_b32 v37, 0
	s_wait_alu 0xfffe
	s_add_nc_u64 s[26:27], s[12:13], s[24:25]
	s_add_nc_u64 s[36:37], s[18:19], s[24:25]
	s_clause 0x1
	global_load_b64 v[8:9], v1, s[26:27]
	global_load_b64 v[10:11], v1, s[36:37]
	v_dual_mov_b32 v36, 0 :: v_dual_mov_b32 v35, 0
	v_dual_mov_b32 v34, 0 :: v_dual_mov_b32 v33, 0
	;; [unrolled: 1-line block ×7, first 2 shown]
	s_and_b32 vcc_lo, exec_lo, s0
	s_wait_alu 0xfffe
	s_cbranch_vccnz .LBB178_6
; %bb.4:                                ;   in Loop: Header=BB178_3 Depth=1
	s_add_nc_u64 s[26:27], s[10:11], s[24:25]
	s_add_nc_u64 s[24:25], s[4:5], s[24:25]
	s_clause 0x1
	global_load_b64 v[12:13], v1, s[26:27]
	global_load_b64 v[14:15], v1, s[24:25]
	v_dual_mov_b32 v23, 0 :: v_dual_mov_b32 v24, 0
	v_dual_mov_b32 v25, 0 :: v_dual_mov_b32 v26, 0
	;; [unrolled: 1-line block ×8, first 2 shown]
	s_mov_b64 s[24:25], 0
	s_wait_loadcnt 0x1
	v_add_co_u32 v12, vcc_lo, v12, v0
	s_wait_alu 0xfffd
	v_add_co_ci_u32_e64 v13, null, v13, v20, vcc_lo
	s_wait_loadcnt 0x0
	v_add_co_u32 v14, vcc_lo, v14, v21
	s_wait_alu 0xfffd
	v_add_co_ci_u32_e64 v15, null, v15, v22, vcc_lo
.LBB178_5:                              ;   Parent Loop BB178_3 Depth=1
                                        ; =>  This Inner Loop Header: Depth=2
	flat_load_b32 v39, v[14:15]
	s_wait_alu 0xfffe
	s_add_nc_u64 s[24:25], s[24:25], 4
	v_add_co_u32 v14, vcc_lo, v14, s6
	s_wait_alu 0xfffe
	v_cmp_lt_i64_e64 s1, s[24:25], s[28:29]
	s_wait_alu 0xfffd
	v_add_co_ci_u32_e64 v15, null, s7, v15, vcc_lo
	s_and_b32 vcc_lo, exec_lo, s1
	s_wait_loadcnt_dscnt 0x0
	ds_store_b32 v16, v39
	flat_load_b32 v39, v[12:13]
	v_add_co_u32 v12, s1, v12, s14
	s_wait_alu 0xf1ff
	v_add_co_ci_u32_e64 v13, null, s15, v13, s1
	s_wait_loadcnt_dscnt 0x0
	ds_store_b32 v17, v39
	s_wait_dscnt 0x0
	s_barrier_signal -1
	s_barrier_wait -1
	global_inv scope:SCOPE_SE
	ds_load_b128 v[39:42], v19
	ds_load_2addr_b32 v[55:56], v18 offset1:16
	ds_load_2addr_b32 v[57:58], v18 offset0:32 offset1:48
	ds_load_b128 v[43:46], v19 offset:256
	ds_load_b128 v[47:50], v19 offset:512
	;; [unrolled: 1-line block ×3, first 2 shown]
	ds_load_2addr_b32 v[59:60], v18 offset0:64 offset1:80
	ds_load_2addr_b32 v[61:62], v18 offset0:96 offset1:112
	;; [unrolled: 1-line block ×6, first 2 shown]
	s_wait_loadcnt_dscnt 0x0
	s_barrier_signal -1
	s_barrier_wait -1
	global_inv scope:SCOPE_SE
	v_fmac_f32_e32 v37, v56, v39
	v_fmac_f32_e32 v38, v55, v39
	;; [unrolled: 1-line block ×15, first 2 shown]
	v_dual_fmac_f32 v24, v57, v51 :: v_dual_fmac_f32 v37, v60, v40
	v_fmac_f32_e32 v38, v59, v40
	v_fmac_f32_e32 v35, v62, v40
	v_fmac_f32_e32 v36, v61, v40
	v_fmac_f32_e32 v33, v60, v44
	v_fmac_f32_e32 v34, v59, v44
	v_fmac_f32_e32 v31, v62, v44
	v_fmac_f32_e32 v32, v61, v44
	v_fmac_f32_e32 v29, v60, v48
	v_fmac_f32_e32 v30, v59, v48
	v_fmac_f32_e32 v27, v62, v48
	v_fmac_f32_e32 v28, v61, v48
	v_fmac_f32_e32 v25, v60, v52
	v_fmac_f32_e32 v26, v59, v52
	v_fmac_f32_e32 v23, v62, v52
	v_dual_fmac_f32 v24, v61, v52 :: v_dual_fmac_f32 v37, v64, v41
	v_fmac_f32_e32 v38, v63, v41
	v_fmac_f32_e32 v35, v66, v41
	v_fmac_f32_e32 v36, v65, v41
	v_fmac_f32_e32 v33, v64, v45
	v_fmac_f32_e32 v34, v63, v45
	v_fmac_f32_e32 v31, v66, v45
	v_fmac_f32_e32 v32, v65, v45
	v_fmac_f32_e32 v29, v64, v49
	v_fmac_f32_e32 v30, v63, v49
	v_fmac_f32_e32 v27, v66, v49
	v_fmac_f32_e32 v28, v65, v49
	v_fmac_f32_e32 v25, v64, v53
	v_fmac_f32_e32 v26, v63, v53
	v_fmac_f32_e32 v23, v66, v53
	;; [unrolled: 15-line block ×3, first 2 shown]
	v_fmac_f32_e32 v24, v69, v54
	s_wait_alu 0xfffe
	s_cbranch_vccnz .LBB178_5
.LBB178_6:                              ;   in Loop: Header=BB178_3 Depth=1
	s_wait_loadcnt 0x0
	v_add_co_u32 v10, vcc_lo, v10, s8
	s_wait_alu 0xfffd
	v_add_co_ci_u32_e64 v11, null, s9, v11, vcc_lo
	s_and_not1_b32 vcc_lo, exec_lo, s34
	s_wait_alu 0xfffe
	s_cbranch_vccnz .LBB178_8
; %bb.7:                                ;   in Loop: Header=BB178_3 Depth=1
	v_add_co_u32 v14, vcc_lo, v10, v4
	s_wait_alu 0xfffd
	v_add_co_ci_u32_e64 v15, null, v11, v5, vcc_lo
	v_dual_mul_f32 v39, s30, v38 :: v_dual_mul_f32 v40, s30, v37
	s_delay_alu instid0(VALU_DEP_3) | instskip(SKIP_1) | instid1(VALU_DEP_3)
	v_add_co_u32 v12, vcc_lo, v14, v6
	s_wait_alu 0xfffd
	v_add_co_ci_u32_e64 v13, null, v15, v7, vcc_lo
	v_add_co_u32 v14, vcc_lo, v14, s22
	v_dual_mul_f32 v41, s30, v36 :: v_dual_mul_f32 v42, s30, v35
	s_wait_alu 0xfffd
	v_add_co_ci_u32_e64 v15, null, s23, v15, vcc_lo
	s_clause 0x3
	flat_store_b32 v[12:13], v39
	flat_store_b32 v[12:13], v40 offset:64
	flat_store_b32 v[12:13], v41 offset:128
	;; [unrolled: 1-line block ×3, first 2 shown]
	v_add_co_u32 v12, vcc_lo, v14, v6
	s_wait_alu 0xfffd
	v_add_co_ci_u32_e64 v13, null, v15, v7, vcc_lo
	v_add_co_u32 v43, vcc_lo, v14, s22
	s_wait_alu 0xfffd
	v_add_co_ci_u32_e64 v44, null, s23, v15, vcc_lo
	v_dual_mul_f32 v39, s30, v34 :: v_dual_mul_f32 v40, s30, v33
	v_dual_mul_f32 v41, s30, v32 :: v_dual_mul_f32 v42, s30, v31
	v_add_co_u32 v14, vcc_lo, v43, v6
	v_dual_mul_f32 v45, s30, v30 :: v_dual_mul_f32 v46, s30, v29
	s_wait_alu 0xfffd
	v_add_co_ci_u32_e64 v15, null, v44, v7, vcc_lo
	v_dual_mul_f32 v47, s30, v28 :: v_dual_mul_f32 v48, s30, v27
	s_clause 0x7
	flat_store_b32 v[12:13], v39
	flat_store_b32 v[12:13], v40 offset:64
	flat_store_b32 v[12:13], v41 offset:128
	flat_store_b32 v[12:13], v42 offset:192
	flat_store_b32 v[14:15], v45
	flat_store_b32 v[14:15], v46 offset:64
	flat_store_b32 v[14:15], v47 offset:128
	flat_store_b32 v[14:15], v48 offset:192
	v_add_co_u32 v12, vcc_lo, v43, s22
	s_wait_alu 0xfffd
	v_add_co_ci_u32_e64 v13, null, s23, v44, vcc_lo
	v_dual_mul_f32 v14, s30, v26 :: v_dual_mul_f32 v15, s30, v25
	s_delay_alu instid0(VALU_DEP_3) | instskip(SKIP_1) | instid1(VALU_DEP_3)
	v_add_co_u32 v12, vcc_lo, v12, v6
	s_wait_alu 0xfffd
	v_add_co_ci_u32_e64 v13, null, v13, v7, vcc_lo
	v_dual_mul_f32 v39, s30, v24 :: v_dual_mul_f32 v40, s30, v23
	s_clause 0x3
	flat_store_b32 v[12:13], v14
	flat_store_b32 v[12:13], v15 offset:64
	flat_store_b32 v[12:13], v39 offset:128
	;; [unrolled: 1-line block ×3, first 2 shown]
	s_cbranch_execnz .LBB178_2
	s_branch .LBB178_9
.LBB178_8:                              ;   in Loop: Header=BB178_3 Depth=1
.LBB178_9:                              ;   in Loop: Header=BB178_3 Depth=1
	v_add_co_u32 v8, vcc_lo, v8, s16
	s_wait_alu 0xfffd
	v_add_co_ci_u32_e64 v9, null, s17, v9, vcc_lo
	s_delay_alu instid0(VALU_DEP_2) | instskip(SKIP_1) | instid1(VALU_DEP_2)
	v_add_co_u32 v12, vcc_lo, v8, v2
	s_wait_alu 0xfffd
	v_add_co_ci_u32_e64 v13, null, v9, v3, vcc_lo
	s_delay_alu instid0(VALU_DEP_2) | instskip(SKIP_1) | instid1(VALU_DEP_2)
	v_add_co_u32 v8, vcc_lo, v12, v6
	s_wait_alu 0xfffd
	v_add_co_ci_u32_e64 v9, null, v13, v7, vcc_lo
	v_add_co_u32 v15, vcc_lo, v10, v4
	s_wait_alu 0xfffd
	v_add_co_ci_u32_e64 v39, null, v11, v5, vcc_lo
	flat_load_b32 v14, v[8:9]
	v_add_co_u32 v10, vcc_lo, v15, v6
	s_wait_alu 0xfffd
	v_add_co_ci_u32_e64 v11, null, v39, v7, vcc_lo
	v_add_co_u32 v12, vcc_lo, v12, s20
	s_wait_alu 0xfffd
	v_add_co_ci_u32_e64 v13, null, s21, v13, vcc_lo
	s_wait_loadcnt_dscnt 0x0
	v_mul_f32_e32 v14, s33, v14
	s_delay_alu instid0(VALU_DEP_1) | instskip(SKIP_4) | instid1(VALU_DEP_1)
	v_fmac_f32_e32 v14, s30, v38
	flat_store_b32 v[10:11], v14
	flat_load_b32 v14, v[8:9] offset:64
	s_wait_loadcnt_dscnt 0x0
	v_mul_f32_e32 v14, s33, v14
	v_fmac_f32_e32 v14, s30, v37
	flat_store_b32 v[10:11], v14 offset:64
	flat_load_b32 v14, v[8:9] offset:128
	s_wait_loadcnt_dscnt 0x0
	v_mul_f32_e32 v14, s33, v14
	s_delay_alu instid0(VALU_DEP_1)
	v_fmac_f32_e32 v14, s30, v36
	flat_store_b32 v[10:11], v14 offset:128
	flat_load_b32 v8, v[8:9] offset:192
	s_wait_loadcnt_dscnt 0x0
	v_mul_f32_e32 v14, s33, v8
	v_add_co_u32 v8, vcc_lo, v12, v6
	s_wait_alu 0xfffd
	v_add_co_ci_u32_e64 v9, null, v13, v7, vcc_lo
	s_delay_alu instid0(VALU_DEP_3)
	v_fmac_f32_e32 v14, s30, v35
	flat_store_b32 v[10:11], v14 offset:192
	flat_load_b32 v10, v[8:9]
	v_add_co_u32 v14, vcc_lo, v15, s22
	s_wait_alu 0xfffd
	v_add_co_ci_u32_e64 v15, null, s23, v39, vcc_lo
	s_wait_loadcnt_dscnt 0x0
	v_mul_f32_e32 v35, s33, v10
	v_add_co_u32 v10, vcc_lo, v14, v6
	s_wait_alu 0xfffd
	v_add_co_ci_u32_e64 v11, null, v15, v7, vcc_lo
	s_delay_alu instid0(VALU_DEP_3)
	v_fmac_f32_e32 v35, s30, v34
	v_add_co_u32 v12, vcc_lo, v12, s20
	s_wait_alu 0xfffd
	v_add_co_ci_u32_e64 v13, null, s21, v13, vcc_lo
	flat_store_b32 v[10:11], v35
	flat_load_b32 v34, v[8:9] offset:64
	s_wait_loadcnt_dscnt 0x0
	v_mul_f32_e32 v34, s33, v34
	s_delay_alu instid0(VALU_DEP_1) | instskip(SKIP_4) | instid1(VALU_DEP_1)
	v_fmac_f32_e32 v34, s30, v33
	flat_store_b32 v[10:11], v34 offset:64
	flat_load_b32 v33, v[8:9] offset:128
	s_wait_loadcnt_dscnt 0x0
	v_mul_f32_e32 v33, s33, v33
	v_fmac_f32_e32 v33, s30, v32
	flat_store_b32 v[10:11], v33 offset:128
	flat_load_b32 v8, v[8:9] offset:192
	s_wait_loadcnt_dscnt 0x0
	v_mul_f32_e32 v32, s33, v8
	v_add_co_u32 v8, vcc_lo, v12, v6
	s_wait_alu 0xfffd
	v_add_co_ci_u32_e64 v9, null, v13, v7, vcc_lo
	s_delay_alu instid0(VALU_DEP_3)
	v_fmac_f32_e32 v32, s30, v31
	v_add_co_u32 v14, vcc_lo, v14, s22
	s_wait_alu 0xfffd
	v_add_co_ci_u32_e64 v15, null, s23, v15, vcc_lo
	flat_store_b32 v[10:11], v32 offset:192
	flat_load_b32 v10, v[8:9]
	s_wait_loadcnt_dscnt 0x0
	v_mul_f32_e32 v31, s33, v10
	v_add_co_u32 v10, vcc_lo, v14, v6
	s_wait_alu 0xfffd
	v_add_co_ci_u32_e64 v11, null, v15, v7, vcc_lo
	s_delay_alu instid0(VALU_DEP_3) | instskip(SKIP_4) | instid1(VALU_DEP_1)
	v_fmac_f32_e32 v31, s30, v30
	flat_store_b32 v[10:11], v31
	flat_load_b32 v30, v[8:9] offset:64
	s_wait_loadcnt_dscnt 0x0
	v_mul_f32_e32 v30, s33, v30
	v_fmac_f32_e32 v30, s30, v29
	flat_store_b32 v[10:11], v30 offset:64
	flat_load_b32 v29, v[8:9] offset:128
	s_wait_loadcnt_dscnt 0x0
	v_mul_f32_e32 v29, s33, v29
	s_delay_alu instid0(VALU_DEP_1)
	v_fmac_f32_e32 v29, s30, v28
	flat_store_b32 v[10:11], v29 offset:128
	flat_load_b32 v8, v[8:9] offset:192
	s_wait_loadcnt_dscnt 0x0
	v_mul_f32_e32 v28, s33, v8
	v_add_co_u32 v8, vcc_lo, v12, s20
	s_wait_alu 0xfffd
	v_add_co_ci_u32_e64 v9, null, s21, v13, vcc_lo
	s_delay_alu instid0(VALU_DEP_3) | instskip(NEXT) | instid1(VALU_DEP_3)
	v_fmac_f32_e32 v28, s30, v27
	v_add_co_u32 v8, vcc_lo, v8, v6
	s_wait_alu 0xfffd
	s_delay_alu instid0(VALU_DEP_3)
	v_add_co_ci_u32_e64 v9, null, v9, v7, vcc_lo
	flat_store_b32 v[10:11], v28 offset:192
	flat_load_b32 v10, v[8:9]
	s_wait_loadcnt_dscnt 0x0
	v_mul_f32_e32 v12, s33, v10
	v_add_co_u32 v10, vcc_lo, v14, s22
	s_wait_alu 0xfffd
	v_add_co_ci_u32_e64 v11, null, s23, v15, vcc_lo
	s_delay_alu instid0(VALU_DEP_3) | instskip(NEXT) | instid1(VALU_DEP_3)
	v_fmac_f32_e32 v12, s30, v26
	v_add_co_u32 v10, vcc_lo, v10, v6
	s_wait_alu 0xfffd
	s_delay_alu instid0(VALU_DEP_3) | instskip(SKIP_4) | instid1(VALU_DEP_1)
	v_add_co_ci_u32_e64 v11, null, v11, v7, vcc_lo
	flat_store_b32 v[10:11], v12
	flat_load_b32 v12, v[8:9] offset:64
	s_wait_loadcnt_dscnt 0x0
	v_mul_f32_e32 v12, s33, v12
	v_fmac_f32_e32 v12, s30, v25
	flat_store_b32 v[10:11], v12 offset:64
	flat_load_b32 v12, v[8:9] offset:128
	s_wait_loadcnt_dscnt 0x0
	v_mul_f32_e32 v12, s33, v12
	s_delay_alu instid0(VALU_DEP_1) | instskip(SKIP_4) | instid1(VALU_DEP_1)
	v_fmac_f32_e32 v12, s30, v24
	flat_store_b32 v[10:11], v12 offset:128
	flat_load_b32 v8, v[8:9] offset:192
	s_wait_loadcnt_dscnt 0x0
	v_mul_f32_e32 v8, s33, v8
	v_fmac_f32_e32 v8, s30, v23
	flat_store_b32 v[10:11], v8 offset:192
	s_branch .LBB178_2
.LBB178_10:
	s_endpgm
	.section	.rodata,"a",@progbits
	.p2align	6, 0x0
	.amdhsa_kernel _ZN12_GLOBAL__N_127rocblas_gemm_batched_kernelIfLi16ELi16ELi64ELi64ELi4ELi64ELi4ELi4ELi64ELc78ELc84EKPKfS3_KPfEEvlllT_PT11_llS8_llS6_PT12_llPT13_lli
		.amdhsa_group_segment_fixed_size 2048
		.amdhsa_private_segment_fixed_size 0
		.amdhsa_kernarg_size 140
		.amdhsa_user_sgpr_count 2
		.amdhsa_user_sgpr_dispatch_ptr 0
		.amdhsa_user_sgpr_queue_ptr 0
		.amdhsa_user_sgpr_kernarg_segment_ptr 1
		.amdhsa_user_sgpr_dispatch_id 0
		.amdhsa_user_sgpr_private_segment_size 0
		.amdhsa_wavefront_size32 1
		.amdhsa_uses_dynamic_stack 0
		.amdhsa_enable_private_segment 0
		.amdhsa_system_sgpr_workgroup_id_x 1
		.amdhsa_system_sgpr_workgroup_id_y 1
		.amdhsa_system_sgpr_workgroup_id_z 1
		.amdhsa_system_sgpr_workgroup_info 0
		.amdhsa_system_vgpr_workitem_id 1
		.amdhsa_next_free_vgpr 71
		.amdhsa_next_free_sgpr 39
		.amdhsa_reserve_vcc 1
		.amdhsa_float_round_mode_32 0
		.amdhsa_float_round_mode_16_64 0
		.amdhsa_float_denorm_mode_32 3
		.amdhsa_float_denorm_mode_16_64 3
		.amdhsa_fp16_overflow 0
		.amdhsa_workgroup_processor_mode 1
		.amdhsa_memory_ordered 1
		.amdhsa_forward_progress 1
		.amdhsa_inst_pref_size 22
		.amdhsa_round_robin_scheduling 0
		.amdhsa_exception_fp_ieee_invalid_op 0
		.amdhsa_exception_fp_denorm_src 0
		.amdhsa_exception_fp_ieee_div_zero 0
		.amdhsa_exception_fp_ieee_overflow 0
		.amdhsa_exception_fp_ieee_underflow 0
		.amdhsa_exception_fp_ieee_inexact 0
		.amdhsa_exception_int_div_zero 0
	.end_amdhsa_kernel
	.section	.text._ZN12_GLOBAL__N_127rocblas_gemm_batched_kernelIfLi16ELi16ELi64ELi64ELi4ELi64ELi4ELi4ELi64ELc78ELc84EKPKfS3_KPfEEvlllT_PT11_llS8_llS6_PT12_llPT13_lli,"axG",@progbits,_ZN12_GLOBAL__N_127rocblas_gemm_batched_kernelIfLi16ELi16ELi64ELi64ELi4ELi64ELi4ELi4ELi64ELc78ELc84EKPKfS3_KPfEEvlllT_PT11_llS8_llS6_PT12_llPT13_lli,comdat
.Lfunc_end178:
	.size	_ZN12_GLOBAL__N_127rocblas_gemm_batched_kernelIfLi16ELi16ELi64ELi64ELi4ELi64ELi4ELi4ELi64ELc78ELc84EKPKfS3_KPfEEvlllT_PT11_llS8_llS6_PT12_llPT13_lli, .Lfunc_end178-_ZN12_GLOBAL__N_127rocblas_gemm_batched_kernelIfLi16ELi16ELi64ELi64ELi4ELi64ELi4ELi4ELi64ELc78ELc84EKPKfS3_KPfEEvlllT_PT11_llS8_llS6_PT12_llPT13_lli
                                        ; -- End function
	.set _ZN12_GLOBAL__N_127rocblas_gemm_batched_kernelIfLi16ELi16ELi64ELi64ELi4ELi64ELi4ELi4ELi64ELc78ELc84EKPKfS3_KPfEEvlllT_PT11_llS8_llS6_PT12_llPT13_lli.num_vgpr, 71
	.set _ZN12_GLOBAL__N_127rocblas_gemm_batched_kernelIfLi16ELi16ELi64ELi64ELi4ELi64ELi4ELi4ELi64ELc78ELc84EKPKfS3_KPfEEvlllT_PT11_llS8_llS6_PT12_llPT13_lli.num_agpr, 0
	.set _ZN12_GLOBAL__N_127rocblas_gemm_batched_kernelIfLi16ELi16ELi64ELi64ELi4ELi64ELi4ELi4ELi64ELc78ELc84EKPKfS3_KPfEEvlllT_PT11_llS8_llS6_PT12_llPT13_lli.numbered_sgpr, 39
	.set _ZN12_GLOBAL__N_127rocblas_gemm_batched_kernelIfLi16ELi16ELi64ELi64ELi4ELi64ELi4ELi4ELi64ELc78ELc84EKPKfS3_KPfEEvlllT_PT11_llS8_llS6_PT12_llPT13_lli.num_named_barrier, 0
	.set _ZN12_GLOBAL__N_127rocblas_gemm_batched_kernelIfLi16ELi16ELi64ELi64ELi4ELi64ELi4ELi4ELi64ELc78ELc84EKPKfS3_KPfEEvlllT_PT11_llS8_llS6_PT12_llPT13_lli.private_seg_size, 0
	.set _ZN12_GLOBAL__N_127rocblas_gemm_batched_kernelIfLi16ELi16ELi64ELi64ELi4ELi64ELi4ELi4ELi64ELc78ELc84EKPKfS3_KPfEEvlllT_PT11_llS8_llS6_PT12_llPT13_lli.uses_vcc, 1
	.set _ZN12_GLOBAL__N_127rocblas_gemm_batched_kernelIfLi16ELi16ELi64ELi64ELi4ELi64ELi4ELi4ELi64ELc78ELc84EKPKfS3_KPfEEvlllT_PT11_llS8_llS6_PT12_llPT13_lli.uses_flat_scratch, 1
	.set _ZN12_GLOBAL__N_127rocblas_gemm_batched_kernelIfLi16ELi16ELi64ELi64ELi4ELi64ELi4ELi4ELi64ELc78ELc84EKPKfS3_KPfEEvlllT_PT11_llS8_llS6_PT12_llPT13_lli.has_dyn_sized_stack, 0
	.set _ZN12_GLOBAL__N_127rocblas_gemm_batched_kernelIfLi16ELi16ELi64ELi64ELi4ELi64ELi4ELi4ELi64ELc78ELc84EKPKfS3_KPfEEvlllT_PT11_llS8_llS6_PT12_llPT13_lli.has_recursion, 0
	.set _ZN12_GLOBAL__N_127rocblas_gemm_batched_kernelIfLi16ELi16ELi64ELi64ELi4ELi64ELi4ELi4ELi64ELc78ELc84EKPKfS3_KPfEEvlllT_PT11_llS8_llS6_PT12_llPT13_lli.has_indirect_call, 0
	.section	.AMDGPU.csdata,"",@progbits
; Kernel info:
; codeLenInByte = 2792
; TotalNumSgprs: 41
; NumVgprs: 71
; ScratchSize: 0
; MemoryBound: 0
; FloatMode: 240
; IeeeMode: 1
; LDSByteSize: 2048 bytes/workgroup (compile time only)
; SGPRBlocks: 0
; VGPRBlocks: 8
; NumSGPRsForWavesPerEU: 41
; NumVGPRsForWavesPerEU: 71
; Occupancy: 16
; WaveLimiterHint : 1
; COMPUTE_PGM_RSRC2:SCRATCH_EN: 0
; COMPUTE_PGM_RSRC2:USER_SGPR: 2
; COMPUTE_PGM_RSRC2:TRAP_HANDLER: 0
; COMPUTE_PGM_RSRC2:TGID_X_EN: 1
; COMPUTE_PGM_RSRC2:TGID_Y_EN: 1
; COMPUTE_PGM_RSRC2:TGID_Z_EN: 1
; COMPUTE_PGM_RSRC2:TIDIG_COMP_CNT: 1
	.section	.text._ZN12_GLOBAL__N_127rocblas_gemm_batched_kernelIfLi16ELi16ELi64ELi64ELi4ELi64ELi4ELi4ELi64ELc84ELc84EKPKfS3_KPfEEvlllT_PT11_llS8_llS6_PT12_llPT13_lli,"axG",@progbits,_ZN12_GLOBAL__N_127rocblas_gemm_batched_kernelIfLi16ELi16ELi64ELi64ELi4ELi64ELi4ELi4ELi64ELc84ELc84EKPKfS3_KPfEEvlllT_PT11_llS8_llS6_PT12_llPT13_lli,comdat
	.globl	_ZN12_GLOBAL__N_127rocblas_gemm_batched_kernelIfLi16ELi16ELi64ELi64ELi4ELi64ELi4ELi4ELi64ELc84ELc84EKPKfS3_KPfEEvlllT_PT11_llS8_llS6_PT12_llPT13_lli ; -- Begin function _ZN12_GLOBAL__N_127rocblas_gemm_batched_kernelIfLi16ELi16ELi64ELi64ELi4ELi64ELi4ELi4ELi64ELc84ELc84EKPKfS3_KPfEEvlllT_PT11_llS8_llS6_PT12_llPT13_lli
	.p2align	8
	.type	_ZN12_GLOBAL__N_127rocblas_gemm_batched_kernelIfLi16ELi16ELi64ELi64ELi4ELi64ELi4ELi4ELi64ELc84ELc84EKPKfS3_KPfEEvlllT_PT11_llS8_llS6_PT12_llPT13_lli,@function
_ZN12_GLOBAL__N_127rocblas_gemm_batched_kernelIfLi16ELi16ELi64ELi64ELi4ELi64ELi4ELi4ELi64ELc84ELc84EKPKfS3_KPfEEvlllT_PT11_llS8_llS6_PT12_llPT13_lli: ; @_ZN12_GLOBAL__N_127rocblas_gemm_batched_kernelIfLi16ELi16ELi64ELi64ELi4ELi64ELi4ELi4ELi64ELc84ELc84EKPKfS3_KPfEEvlllT_PT11_llS8_llS6_PT12_llPT13_lli
; %bb.0:
	s_load_b32 s31, s[0:1], 0x88
	s_lshr_b32 s2, ttmp7, 16
	s_wait_kmcnt 0x0
	s_cmp_ge_i32 s2, s31
	s_cbranch_scc1 .LBB179_10
; %bb.1:
	s_clause 0x5
	s_load_b96 s[28:30], s[0:1], 0x10
	s_load_b256 s[4:11], s[0:1], 0x20
	s_load_b128 s[20:23], s[0:1], 0x78
	s_load_b128 s[24:27], s[0:1], 0x40
	s_load_b32 s33, s[0:1], 0x50
	s_load_b256 s[12:19], s[0:1], 0x58
	v_bfe_u32 v2, v0, 10, 10
	v_dual_mov_b32 v1, 0 :: v_dual_and_b32 v8, 0x3ff, v0
	s_lshl_b32 s0, ttmp7, 6
	v_and_b32_e32 v12, 3, v0
	s_delay_alu instid0(VALU_DEP_3)
	v_lshlrev_b32_e32 v3, 4, v2
	s_and_b32 s36, s0, 0x3fffc0
	s_mov_b32 s34, ttmp9
	v_add_nc_u32_e32 v14, s36, v2
	v_lshlrev_b32_e32 v5, 2, v12
	v_add_nc_u32_e32 v4, v3, v8
	v_add_nc_u32_e32 v19, 0x400, v3
	s_ashr_i32 s35, ttmp9, 31
	v_lshlrev_b32_e32 v18, 2, v8
	s_lshl_b64 s[0:1], s[34:35], 6
	v_lshrrev_b32_e32 v15, 6, v4
	v_lshrrev_b32_e32 v0, 2, v4
	v_add_co_u32 v8, s35, s0, v8
	s_wait_kmcnt 0x0
	v_mad_co_u64_u32 v[6:7], null, v14, s14, 0
	v_and_b32_e32 v13, 63, v4
	v_lshl_or_b32 v2, v0, 4, v5
	s_cmp_eq_f32 s33, 0
	v_add_co_ci_u32_e64 v9, null, s1, 0, s35
	s_delay_alu instid0(VALU_DEP_3) | instskip(NEXT) | instid1(VALU_DEP_3)
	v_lshlrev_b32_e32 v4, 2, v13
	v_add_nc_u32_e32 v17, 0x400, v2
	v_mad_co_u64_u32 v[2:3], null, s24, v12, v[0:1]
	s_cselect_b32 s34, -1, 0
	v_lshl_or_b32 v16, v15, 8, v4
	v_mad_co_u64_u32 v[4:5], null, v14, s20, 0
	s_mov_b32 s3, 0
	v_add_co_u32 v2, vcc_lo, v2, s36
	s_lshl_b64 s[36:37], s[14:15], 4
	v_mov_b32_e32 v0, v5
	s_delay_alu instid0(VALU_DEP_1)
	v_mad_co_u64_u32 v[10:11], null, v14, s21, v[0:1]
	v_mov_b32_e32 v0, v7
	v_or_b32_e32 v5, s0, v13
	v_mad_co_u64_u32 v[11:12], null, s25, v12, v[3:4]
	s_mul_i32 s0, s6, s1
	v_mad_co_u64_u32 v[12:13], null, v14, s15, v[0:1]
	v_mul_lo_u32 v0, s7, v5
	v_mad_co_u64_u32 v[13:14], null, s6, v5, 0
	v_add_co_ci_u32_e64 v3, null, 0, v11, vcc_lo
	v_mov_b32_e32 v5, v10
	v_mov_b32_e32 v7, v12
	s_lshl_b64 s[20:21], s[20:21], 4
	s_delay_alu instid0(VALU_DEP_3)
	v_lshlrev_b64_e32 v[2:3], 2, v[2:3]
	s_wait_alu 0xfffe
	v_add3_u32 v14, v14, s0, v0
	s_lshl_b64 s[0:1], s[26:27], 2
	v_lshlrev_b64_e32 v[4:5], 2, v[4:5]
	s_lshl_b64 s[6:7], s[24:25], 4
	s_lshl_b64 s[14:15], s[16:17], 2
	v_lshlrev_b64_e32 v[10:11], 2, v[13:14]
	s_wait_alu 0xfffe
	v_add_co_u32 v0, vcc_lo, s0, v2
	s_wait_alu 0xfffd
	v_add_co_ci_u32_e64 v20, null, s1, v3, vcc_lo
	s_lshl_b64 s[0:1], s[8:9], 2
	v_lshlrev_b32_e32 v2, 2, v15
	s_wait_alu 0xfffe
	v_add_co_u32 v3, vcc_lo, v10, s0
	v_cmp_gt_i64_e64 s0, s[28:29], 0
	s_wait_alu 0xfffd
	v_add_co_ci_u32_e64 v10, null, s1, v11, vcc_lo
	s_delay_alu instid0(VALU_DEP_3)
	v_add_co_u32 v21, vcc_lo, v3, v2
	v_lshlrev_b64_e32 v[2:3], 2, v[6:7]
	s_wait_alu 0xf1ff
	v_cndmask_b32_e64 v11, 0, 1, s0
	v_lshlrev_b64_e32 v[6:7], 2, v[8:9]
	s_wait_alu 0xfffd
	v_add_co_ci_u32_e64 v22, null, 0, v10, vcc_lo
	s_lshl_b64 s[8:9], s[22:23], 2
	v_cmp_ne_u32_e64 s0, 1, v11
	s_lshl_b64 s[16:17], s[36:37], 2
	s_lshl_b64 s[20:21], s[20:21], 2
	s_branch .LBB179_3
.LBB179_2:                              ;   in Loop: Header=BB179_3 Depth=1
	s_add_co_i32 s2, s2, 0x10000
	s_delay_alu instid0(SALU_CYCLE_1)
	s_cmp_lt_i32 s2, s31
	s_cbranch_scc0 .LBB179_10
.LBB179_3:                              ; =>This Loop Header: Depth=1
                                        ;     Child Loop BB179_5 Depth 2
	s_lshl_b64 s[22:23], s[2:3], 3
	v_dual_mov_b32 v38, 0 :: v_dual_mov_b32 v37, 0
	s_wait_alu 0xfffe
	s_add_nc_u64 s[24:25], s[12:13], s[22:23]
	s_add_nc_u64 s[26:27], s[18:19], s[22:23]
	s_clause 0x1
	global_load_b64 v[8:9], v1, s[24:25]
	global_load_b64 v[10:11], v1, s[26:27]
	v_dual_mov_b32 v36, 0 :: v_dual_mov_b32 v35, 0
	v_dual_mov_b32 v34, 0 :: v_dual_mov_b32 v33, 0
	;; [unrolled: 1-line block ×7, first 2 shown]
	s_and_b32 vcc_lo, exec_lo, s0
	s_wait_alu 0xfffe
	s_cbranch_vccnz .LBB179_6
; %bb.4:                                ;   in Loop: Header=BB179_3 Depth=1
	s_add_nc_u64 s[24:25], s[10:11], s[22:23]
	s_add_nc_u64 s[22:23], s[4:5], s[22:23]
	s_clause 0x1
	global_load_b64 v[12:13], v1, s[24:25]
	global_load_b64 v[14:15], v1, s[22:23]
	v_dual_mov_b32 v23, 0 :: v_dual_mov_b32 v24, 0
	v_dual_mov_b32 v25, 0 :: v_dual_mov_b32 v26, 0
	;; [unrolled: 1-line block ×8, first 2 shown]
	s_mov_b64 s[22:23], 0
	s_wait_loadcnt 0x1
	v_add_co_u32 v12, vcc_lo, v12, v0
	s_wait_alu 0xfffd
	v_add_co_ci_u32_e64 v13, null, v13, v20, vcc_lo
	s_wait_loadcnt 0x0
	v_add_co_u32 v14, vcc_lo, v14, v21
	s_wait_alu 0xfffd
	v_add_co_ci_u32_e64 v15, null, v15, v22, vcc_lo
.LBB179_5:                              ;   Parent Loop BB179_3 Depth=1
                                        ; =>  This Inner Loop Header: Depth=2
	flat_load_b32 v39, v[14:15]
	s_wait_alu 0xfffe
	s_add_nc_u64 s[22:23], s[22:23], 4
	v_add_co_u32 v14, vcc_lo, v14, 16
	s_wait_alu 0xfffe
	v_cmp_lt_i64_e64 s1, s[22:23], s[28:29]
	s_wait_alu 0xfffd
	v_add_co_ci_u32_e64 v15, null, 0, v15, vcc_lo
	s_and_b32 vcc_lo, exec_lo, s1
	s_wait_loadcnt_dscnt 0x0
	ds_store_b32 v16, v39
	flat_load_b32 v39, v[12:13]
	v_add_co_u32 v12, s1, v12, s6
	s_wait_alu 0xf1ff
	v_add_co_ci_u32_e64 v13, null, s7, v13, s1
	s_wait_loadcnt_dscnt 0x0
	ds_store_b32 v17, v39
	s_wait_dscnt 0x0
	s_barrier_signal -1
	s_barrier_wait -1
	global_inv scope:SCOPE_SE
	ds_load_b128 v[39:42], v19
	ds_load_2addr_b32 v[55:56], v18 offset1:16
	ds_load_2addr_b32 v[57:58], v18 offset0:32 offset1:48
	ds_load_b128 v[43:46], v19 offset:256
	ds_load_b128 v[47:50], v19 offset:512
	;; [unrolled: 1-line block ×3, first 2 shown]
	ds_load_2addr_b32 v[59:60], v18 offset0:64 offset1:80
	ds_load_2addr_b32 v[61:62], v18 offset0:96 offset1:112
	;; [unrolled: 1-line block ×6, first 2 shown]
	s_wait_loadcnt_dscnt 0x0
	s_barrier_signal -1
	s_barrier_wait -1
	global_inv scope:SCOPE_SE
	v_fmac_f32_e32 v37, v56, v39
	v_fmac_f32_e32 v38, v55, v39
	;; [unrolled: 1-line block ×15, first 2 shown]
	v_dual_fmac_f32 v24, v57, v51 :: v_dual_fmac_f32 v37, v60, v40
	v_fmac_f32_e32 v38, v59, v40
	v_fmac_f32_e32 v35, v62, v40
	v_fmac_f32_e32 v36, v61, v40
	v_fmac_f32_e32 v33, v60, v44
	v_fmac_f32_e32 v34, v59, v44
	v_fmac_f32_e32 v31, v62, v44
	v_fmac_f32_e32 v32, v61, v44
	v_fmac_f32_e32 v29, v60, v48
	v_fmac_f32_e32 v30, v59, v48
	v_fmac_f32_e32 v27, v62, v48
	v_fmac_f32_e32 v28, v61, v48
	v_fmac_f32_e32 v25, v60, v52
	v_fmac_f32_e32 v26, v59, v52
	v_fmac_f32_e32 v23, v62, v52
	v_dual_fmac_f32 v24, v61, v52 :: v_dual_fmac_f32 v37, v64, v41
	v_fmac_f32_e32 v38, v63, v41
	v_fmac_f32_e32 v35, v66, v41
	v_fmac_f32_e32 v36, v65, v41
	v_fmac_f32_e32 v33, v64, v45
	v_fmac_f32_e32 v34, v63, v45
	v_fmac_f32_e32 v31, v66, v45
	v_fmac_f32_e32 v32, v65, v45
	v_fmac_f32_e32 v29, v64, v49
	v_fmac_f32_e32 v30, v63, v49
	v_fmac_f32_e32 v27, v66, v49
	v_fmac_f32_e32 v28, v65, v49
	v_fmac_f32_e32 v25, v64, v53
	v_fmac_f32_e32 v26, v63, v53
	v_fmac_f32_e32 v23, v66, v53
	;; [unrolled: 15-line block ×3, first 2 shown]
	v_fmac_f32_e32 v24, v69, v54
	s_wait_alu 0xfffe
	s_cbranch_vccnz .LBB179_5
.LBB179_6:                              ;   in Loop: Header=BB179_3 Depth=1
	s_wait_loadcnt 0x0
	v_add_co_u32 v10, vcc_lo, v10, s8
	s_wait_alu 0xfffd
	v_add_co_ci_u32_e64 v11, null, s9, v11, vcc_lo
	s_and_not1_b32 vcc_lo, exec_lo, s34
	s_wait_alu 0xfffe
	s_cbranch_vccnz .LBB179_8
; %bb.7:                                ;   in Loop: Header=BB179_3 Depth=1
	v_add_co_u32 v14, vcc_lo, v10, v4
	s_wait_alu 0xfffd
	v_add_co_ci_u32_e64 v15, null, v11, v5, vcc_lo
	v_dual_mul_f32 v39, s30, v38 :: v_dual_mul_f32 v40, s30, v37
	s_delay_alu instid0(VALU_DEP_3) | instskip(SKIP_1) | instid1(VALU_DEP_3)
	v_add_co_u32 v12, vcc_lo, v14, v6
	s_wait_alu 0xfffd
	v_add_co_ci_u32_e64 v13, null, v15, v7, vcc_lo
	v_add_co_u32 v14, vcc_lo, v14, s20
	v_dual_mul_f32 v41, s30, v36 :: v_dual_mul_f32 v42, s30, v35
	s_wait_alu 0xfffd
	v_add_co_ci_u32_e64 v15, null, s21, v15, vcc_lo
	s_clause 0x3
	flat_store_b32 v[12:13], v39
	flat_store_b32 v[12:13], v40 offset:64
	flat_store_b32 v[12:13], v41 offset:128
	;; [unrolled: 1-line block ×3, first 2 shown]
	v_add_co_u32 v12, vcc_lo, v14, v6
	s_wait_alu 0xfffd
	v_add_co_ci_u32_e64 v13, null, v15, v7, vcc_lo
	v_add_co_u32 v43, vcc_lo, v14, s20
	s_wait_alu 0xfffd
	v_add_co_ci_u32_e64 v44, null, s21, v15, vcc_lo
	v_dual_mul_f32 v39, s30, v34 :: v_dual_mul_f32 v40, s30, v33
	v_dual_mul_f32 v41, s30, v32 :: v_dual_mul_f32 v42, s30, v31
	v_add_co_u32 v14, vcc_lo, v43, v6
	v_dual_mul_f32 v45, s30, v30 :: v_dual_mul_f32 v46, s30, v29
	s_wait_alu 0xfffd
	v_add_co_ci_u32_e64 v15, null, v44, v7, vcc_lo
	v_dual_mul_f32 v47, s30, v28 :: v_dual_mul_f32 v48, s30, v27
	s_clause 0x7
	flat_store_b32 v[12:13], v39
	flat_store_b32 v[12:13], v40 offset:64
	flat_store_b32 v[12:13], v41 offset:128
	;; [unrolled: 1-line block ×3, first 2 shown]
	flat_store_b32 v[14:15], v45
	flat_store_b32 v[14:15], v46 offset:64
	flat_store_b32 v[14:15], v47 offset:128
	;; [unrolled: 1-line block ×3, first 2 shown]
	v_add_co_u32 v12, vcc_lo, v43, s20
	s_wait_alu 0xfffd
	v_add_co_ci_u32_e64 v13, null, s21, v44, vcc_lo
	v_dual_mul_f32 v14, s30, v26 :: v_dual_mul_f32 v15, s30, v25
	s_delay_alu instid0(VALU_DEP_3) | instskip(SKIP_1) | instid1(VALU_DEP_3)
	v_add_co_u32 v12, vcc_lo, v12, v6
	s_wait_alu 0xfffd
	v_add_co_ci_u32_e64 v13, null, v13, v7, vcc_lo
	v_dual_mul_f32 v39, s30, v24 :: v_dual_mul_f32 v40, s30, v23
	s_clause 0x3
	flat_store_b32 v[12:13], v14
	flat_store_b32 v[12:13], v15 offset:64
	flat_store_b32 v[12:13], v39 offset:128
	;; [unrolled: 1-line block ×3, first 2 shown]
	s_cbranch_execnz .LBB179_2
	s_branch .LBB179_9
.LBB179_8:                              ;   in Loop: Header=BB179_3 Depth=1
.LBB179_9:                              ;   in Loop: Header=BB179_3 Depth=1
	v_add_co_u32 v8, vcc_lo, v8, s14
	s_wait_alu 0xfffd
	v_add_co_ci_u32_e64 v9, null, s15, v9, vcc_lo
	s_delay_alu instid0(VALU_DEP_2) | instskip(SKIP_1) | instid1(VALU_DEP_2)
	v_add_co_u32 v12, vcc_lo, v8, v2
	s_wait_alu 0xfffd
	v_add_co_ci_u32_e64 v13, null, v9, v3, vcc_lo
	s_delay_alu instid0(VALU_DEP_2) | instskip(SKIP_1) | instid1(VALU_DEP_2)
	v_add_co_u32 v8, vcc_lo, v12, v6
	s_wait_alu 0xfffd
	v_add_co_ci_u32_e64 v9, null, v13, v7, vcc_lo
	v_add_co_u32 v15, vcc_lo, v10, v4
	s_wait_alu 0xfffd
	v_add_co_ci_u32_e64 v39, null, v11, v5, vcc_lo
	flat_load_b32 v14, v[8:9]
	v_add_co_u32 v10, vcc_lo, v15, v6
	s_wait_alu 0xfffd
	v_add_co_ci_u32_e64 v11, null, v39, v7, vcc_lo
	v_add_co_u32 v12, vcc_lo, v12, s16
	s_wait_alu 0xfffd
	v_add_co_ci_u32_e64 v13, null, s17, v13, vcc_lo
	s_wait_loadcnt_dscnt 0x0
	v_mul_f32_e32 v14, s33, v14
	s_delay_alu instid0(VALU_DEP_1) | instskip(SKIP_4) | instid1(VALU_DEP_1)
	v_fmac_f32_e32 v14, s30, v38
	flat_store_b32 v[10:11], v14
	flat_load_b32 v14, v[8:9] offset:64
	s_wait_loadcnt_dscnt 0x0
	v_mul_f32_e32 v14, s33, v14
	v_fmac_f32_e32 v14, s30, v37
	flat_store_b32 v[10:11], v14 offset:64
	flat_load_b32 v14, v[8:9] offset:128
	s_wait_loadcnt_dscnt 0x0
	v_mul_f32_e32 v14, s33, v14
	s_delay_alu instid0(VALU_DEP_1)
	v_fmac_f32_e32 v14, s30, v36
	flat_store_b32 v[10:11], v14 offset:128
	flat_load_b32 v8, v[8:9] offset:192
	s_wait_loadcnt_dscnt 0x0
	v_mul_f32_e32 v14, s33, v8
	v_add_co_u32 v8, vcc_lo, v12, v6
	s_wait_alu 0xfffd
	v_add_co_ci_u32_e64 v9, null, v13, v7, vcc_lo
	s_delay_alu instid0(VALU_DEP_3)
	v_fmac_f32_e32 v14, s30, v35
	flat_store_b32 v[10:11], v14 offset:192
	flat_load_b32 v10, v[8:9]
	v_add_co_u32 v14, vcc_lo, v15, s20
	s_wait_alu 0xfffd
	v_add_co_ci_u32_e64 v15, null, s21, v39, vcc_lo
	s_wait_loadcnt_dscnt 0x0
	v_mul_f32_e32 v35, s33, v10
	v_add_co_u32 v10, vcc_lo, v14, v6
	s_wait_alu 0xfffd
	v_add_co_ci_u32_e64 v11, null, v15, v7, vcc_lo
	s_delay_alu instid0(VALU_DEP_3)
	v_fmac_f32_e32 v35, s30, v34
	v_add_co_u32 v12, vcc_lo, v12, s16
	s_wait_alu 0xfffd
	v_add_co_ci_u32_e64 v13, null, s17, v13, vcc_lo
	flat_store_b32 v[10:11], v35
	flat_load_b32 v34, v[8:9] offset:64
	s_wait_loadcnt_dscnt 0x0
	v_mul_f32_e32 v34, s33, v34
	s_delay_alu instid0(VALU_DEP_1) | instskip(SKIP_4) | instid1(VALU_DEP_1)
	v_fmac_f32_e32 v34, s30, v33
	flat_store_b32 v[10:11], v34 offset:64
	flat_load_b32 v33, v[8:9] offset:128
	s_wait_loadcnt_dscnt 0x0
	v_mul_f32_e32 v33, s33, v33
	v_fmac_f32_e32 v33, s30, v32
	flat_store_b32 v[10:11], v33 offset:128
	flat_load_b32 v8, v[8:9] offset:192
	s_wait_loadcnt_dscnt 0x0
	v_mul_f32_e32 v32, s33, v8
	v_add_co_u32 v8, vcc_lo, v12, v6
	s_wait_alu 0xfffd
	v_add_co_ci_u32_e64 v9, null, v13, v7, vcc_lo
	s_delay_alu instid0(VALU_DEP_3)
	v_fmac_f32_e32 v32, s30, v31
	v_add_co_u32 v14, vcc_lo, v14, s20
	s_wait_alu 0xfffd
	v_add_co_ci_u32_e64 v15, null, s21, v15, vcc_lo
	flat_store_b32 v[10:11], v32 offset:192
	flat_load_b32 v10, v[8:9]
	s_wait_loadcnt_dscnt 0x0
	v_mul_f32_e32 v31, s33, v10
	v_add_co_u32 v10, vcc_lo, v14, v6
	s_wait_alu 0xfffd
	v_add_co_ci_u32_e64 v11, null, v15, v7, vcc_lo
	s_delay_alu instid0(VALU_DEP_3) | instskip(SKIP_4) | instid1(VALU_DEP_1)
	v_fmac_f32_e32 v31, s30, v30
	flat_store_b32 v[10:11], v31
	flat_load_b32 v30, v[8:9] offset:64
	s_wait_loadcnt_dscnt 0x0
	v_mul_f32_e32 v30, s33, v30
	v_fmac_f32_e32 v30, s30, v29
	flat_store_b32 v[10:11], v30 offset:64
	flat_load_b32 v29, v[8:9] offset:128
	s_wait_loadcnt_dscnt 0x0
	v_mul_f32_e32 v29, s33, v29
	s_delay_alu instid0(VALU_DEP_1)
	v_fmac_f32_e32 v29, s30, v28
	flat_store_b32 v[10:11], v29 offset:128
	flat_load_b32 v8, v[8:9] offset:192
	s_wait_loadcnt_dscnt 0x0
	v_mul_f32_e32 v28, s33, v8
	v_add_co_u32 v8, vcc_lo, v12, s16
	s_wait_alu 0xfffd
	v_add_co_ci_u32_e64 v9, null, s17, v13, vcc_lo
	s_delay_alu instid0(VALU_DEP_3) | instskip(NEXT) | instid1(VALU_DEP_3)
	v_fmac_f32_e32 v28, s30, v27
	v_add_co_u32 v8, vcc_lo, v8, v6
	s_wait_alu 0xfffd
	s_delay_alu instid0(VALU_DEP_3)
	v_add_co_ci_u32_e64 v9, null, v9, v7, vcc_lo
	flat_store_b32 v[10:11], v28 offset:192
	flat_load_b32 v10, v[8:9]
	s_wait_loadcnt_dscnt 0x0
	v_mul_f32_e32 v12, s33, v10
	v_add_co_u32 v10, vcc_lo, v14, s20
	s_wait_alu 0xfffd
	v_add_co_ci_u32_e64 v11, null, s21, v15, vcc_lo
	s_delay_alu instid0(VALU_DEP_3) | instskip(NEXT) | instid1(VALU_DEP_3)
	v_fmac_f32_e32 v12, s30, v26
	v_add_co_u32 v10, vcc_lo, v10, v6
	s_wait_alu 0xfffd
	s_delay_alu instid0(VALU_DEP_3) | instskip(SKIP_4) | instid1(VALU_DEP_1)
	v_add_co_ci_u32_e64 v11, null, v11, v7, vcc_lo
	flat_store_b32 v[10:11], v12
	flat_load_b32 v12, v[8:9] offset:64
	s_wait_loadcnt_dscnt 0x0
	v_mul_f32_e32 v12, s33, v12
	v_fmac_f32_e32 v12, s30, v25
	flat_store_b32 v[10:11], v12 offset:64
	flat_load_b32 v12, v[8:9] offset:128
	s_wait_loadcnt_dscnt 0x0
	v_mul_f32_e32 v12, s33, v12
	s_delay_alu instid0(VALU_DEP_1) | instskip(SKIP_4) | instid1(VALU_DEP_1)
	v_fmac_f32_e32 v12, s30, v24
	flat_store_b32 v[10:11], v12 offset:128
	flat_load_b32 v8, v[8:9] offset:192
	s_wait_loadcnt_dscnt 0x0
	v_mul_f32_e32 v8, s33, v8
	v_fmac_f32_e32 v8, s30, v23
	flat_store_b32 v[10:11], v8 offset:192
	s_branch .LBB179_2
.LBB179_10:
	s_endpgm
	.section	.rodata,"a",@progbits
	.p2align	6, 0x0
	.amdhsa_kernel _ZN12_GLOBAL__N_127rocblas_gemm_batched_kernelIfLi16ELi16ELi64ELi64ELi4ELi64ELi4ELi4ELi64ELc84ELc84EKPKfS3_KPfEEvlllT_PT11_llS8_llS6_PT12_llPT13_lli
		.amdhsa_group_segment_fixed_size 2048
		.amdhsa_private_segment_fixed_size 0
		.amdhsa_kernarg_size 140
		.amdhsa_user_sgpr_count 2
		.amdhsa_user_sgpr_dispatch_ptr 0
		.amdhsa_user_sgpr_queue_ptr 0
		.amdhsa_user_sgpr_kernarg_segment_ptr 1
		.amdhsa_user_sgpr_dispatch_id 0
		.amdhsa_user_sgpr_private_segment_size 0
		.amdhsa_wavefront_size32 1
		.amdhsa_uses_dynamic_stack 0
		.amdhsa_enable_private_segment 0
		.amdhsa_system_sgpr_workgroup_id_x 1
		.amdhsa_system_sgpr_workgroup_id_y 1
		.amdhsa_system_sgpr_workgroup_id_z 1
		.amdhsa_system_sgpr_workgroup_info 0
		.amdhsa_system_vgpr_workitem_id 1
		.amdhsa_next_free_vgpr 71
		.amdhsa_next_free_sgpr 38
		.amdhsa_reserve_vcc 1
		.amdhsa_float_round_mode_32 0
		.amdhsa_float_round_mode_16_64 0
		.amdhsa_float_denorm_mode_32 3
		.amdhsa_float_denorm_mode_16_64 3
		.amdhsa_fp16_overflow 0
		.amdhsa_workgroup_processor_mode 1
		.amdhsa_memory_ordered 1
		.amdhsa_forward_progress 1
		.amdhsa_inst_pref_size 22
		.amdhsa_round_robin_scheduling 0
		.amdhsa_exception_fp_ieee_invalid_op 0
		.amdhsa_exception_fp_denorm_src 0
		.amdhsa_exception_fp_ieee_div_zero 0
		.amdhsa_exception_fp_ieee_overflow 0
		.amdhsa_exception_fp_ieee_underflow 0
		.amdhsa_exception_fp_ieee_inexact 0
		.amdhsa_exception_int_div_zero 0
	.end_amdhsa_kernel
	.section	.text._ZN12_GLOBAL__N_127rocblas_gemm_batched_kernelIfLi16ELi16ELi64ELi64ELi4ELi64ELi4ELi4ELi64ELc84ELc84EKPKfS3_KPfEEvlllT_PT11_llS8_llS6_PT12_llPT13_lli,"axG",@progbits,_ZN12_GLOBAL__N_127rocblas_gemm_batched_kernelIfLi16ELi16ELi64ELi64ELi4ELi64ELi4ELi4ELi64ELc84ELc84EKPKfS3_KPfEEvlllT_PT11_llS8_llS6_PT12_llPT13_lli,comdat
.Lfunc_end179:
	.size	_ZN12_GLOBAL__N_127rocblas_gemm_batched_kernelIfLi16ELi16ELi64ELi64ELi4ELi64ELi4ELi4ELi64ELc84ELc84EKPKfS3_KPfEEvlllT_PT11_llS8_llS6_PT12_llPT13_lli, .Lfunc_end179-_ZN12_GLOBAL__N_127rocblas_gemm_batched_kernelIfLi16ELi16ELi64ELi64ELi4ELi64ELi4ELi4ELi64ELc84ELc84EKPKfS3_KPfEEvlllT_PT11_llS8_llS6_PT12_llPT13_lli
                                        ; -- End function
	.set _ZN12_GLOBAL__N_127rocblas_gemm_batched_kernelIfLi16ELi16ELi64ELi64ELi4ELi64ELi4ELi4ELi64ELc84ELc84EKPKfS3_KPfEEvlllT_PT11_llS8_llS6_PT12_llPT13_lli.num_vgpr, 71
	.set _ZN12_GLOBAL__N_127rocblas_gemm_batched_kernelIfLi16ELi16ELi64ELi64ELi4ELi64ELi4ELi4ELi64ELc84ELc84EKPKfS3_KPfEEvlllT_PT11_llS8_llS6_PT12_llPT13_lli.num_agpr, 0
	.set _ZN12_GLOBAL__N_127rocblas_gemm_batched_kernelIfLi16ELi16ELi64ELi64ELi4ELi64ELi4ELi4ELi64ELc84ELc84EKPKfS3_KPfEEvlllT_PT11_llS8_llS6_PT12_llPT13_lli.numbered_sgpr, 38
	.set _ZN12_GLOBAL__N_127rocblas_gemm_batched_kernelIfLi16ELi16ELi64ELi64ELi4ELi64ELi4ELi4ELi64ELc84ELc84EKPKfS3_KPfEEvlllT_PT11_llS8_llS6_PT12_llPT13_lli.num_named_barrier, 0
	.set _ZN12_GLOBAL__N_127rocblas_gemm_batched_kernelIfLi16ELi16ELi64ELi64ELi4ELi64ELi4ELi4ELi64ELc84ELc84EKPKfS3_KPfEEvlllT_PT11_llS8_llS6_PT12_llPT13_lli.private_seg_size, 0
	.set _ZN12_GLOBAL__N_127rocblas_gemm_batched_kernelIfLi16ELi16ELi64ELi64ELi4ELi64ELi4ELi4ELi64ELc84ELc84EKPKfS3_KPfEEvlllT_PT11_llS8_llS6_PT12_llPT13_lli.uses_vcc, 1
	.set _ZN12_GLOBAL__N_127rocblas_gemm_batched_kernelIfLi16ELi16ELi64ELi64ELi4ELi64ELi4ELi4ELi64ELc84ELc84EKPKfS3_KPfEEvlllT_PT11_llS8_llS6_PT12_llPT13_lli.uses_flat_scratch, 1
	.set _ZN12_GLOBAL__N_127rocblas_gemm_batched_kernelIfLi16ELi16ELi64ELi64ELi4ELi64ELi4ELi4ELi64ELc84ELc84EKPKfS3_KPfEEvlllT_PT11_llS8_llS6_PT12_llPT13_lli.has_dyn_sized_stack, 0
	.set _ZN12_GLOBAL__N_127rocblas_gemm_batched_kernelIfLi16ELi16ELi64ELi64ELi4ELi64ELi4ELi4ELi64ELc84ELc84EKPKfS3_KPfEEvlllT_PT11_llS8_llS6_PT12_llPT13_lli.has_recursion, 0
	.set _ZN12_GLOBAL__N_127rocblas_gemm_batched_kernelIfLi16ELi16ELi64ELi64ELi4ELi64ELi4ELi4ELi64ELc84ELc84EKPKfS3_KPfEEvlllT_PT11_llS8_llS6_PT12_llPT13_lli.has_indirect_call, 0
	.section	.AMDGPU.csdata,"",@progbits
; Kernel info:
; codeLenInByte = 2796
; TotalNumSgprs: 40
; NumVgprs: 71
; ScratchSize: 0
; MemoryBound: 0
; FloatMode: 240
; IeeeMode: 1
; LDSByteSize: 2048 bytes/workgroup (compile time only)
; SGPRBlocks: 0
; VGPRBlocks: 8
; NumSGPRsForWavesPerEU: 40
; NumVGPRsForWavesPerEU: 71
; Occupancy: 16
; WaveLimiterHint : 1
; COMPUTE_PGM_RSRC2:SCRATCH_EN: 0
; COMPUTE_PGM_RSRC2:USER_SGPR: 2
; COMPUTE_PGM_RSRC2:TRAP_HANDLER: 0
; COMPUTE_PGM_RSRC2:TGID_X_EN: 1
; COMPUTE_PGM_RSRC2:TGID_Y_EN: 1
; COMPUTE_PGM_RSRC2:TGID_Z_EN: 1
; COMPUTE_PGM_RSRC2:TIDIG_COMP_CNT: 1
	.section	.text._ZN12_GLOBAL__N_127rocblas_gemm_batched_kernelIfLi16ELi16ELi64ELi64ELi4ELi64ELi4ELi4ELi64ELc67ELc67EKPKfS3_KPfEEvlllT_PT11_llS8_llS6_PT12_llPT13_lli,"axG",@progbits,_ZN12_GLOBAL__N_127rocblas_gemm_batched_kernelIfLi16ELi16ELi64ELi64ELi4ELi64ELi4ELi4ELi64ELc67ELc67EKPKfS3_KPfEEvlllT_PT11_llS8_llS6_PT12_llPT13_lli,comdat
	.globl	_ZN12_GLOBAL__N_127rocblas_gemm_batched_kernelIfLi16ELi16ELi64ELi64ELi4ELi64ELi4ELi4ELi64ELc67ELc67EKPKfS3_KPfEEvlllT_PT11_llS8_llS6_PT12_llPT13_lli ; -- Begin function _ZN12_GLOBAL__N_127rocblas_gemm_batched_kernelIfLi16ELi16ELi64ELi64ELi4ELi64ELi4ELi4ELi64ELc67ELc67EKPKfS3_KPfEEvlllT_PT11_llS8_llS6_PT12_llPT13_lli
	.p2align	8
	.type	_ZN12_GLOBAL__N_127rocblas_gemm_batched_kernelIfLi16ELi16ELi64ELi64ELi4ELi64ELi4ELi4ELi64ELc67ELc67EKPKfS3_KPfEEvlllT_PT11_llS8_llS6_PT12_llPT13_lli,@function
_ZN12_GLOBAL__N_127rocblas_gemm_batched_kernelIfLi16ELi16ELi64ELi64ELi4ELi64ELi4ELi4ELi64ELc67ELc67EKPKfS3_KPfEEvlllT_PT11_llS8_llS6_PT12_llPT13_lli: ; @_ZN12_GLOBAL__N_127rocblas_gemm_batched_kernelIfLi16ELi16ELi64ELi64ELi4ELi64ELi4ELi4ELi64ELc67ELc67EKPKfS3_KPfEEvlllT_PT11_llS8_llS6_PT12_llPT13_lli
; %bb.0:
	s_load_b32 s31, s[0:1], 0x88
	s_lshr_b32 s2, ttmp7, 16
	s_wait_kmcnt 0x0
	s_cmp_ge_i32 s2, s31
	s_cbranch_scc1 .LBB180_10
; %bb.1:
	s_clause 0x5
	s_load_b96 s[28:30], s[0:1], 0x10
	s_load_b256 s[4:11], s[0:1], 0x20
	s_load_b128 s[20:23], s[0:1], 0x78
	s_load_b128 s[24:27], s[0:1], 0x40
	s_load_b32 s33, s[0:1], 0x50
	s_load_b256 s[12:19], s[0:1], 0x58
	v_bfe_u32 v2, v0, 10, 10
	v_dual_mov_b32 v1, 0 :: v_dual_and_b32 v8, 0x3ff, v0
	s_lshl_b32 s0, ttmp7, 6
	v_and_b32_e32 v12, 3, v0
	s_delay_alu instid0(VALU_DEP_3)
	v_lshlrev_b32_e32 v3, 4, v2
	s_and_b32 s36, s0, 0x3fffc0
	s_mov_b32 s34, ttmp9
	v_add_nc_u32_e32 v14, s36, v2
	v_lshlrev_b32_e32 v5, 2, v12
	v_add_nc_u32_e32 v4, v3, v8
	v_add_nc_u32_e32 v19, 0x400, v3
	s_ashr_i32 s35, ttmp9, 31
	v_lshlrev_b32_e32 v18, 2, v8
	s_lshl_b64 s[0:1], s[34:35], 6
	v_lshrrev_b32_e32 v15, 6, v4
	v_lshrrev_b32_e32 v0, 2, v4
	v_add_co_u32 v8, s35, s0, v8
	s_wait_kmcnt 0x0
	v_mad_co_u64_u32 v[6:7], null, v14, s14, 0
	v_and_b32_e32 v13, 63, v4
	v_lshl_or_b32 v2, v0, 4, v5
	s_cmp_eq_f32 s33, 0
	v_add_co_ci_u32_e64 v9, null, s1, 0, s35
	s_delay_alu instid0(VALU_DEP_3) | instskip(NEXT) | instid1(VALU_DEP_3)
	v_lshlrev_b32_e32 v4, 2, v13
	v_add_nc_u32_e32 v17, 0x400, v2
	v_mad_co_u64_u32 v[2:3], null, s24, v12, v[0:1]
	s_cselect_b32 s34, -1, 0
	v_lshl_or_b32 v16, v15, 8, v4
	v_mad_co_u64_u32 v[4:5], null, v14, s20, 0
	s_mov_b32 s3, 0
	v_add_co_u32 v2, vcc_lo, v2, s36
	s_lshl_b64 s[36:37], s[14:15], 4
	v_mov_b32_e32 v0, v5
	s_delay_alu instid0(VALU_DEP_1)
	v_mad_co_u64_u32 v[10:11], null, v14, s21, v[0:1]
	v_mov_b32_e32 v0, v7
	v_or_b32_e32 v5, s0, v13
	v_mad_co_u64_u32 v[11:12], null, s25, v12, v[3:4]
	s_mul_i32 s0, s6, s1
	v_mad_co_u64_u32 v[12:13], null, v14, s15, v[0:1]
	v_mul_lo_u32 v0, s7, v5
	v_mad_co_u64_u32 v[13:14], null, s6, v5, 0
	v_add_co_ci_u32_e64 v3, null, 0, v11, vcc_lo
	v_mov_b32_e32 v5, v10
	v_mov_b32_e32 v7, v12
	s_lshl_b64 s[20:21], s[20:21], 4
	s_delay_alu instid0(VALU_DEP_3)
	v_lshlrev_b64_e32 v[2:3], 2, v[2:3]
	s_wait_alu 0xfffe
	v_add3_u32 v14, v14, s0, v0
	s_lshl_b64 s[0:1], s[26:27], 2
	v_lshlrev_b64_e32 v[4:5], 2, v[4:5]
	s_lshl_b64 s[6:7], s[24:25], 4
	s_lshl_b64 s[14:15], s[16:17], 2
	v_lshlrev_b64_e32 v[10:11], 2, v[13:14]
	s_wait_alu 0xfffe
	v_add_co_u32 v0, vcc_lo, s0, v2
	s_wait_alu 0xfffd
	v_add_co_ci_u32_e64 v20, null, s1, v3, vcc_lo
	s_lshl_b64 s[0:1], s[8:9], 2
	v_lshlrev_b32_e32 v2, 2, v15
	s_wait_alu 0xfffe
	v_add_co_u32 v3, vcc_lo, v10, s0
	v_cmp_gt_i64_e64 s0, s[28:29], 0
	s_wait_alu 0xfffd
	v_add_co_ci_u32_e64 v10, null, s1, v11, vcc_lo
	s_delay_alu instid0(VALU_DEP_3)
	v_add_co_u32 v21, vcc_lo, v3, v2
	v_lshlrev_b64_e32 v[2:3], 2, v[6:7]
	s_wait_alu 0xf1ff
	v_cndmask_b32_e64 v11, 0, 1, s0
	v_lshlrev_b64_e32 v[6:7], 2, v[8:9]
	s_wait_alu 0xfffd
	v_add_co_ci_u32_e64 v22, null, 0, v10, vcc_lo
	s_lshl_b64 s[8:9], s[22:23], 2
	v_cmp_ne_u32_e64 s0, 1, v11
	s_lshl_b64 s[16:17], s[36:37], 2
	s_lshl_b64 s[20:21], s[20:21], 2
	s_branch .LBB180_3
.LBB180_2:                              ;   in Loop: Header=BB180_3 Depth=1
	s_add_co_i32 s2, s2, 0x10000
	s_delay_alu instid0(SALU_CYCLE_1)
	s_cmp_lt_i32 s2, s31
	s_cbranch_scc0 .LBB180_10
.LBB180_3:                              ; =>This Loop Header: Depth=1
                                        ;     Child Loop BB180_5 Depth 2
	s_lshl_b64 s[22:23], s[2:3], 3
	v_dual_mov_b32 v38, 0 :: v_dual_mov_b32 v37, 0
	s_wait_alu 0xfffe
	s_add_nc_u64 s[24:25], s[12:13], s[22:23]
	s_add_nc_u64 s[26:27], s[18:19], s[22:23]
	s_clause 0x1
	global_load_b64 v[8:9], v1, s[24:25]
	global_load_b64 v[10:11], v1, s[26:27]
	v_dual_mov_b32 v36, 0 :: v_dual_mov_b32 v35, 0
	v_dual_mov_b32 v34, 0 :: v_dual_mov_b32 v33, 0
	;; [unrolled: 1-line block ×7, first 2 shown]
	s_and_b32 vcc_lo, exec_lo, s0
	s_wait_alu 0xfffe
	s_cbranch_vccnz .LBB180_6
; %bb.4:                                ;   in Loop: Header=BB180_3 Depth=1
	s_add_nc_u64 s[24:25], s[10:11], s[22:23]
	s_add_nc_u64 s[22:23], s[4:5], s[22:23]
	s_clause 0x1
	global_load_b64 v[12:13], v1, s[24:25]
	global_load_b64 v[14:15], v1, s[22:23]
	v_dual_mov_b32 v23, 0 :: v_dual_mov_b32 v24, 0
	v_dual_mov_b32 v25, 0 :: v_dual_mov_b32 v26, 0
	;; [unrolled: 1-line block ×8, first 2 shown]
	s_mov_b64 s[22:23], 0
	s_wait_loadcnt 0x1
	v_add_co_u32 v12, vcc_lo, v12, v0
	s_wait_alu 0xfffd
	v_add_co_ci_u32_e64 v13, null, v13, v20, vcc_lo
	s_wait_loadcnt 0x0
	v_add_co_u32 v14, vcc_lo, v14, v21
	s_wait_alu 0xfffd
	v_add_co_ci_u32_e64 v15, null, v15, v22, vcc_lo
.LBB180_5:                              ;   Parent Loop BB180_3 Depth=1
                                        ; =>  This Inner Loop Header: Depth=2
	flat_load_b32 v39, v[14:15]
	s_wait_alu 0xfffe
	s_add_nc_u64 s[22:23], s[22:23], 4
	v_add_co_u32 v14, vcc_lo, v14, 16
	s_wait_alu 0xfffe
	v_cmp_lt_i64_e64 s1, s[22:23], s[28:29]
	s_wait_alu 0xfffd
	v_add_co_ci_u32_e64 v15, null, 0, v15, vcc_lo
	s_and_b32 vcc_lo, exec_lo, s1
	s_wait_loadcnt_dscnt 0x0
	ds_store_b32 v16, v39
	flat_load_b32 v39, v[12:13]
	v_add_co_u32 v12, s1, v12, s6
	s_wait_alu 0xf1ff
	v_add_co_ci_u32_e64 v13, null, s7, v13, s1
	s_wait_loadcnt_dscnt 0x0
	ds_store_b32 v17, v39
	s_wait_dscnt 0x0
	s_barrier_signal -1
	s_barrier_wait -1
	global_inv scope:SCOPE_SE
	ds_load_b128 v[39:42], v19
	ds_load_2addr_b32 v[55:56], v18 offset1:16
	ds_load_2addr_b32 v[57:58], v18 offset0:32 offset1:48
	ds_load_b128 v[43:46], v19 offset:256
	ds_load_b128 v[47:50], v19 offset:512
	;; [unrolled: 1-line block ×3, first 2 shown]
	ds_load_2addr_b32 v[59:60], v18 offset0:64 offset1:80
	ds_load_2addr_b32 v[61:62], v18 offset0:96 offset1:112
	;; [unrolled: 1-line block ×6, first 2 shown]
	s_wait_loadcnt_dscnt 0x0
	s_barrier_signal -1
	s_barrier_wait -1
	global_inv scope:SCOPE_SE
	v_fmac_f32_e32 v37, v56, v39
	v_fmac_f32_e32 v38, v55, v39
	;; [unrolled: 1-line block ×15, first 2 shown]
	v_dual_fmac_f32 v24, v57, v51 :: v_dual_fmac_f32 v37, v60, v40
	v_fmac_f32_e32 v38, v59, v40
	v_fmac_f32_e32 v35, v62, v40
	v_fmac_f32_e32 v36, v61, v40
	v_fmac_f32_e32 v33, v60, v44
	v_fmac_f32_e32 v34, v59, v44
	v_fmac_f32_e32 v31, v62, v44
	v_fmac_f32_e32 v32, v61, v44
	v_fmac_f32_e32 v29, v60, v48
	v_fmac_f32_e32 v30, v59, v48
	v_fmac_f32_e32 v27, v62, v48
	v_fmac_f32_e32 v28, v61, v48
	v_fmac_f32_e32 v25, v60, v52
	v_fmac_f32_e32 v26, v59, v52
	v_fmac_f32_e32 v23, v62, v52
	v_dual_fmac_f32 v24, v61, v52 :: v_dual_fmac_f32 v37, v64, v41
	v_fmac_f32_e32 v38, v63, v41
	v_fmac_f32_e32 v35, v66, v41
	v_fmac_f32_e32 v36, v65, v41
	v_fmac_f32_e32 v33, v64, v45
	v_fmac_f32_e32 v34, v63, v45
	v_fmac_f32_e32 v31, v66, v45
	v_fmac_f32_e32 v32, v65, v45
	v_fmac_f32_e32 v29, v64, v49
	v_fmac_f32_e32 v30, v63, v49
	v_fmac_f32_e32 v27, v66, v49
	v_fmac_f32_e32 v28, v65, v49
	v_fmac_f32_e32 v25, v64, v53
	v_fmac_f32_e32 v26, v63, v53
	v_fmac_f32_e32 v23, v66, v53
	;; [unrolled: 15-line block ×3, first 2 shown]
	v_fmac_f32_e32 v24, v69, v54
	s_wait_alu 0xfffe
	s_cbranch_vccnz .LBB180_5
.LBB180_6:                              ;   in Loop: Header=BB180_3 Depth=1
	s_wait_loadcnt 0x0
	v_add_co_u32 v10, vcc_lo, v10, s8
	s_wait_alu 0xfffd
	v_add_co_ci_u32_e64 v11, null, s9, v11, vcc_lo
	s_and_not1_b32 vcc_lo, exec_lo, s34
	s_wait_alu 0xfffe
	s_cbranch_vccnz .LBB180_8
; %bb.7:                                ;   in Loop: Header=BB180_3 Depth=1
	v_add_co_u32 v14, vcc_lo, v10, v4
	s_wait_alu 0xfffd
	v_add_co_ci_u32_e64 v15, null, v11, v5, vcc_lo
	v_dual_mul_f32 v39, s30, v38 :: v_dual_mul_f32 v40, s30, v37
	s_delay_alu instid0(VALU_DEP_3) | instskip(SKIP_1) | instid1(VALU_DEP_3)
	v_add_co_u32 v12, vcc_lo, v14, v6
	s_wait_alu 0xfffd
	v_add_co_ci_u32_e64 v13, null, v15, v7, vcc_lo
	v_add_co_u32 v14, vcc_lo, v14, s20
	v_dual_mul_f32 v41, s30, v36 :: v_dual_mul_f32 v42, s30, v35
	s_wait_alu 0xfffd
	v_add_co_ci_u32_e64 v15, null, s21, v15, vcc_lo
	s_clause 0x3
	flat_store_b32 v[12:13], v39
	flat_store_b32 v[12:13], v40 offset:64
	flat_store_b32 v[12:13], v41 offset:128
	flat_store_b32 v[12:13], v42 offset:192
	v_add_co_u32 v12, vcc_lo, v14, v6
	s_wait_alu 0xfffd
	v_add_co_ci_u32_e64 v13, null, v15, v7, vcc_lo
	v_add_co_u32 v43, vcc_lo, v14, s20
	s_wait_alu 0xfffd
	v_add_co_ci_u32_e64 v44, null, s21, v15, vcc_lo
	v_dual_mul_f32 v39, s30, v34 :: v_dual_mul_f32 v40, s30, v33
	v_dual_mul_f32 v41, s30, v32 :: v_dual_mul_f32 v42, s30, v31
	v_add_co_u32 v14, vcc_lo, v43, v6
	v_dual_mul_f32 v45, s30, v30 :: v_dual_mul_f32 v46, s30, v29
	s_wait_alu 0xfffd
	v_add_co_ci_u32_e64 v15, null, v44, v7, vcc_lo
	v_dual_mul_f32 v47, s30, v28 :: v_dual_mul_f32 v48, s30, v27
	s_clause 0x7
	flat_store_b32 v[12:13], v39
	flat_store_b32 v[12:13], v40 offset:64
	flat_store_b32 v[12:13], v41 offset:128
	;; [unrolled: 1-line block ×3, first 2 shown]
	flat_store_b32 v[14:15], v45
	flat_store_b32 v[14:15], v46 offset:64
	flat_store_b32 v[14:15], v47 offset:128
	;; [unrolled: 1-line block ×3, first 2 shown]
	v_add_co_u32 v12, vcc_lo, v43, s20
	s_wait_alu 0xfffd
	v_add_co_ci_u32_e64 v13, null, s21, v44, vcc_lo
	v_dual_mul_f32 v14, s30, v26 :: v_dual_mul_f32 v15, s30, v25
	s_delay_alu instid0(VALU_DEP_3) | instskip(SKIP_1) | instid1(VALU_DEP_3)
	v_add_co_u32 v12, vcc_lo, v12, v6
	s_wait_alu 0xfffd
	v_add_co_ci_u32_e64 v13, null, v13, v7, vcc_lo
	v_dual_mul_f32 v39, s30, v24 :: v_dual_mul_f32 v40, s30, v23
	s_clause 0x3
	flat_store_b32 v[12:13], v14
	flat_store_b32 v[12:13], v15 offset:64
	flat_store_b32 v[12:13], v39 offset:128
	;; [unrolled: 1-line block ×3, first 2 shown]
	s_cbranch_execnz .LBB180_2
	s_branch .LBB180_9
.LBB180_8:                              ;   in Loop: Header=BB180_3 Depth=1
.LBB180_9:                              ;   in Loop: Header=BB180_3 Depth=1
	v_add_co_u32 v8, vcc_lo, v8, s14
	s_wait_alu 0xfffd
	v_add_co_ci_u32_e64 v9, null, s15, v9, vcc_lo
	s_delay_alu instid0(VALU_DEP_2) | instskip(SKIP_1) | instid1(VALU_DEP_2)
	v_add_co_u32 v12, vcc_lo, v8, v2
	s_wait_alu 0xfffd
	v_add_co_ci_u32_e64 v13, null, v9, v3, vcc_lo
	s_delay_alu instid0(VALU_DEP_2) | instskip(SKIP_1) | instid1(VALU_DEP_2)
	v_add_co_u32 v8, vcc_lo, v12, v6
	s_wait_alu 0xfffd
	v_add_co_ci_u32_e64 v9, null, v13, v7, vcc_lo
	v_add_co_u32 v15, vcc_lo, v10, v4
	s_wait_alu 0xfffd
	v_add_co_ci_u32_e64 v39, null, v11, v5, vcc_lo
	flat_load_b32 v14, v[8:9]
	v_add_co_u32 v10, vcc_lo, v15, v6
	s_wait_alu 0xfffd
	v_add_co_ci_u32_e64 v11, null, v39, v7, vcc_lo
	v_add_co_u32 v12, vcc_lo, v12, s16
	s_wait_alu 0xfffd
	v_add_co_ci_u32_e64 v13, null, s17, v13, vcc_lo
	s_wait_loadcnt_dscnt 0x0
	v_mul_f32_e32 v14, s33, v14
	s_delay_alu instid0(VALU_DEP_1) | instskip(SKIP_4) | instid1(VALU_DEP_1)
	v_fmac_f32_e32 v14, s30, v38
	flat_store_b32 v[10:11], v14
	flat_load_b32 v14, v[8:9] offset:64
	s_wait_loadcnt_dscnt 0x0
	v_mul_f32_e32 v14, s33, v14
	v_fmac_f32_e32 v14, s30, v37
	flat_store_b32 v[10:11], v14 offset:64
	flat_load_b32 v14, v[8:9] offset:128
	s_wait_loadcnt_dscnt 0x0
	v_mul_f32_e32 v14, s33, v14
	s_delay_alu instid0(VALU_DEP_1)
	v_fmac_f32_e32 v14, s30, v36
	flat_store_b32 v[10:11], v14 offset:128
	flat_load_b32 v8, v[8:9] offset:192
	s_wait_loadcnt_dscnt 0x0
	v_mul_f32_e32 v14, s33, v8
	v_add_co_u32 v8, vcc_lo, v12, v6
	s_wait_alu 0xfffd
	v_add_co_ci_u32_e64 v9, null, v13, v7, vcc_lo
	s_delay_alu instid0(VALU_DEP_3)
	v_fmac_f32_e32 v14, s30, v35
	flat_store_b32 v[10:11], v14 offset:192
	flat_load_b32 v10, v[8:9]
	v_add_co_u32 v14, vcc_lo, v15, s20
	s_wait_alu 0xfffd
	v_add_co_ci_u32_e64 v15, null, s21, v39, vcc_lo
	s_wait_loadcnt_dscnt 0x0
	v_mul_f32_e32 v35, s33, v10
	v_add_co_u32 v10, vcc_lo, v14, v6
	s_wait_alu 0xfffd
	v_add_co_ci_u32_e64 v11, null, v15, v7, vcc_lo
	s_delay_alu instid0(VALU_DEP_3)
	v_fmac_f32_e32 v35, s30, v34
	v_add_co_u32 v12, vcc_lo, v12, s16
	s_wait_alu 0xfffd
	v_add_co_ci_u32_e64 v13, null, s17, v13, vcc_lo
	flat_store_b32 v[10:11], v35
	flat_load_b32 v34, v[8:9] offset:64
	s_wait_loadcnt_dscnt 0x0
	v_mul_f32_e32 v34, s33, v34
	s_delay_alu instid0(VALU_DEP_1) | instskip(SKIP_4) | instid1(VALU_DEP_1)
	v_fmac_f32_e32 v34, s30, v33
	flat_store_b32 v[10:11], v34 offset:64
	flat_load_b32 v33, v[8:9] offset:128
	s_wait_loadcnt_dscnt 0x0
	v_mul_f32_e32 v33, s33, v33
	v_fmac_f32_e32 v33, s30, v32
	flat_store_b32 v[10:11], v33 offset:128
	flat_load_b32 v8, v[8:9] offset:192
	s_wait_loadcnt_dscnt 0x0
	v_mul_f32_e32 v32, s33, v8
	v_add_co_u32 v8, vcc_lo, v12, v6
	s_wait_alu 0xfffd
	v_add_co_ci_u32_e64 v9, null, v13, v7, vcc_lo
	s_delay_alu instid0(VALU_DEP_3)
	v_fmac_f32_e32 v32, s30, v31
	v_add_co_u32 v14, vcc_lo, v14, s20
	s_wait_alu 0xfffd
	v_add_co_ci_u32_e64 v15, null, s21, v15, vcc_lo
	flat_store_b32 v[10:11], v32 offset:192
	flat_load_b32 v10, v[8:9]
	s_wait_loadcnt_dscnt 0x0
	v_mul_f32_e32 v31, s33, v10
	v_add_co_u32 v10, vcc_lo, v14, v6
	s_wait_alu 0xfffd
	v_add_co_ci_u32_e64 v11, null, v15, v7, vcc_lo
	s_delay_alu instid0(VALU_DEP_3) | instskip(SKIP_4) | instid1(VALU_DEP_1)
	v_fmac_f32_e32 v31, s30, v30
	flat_store_b32 v[10:11], v31
	flat_load_b32 v30, v[8:9] offset:64
	s_wait_loadcnt_dscnt 0x0
	v_mul_f32_e32 v30, s33, v30
	v_fmac_f32_e32 v30, s30, v29
	flat_store_b32 v[10:11], v30 offset:64
	flat_load_b32 v29, v[8:9] offset:128
	s_wait_loadcnt_dscnt 0x0
	v_mul_f32_e32 v29, s33, v29
	s_delay_alu instid0(VALU_DEP_1)
	v_fmac_f32_e32 v29, s30, v28
	flat_store_b32 v[10:11], v29 offset:128
	flat_load_b32 v8, v[8:9] offset:192
	s_wait_loadcnt_dscnt 0x0
	v_mul_f32_e32 v28, s33, v8
	v_add_co_u32 v8, vcc_lo, v12, s16
	s_wait_alu 0xfffd
	v_add_co_ci_u32_e64 v9, null, s17, v13, vcc_lo
	s_delay_alu instid0(VALU_DEP_3) | instskip(NEXT) | instid1(VALU_DEP_3)
	v_fmac_f32_e32 v28, s30, v27
	v_add_co_u32 v8, vcc_lo, v8, v6
	s_wait_alu 0xfffd
	s_delay_alu instid0(VALU_DEP_3)
	v_add_co_ci_u32_e64 v9, null, v9, v7, vcc_lo
	flat_store_b32 v[10:11], v28 offset:192
	flat_load_b32 v10, v[8:9]
	s_wait_loadcnt_dscnt 0x0
	v_mul_f32_e32 v12, s33, v10
	v_add_co_u32 v10, vcc_lo, v14, s20
	s_wait_alu 0xfffd
	v_add_co_ci_u32_e64 v11, null, s21, v15, vcc_lo
	s_delay_alu instid0(VALU_DEP_3) | instskip(NEXT) | instid1(VALU_DEP_3)
	v_fmac_f32_e32 v12, s30, v26
	v_add_co_u32 v10, vcc_lo, v10, v6
	s_wait_alu 0xfffd
	s_delay_alu instid0(VALU_DEP_3) | instskip(SKIP_4) | instid1(VALU_DEP_1)
	v_add_co_ci_u32_e64 v11, null, v11, v7, vcc_lo
	flat_store_b32 v[10:11], v12
	flat_load_b32 v12, v[8:9] offset:64
	s_wait_loadcnt_dscnt 0x0
	v_mul_f32_e32 v12, s33, v12
	v_fmac_f32_e32 v12, s30, v25
	flat_store_b32 v[10:11], v12 offset:64
	flat_load_b32 v12, v[8:9] offset:128
	s_wait_loadcnt_dscnt 0x0
	v_mul_f32_e32 v12, s33, v12
	s_delay_alu instid0(VALU_DEP_1) | instskip(SKIP_4) | instid1(VALU_DEP_1)
	v_fmac_f32_e32 v12, s30, v24
	flat_store_b32 v[10:11], v12 offset:128
	flat_load_b32 v8, v[8:9] offset:192
	s_wait_loadcnt_dscnt 0x0
	v_mul_f32_e32 v8, s33, v8
	v_fmac_f32_e32 v8, s30, v23
	flat_store_b32 v[10:11], v8 offset:192
	s_branch .LBB180_2
.LBB180_10:
	s_endpgm
	.section	.rodata,"a",@progbits
	.p2align	6, 0x0
	.amdhsa_kernel _ZN12_GLOBAL__N_127rocblas_gemm_batched_kernelIfLi16ELi16ELi64ELi64ELi4ELi64ELi4ELi4ELi64ELc67ELc67EKPKfS3_KPfEEvlllT_PT11_llS8_llS6_PT12_llPT13_lli
		.amdhsa_group_segment_fixed_size 2048
		.amdhsa_private_segment_fixed_size 0
		.amdhsa_kernarg_size 140
		.amdhsa_user_sgpr_count 2
		.amdhsa_user_sgpr_dispatch_ptr 0
		.amdhsa_user_sgpr_queue_ptr 0
		.amdhsa_user_sgpr_kernarg_segment_ptr 1
		.amdhsa_user_sgpr_dispatch_id 0
		.amdhsa_user_sgpr_private_segment_size 0
		.amdhsa_wavefront_size32 1
		.amdhsa_uses_dynamic_stack 0
		.amdhsa_enable_private_segment 0
		.amdhsa_system_sgpr_workgroup_id_x 1
		.amdhsa_system_sgpr_workgroup_id_y 1
		.amdhsa_system_sgpr_workgroup_id_z 1
		.amdhsa_system_sgpr_workgroup_info 0
		.amdhsa_system_vgpr_workitem_id 1
		.amdhsa_next_free_vgpr 71
		.amdhsa_next_free_sgpr 38
		.amdhsa_reserve_vcc 1
		.amdhsa_float_round_mode_32 0
		.amdhsa_float_round_mode_16_64 0
		.amdhsa_float_denorm_mode_32 3
		.amdhsa_float_denorm_mode_16_64 3
		.amdhsa_fp16_overflow 0
		.amdhsa_workgroup_processor_mode 1
		.amdhsa_memory_ordered 1
		.amdhsa_forward_progress 1
		.amdhsa_inst_pref_size 22
		.amdhsa_round_robin_scheduling 0
		.amdhsa_exception_fp_ieee_invalid_op 0
		.amdhsa_exception_fp_denorm_src 0
		.amdhsa_exception_fp_ieee_div_zero 0
		.amdhsa_exception_fp_ieee_overflow 0
		.amdhsa_exception_fp_ieee_underflow 0
		.amdhsa_exception_fp_ieee_inexact 0
		.amdhsa_exception_int_div_zero 0
	.end_amdhsa_kernel
	.section	.text._ZN12_GLOBAL__N_127rocblas_gemm_batched_kernelIfLi16ELi16ELi64ELi64ELi4ELi64ELi4ELi4ELi64ELc67ELc67EKPKfS3_KPfEEvlllT_PT11_llS8_llS6_PT12_llPT13_lli,"axG",@progbits,_ZN12_GLOBAL__N_127rocblas_gemm_batched_kernelIfLi16ELi16ELi64ELi64ELi4ELi64ELi4ELi4ELi64ELc67ELc67EKPKfS3_KPfEEvlllT_PT11_llS8_llS6_PT12_llPT13_lli,comdat
.Lfunc_end180:
	.size	_ZN12_GLOBAL__N_127rocblas_gemm_batched_kernelIfLi16ELi16ELi64ELi64ELi4ELi64ELi4ELi4ELi64ELc67ELc67EKPKfS3_KPfEEvlllT_PT11_llS8_llS6_PT12_llPT13_lli, .Lfunc_end180-_ZN12_GLOBAL__N_127rocblas_gemm_batched_kernelIfLi16ELi16ELi64ELi64ELi4ELi64ELi4ELi4ELi64ELc67ELc67EKPKfS3_KPfEEvlllT_PT11_llS8_llS6_PT12_llPT13_lli
                                        ; -- End function
	.set _ZN12_GLOBAL__N_127rocblas_gemm_batched_kernelIfLi16ELi16ELi64ELi64ELi4ELi64ELi4ELi4ELi64ELc67ELc67EKPKfS3_KPfEEvlllT_PT11_llS8_llS6_PT12_llPT13_lli.num_vgpr, 71
	.set _ZN12_GLOBAL__N_127rocblas_gemm_batched_kernelIfLi16ELi16ELi64ELi64ELi4ELi64ELi4ELi4ELi64ELc67ELc67EKPKfS3_KPfEEvlllT_PT11_llS8_llS6_PT12_llPT13_lli.num_agpr, 0
	.set _ZN12_GLOBAL__N_127rocblas_gemm_batched_kernelIfLi16ELi16ELi64ELi64ELi4ELi64ELi4ELi4ELi64ELc67ELc67EKPKfS3_KPfEEvlllT_PT11_llS8_llS6_PT12_llPT13_lli.numbered_sgpr, 38
	.set _ZN12_GLOBAL__N_127rocblas_gemm_batched_kernelIfLi16ELi16ELi64ELi64ELi4ELi64ELi4ELi4ELi64ELc67ELc67EKPKfS3_KPfEEvlllT_PT11_llS8_llS6_PT12_llPT13_lli.num_named_barrier, 0
	.set _ZN12_GLOBAL__N_127rocblas_gemm_batched_kernelIfLi16ELi16ELi64ELi64ELi4ELi64ELi4ELi4ELi64ELc67ELc67EKPKfS3_KPfEEvlllT_PT11_llS8_llS6_PT12_llPT13_lli.private_seg_size, 0
	.set _ZN12_GLOBAL__N_127rocblas_gemm_batched_kernelIfLi16ELi16ELi64ELi64ELi4ELi64ELi4ELi4ELi64ELc67ELc67EKPKfS3_KPfEEvlllT_PT11_llS8_llS6_PT12_llPT13_lli.uses_vcc, 1
	.set _ZN12_GLOBAL__N_127rocblas_gemm_batched_kernelIfLi16ELi16ELi64ELi64ELi4ELi64ELi4ELi4ELi64ELc67ELc67EKPKfS3_KPfEEvlllT_PT11_llS8_llS6_PT12_llPT13_lli.uses_flat_scratch, 1
	.set _ZN12_GLOBAL__N_127rocblas_gemm_batched_kernelIfLi16ELi16ELi64ELi64ELi4ELi64ELi4ELi4ELi64ELc67ELc67EKPKfS3_KPfEEvlllT_PT11_llS8_llS6_PT12_llPT13_lli.has_dyn_sized_stack, 0
	.set _ZN12_GLOBAL__N_127rocblas_gemm_batched_kernelIfLi16ELi16ELi64ELi64ELi4ELi64ELi4ELi4ELi64ELc67ELc67EKPKfS3_KPfEEvlllT_PT11_llS8_llS6_PT12_llPT13_lli.has_recursion, 0
	.set _ZN12_GLOBAL__N_127rocblas_gemm_batched_kernelIfLi16ELi16ELi64ELi64ELi4ELi64ELi4ELi4ELi64ELc67ELc67EKPKfS3_KPfEEvlllT_PT11_llS8_llS6_PT12_llPT13_lli.has_indirect_call, 0
	.section	.AMDGPU.csdata,"",@progbits
; Kernel info:
; codeLenInByte = 2796
; TotalNumSgprs: 40
; NumVgprs: 71
; ScratchSize: 0
; MemoryBound: 0
; FloatMode: 240
; IeeeMode: 1
; LDSByteSize: 2048 bytes/workgroup (compile time only)
; SGPRBlocks: 0
; VGPRBlocks: 8
; NumSGPRsForWavesPerEU: 40
; NumVGPRsForWavesPerEU: 71
; Occupancy: 16
; WaveLimiterHint : 1
; COMPUTE_PGM_RSRC2:SCRATCH_EN: 0
; COMPUTE_PGM_RSRC2:USER_SGPR: 2
; COMPUTE_PGM_RSRC2:TRAP_HANDLER: 0
; COMPUTE_PGM_RSRC2:TGID_X_EN: 1
; COMPUTE_PGM_RSRC2:TGID_Y_EN: 1
; COMPUTE_PGM_RSRC2:TGID_Z_EN: 1
; COMPUTE_PGM_RSRC2:TIDIG_COMP_CNT: 1
	.section	.text._ZN12_GLOBAL__N_127rocblas_gemm_batched_kernelIfLi16ELi16ELi64ELi64ELi4ELi64ELi4ELi4ELi64ELc67ELc78EKPKfS3_KPfEEvlllT_PT11_llS8_llS6_PT12_llPT13_lli,"axG",@progbits,_ZN12_GLOBAL__N_127rocblas_gemm_batched_kernelIfLi16ELi16ELi64ELi64ELi4ELi64ELi4ELi4ELi64ELc67ELc78EKPKfS3_KPfEEvlllT_PT11_llS8_llS6_PT12_llPT13_lli,comdat
	.globl	_ZN12_GLOBAL__N_127rocblas_gemm_batched_kernelIfLi16ELi16ELi64ELi64ELi4ELi64ELi4ELi4ELi64ELc67ELc78EKPKfS3_KPfEEvlllT_PT11_llS8_llS6_PT12_llPT13_lli ; -- Begin function _ZN12_GLOBAL__N_127rocblas_gemm_batched_kernelIfLi16ELi16ELi64ELi64ELi4ELi64ELi4ELi4ELi64ELc67ELc78EKPKfS3_KPfEEvlllT_PT11_llS8_llS6_PT12_llPT13_lli
	.p2align	8
	.type	_ZN12_GLOBAL__N_127rocblas_gemm_batched_kernelIfLi16ELi16ELi64ELi64ELi4ELi64ELi4ELi4ELi64ELc67ELc78EKPKfS3_KPfEEvlllT_PT11_llS8_llS6_PT12_llPT13_lli,@function
_ZN12_GLOBAL__N_127rocblas_gemm_batched_kernelIfLi16ELi16ELi64ELi64ELi4ELi64ELi4ELi4ELi64ELc67ELc78EKPKfS3_KPfEEvlllT_PT11_llS8_llS6_PT12_llPT13_lli: ; @_ZN12_GLOBAL__N_127rocblas_gemm_batched_kernelIfLi16ELi16ELi64ELi64ELi4ELi64ELi4ELi4ELi64ELc67ELc78EKPKfS3_KPfEEvlllT_PT11_llS8_llS6_PT12_llPT13_lli
; %bb.0:
	s_load_b32 s31, s[0:1], 0x88
	s_lshr_b32 s2, ttmp7, 16
	s_wait_kmcnt 0x0
	s_cmp_ge_i32 s2, s31
	s_cbranch_scc1 .LBB181_10
; %bb.1:
	v_bfe_u32 v1, v0, 10, 10
	s_clause 0x1
	s_load_b96 s[28:30], s[0:1], 0x10
	s_load_b256 s[4:11], s[0:1], 0x20
	v_and_b32_e32 v10, 0x3ff, v0
	s_clause 0x3
	s_load_b128 s[24:27], s[0:1], 0x40
	s_load_b32 s33, s[0:1], 0x50
	s_load_b128 s[20:23], s[0:1], 0x78
	s_load_b256 s[12:19], s[0:1], 0x58
	v_lshlrev_b32_e32 v6, 4, v1
	v_lshlrev_b32_e32 v0, 2, v0
	v_mov_b32_e32 v14, 0
	s_lshl_b32 s0, ttmp7, 6
	s_mov_b32 s34, ttmp9
	v_add_nc_u32_e32 v2, v6, v10
	v_and_b32_e32 v13, 12, v0
	s_and_b32 s3, s0, 0x3fffc0
	s_ashr_i32 s35, ttmp9, 31
	v_add_nc_u32_e32 v9, s3, v1
	v_and_b32_e32 v11, 63, v2
	v_lshrrev_b32_e32 v0, 2, v2
	v_lshrrev_b32_e32 v21, 6, v2
	v_add_nc_u32_e32 v18, 0x400, v6
	s_lshl_b64 s[0:1], s[34:35], 6
	v_lshlrev_b32_e32 v2, 2, v11
	v_lshl_or_b32 v3, v0, 4, v13
	v_add_nc_u32_e32 v8, s3, v0
	s_wait_kmcnt 0x0
	s_cmp_eq_f32 s33, 0
	v_mad_co_u64_u32 v[4:5], null, v9, s14, 0
	v_lshl_or_b32 v15, v21, 8, v2
	v_add_nc_u32_e32 v16, 0x400, v3
	v_mad_co_u64_u32 v[2:3], null, v9, s20, 0
	v_mad_co_u64_u32 v[0:1], null, s24, v8, 0
	s_cselect_b32 s24, -1, 0
	s_lshl_b64 s[34:35], s[14:15], 4
	s_mov_b32 s3, 0
	v_mad_co_u64_u32 v[6:7], null, v9, s21, v[3:4]
	v_mad_co_u64_u32 v[7:8], null, s25, v8, v[1:2]
	v_or_b32_e32 v3, s0, v11
	s_lshl_b64 s[20:21], s[20:21], 4
	s_delay_alu instid0(VALU_DEP_3) | instskip(NEXT) | instid1(VALU_DEP_3)
	v_mad_co_u64_u32 v[8:9], null, v9, s15, v[5:6]
	v_mov_b32_e32 v1, v7
	s_delay_alu instid0(VALU_DEP_3)
	v_mul_lo_u32 v7, s7, v3
	v_mad_co_u64_u32 v[11:12], null, s6, v3, 0
	s_mul_i32 s6, s6, s1
	v_lshlrev_b64_e32 v[0:1], 2, v[0:1]
	v_add_co_u32 v9, s0, s0, v10
	v_lshlrev_b32_e32 v17, 2, v10
	s_wait_alu 0xf1ff
	v_add_co_ci_u32_e64 v10, null, s1, 0, s0
	s_wait_alu 0xfffe
	v_add3_u32 v12, v12, s6, v7
	s_lshl_b64 s[0:1], s[26:27], 2
	v_mov_b32_e32 v3, v6
	s_wait_alu 0xfffe
	v_add_co_u32 v6, vcc_lo, v0, s0
	s_delay_alu instid0(VALU_DEP_1) | instskip(SKIP_1) | instid1(VALU_DEP_3)
	v_add_co_ci_u32_e64 v7, null, s1, v1, vcc_lo
	v_lshlrev_b64_e32 v[0:1], 2, v[11:12]
	v_add_co_u32 v19, vcc_lo, v6, v13
	s_lshl_b64 s[0:1], s[8:9], 2
	s_wait_alu 0xfffd
	v_add_co_ci_u32_e64 v20, null, 0, v7, vcc_lo
	s_wait_alu 0xfffe
	v_add_co_u32 v0, vcc_lo, v0, s0
	v_cmp_gt_i64_e64 s0, s[28:29], 0
	v_dual_mov_b32 v5, v8 :: v_dual_lshlrev_b32 v6, 2, v21
	s_wait_alu 0xfffd
	v_add_co_ci_u32_e64 v1, null, s1, v1, vcc_lo
	v_lshlrev_b64_e32 v[2:3], 2, v[2:3]
	s_wait_alu 0xf1ff
	v_cndmask_b32_e64 v7, 0, 1, s0
	v_add_co_u32 v21, vcc_lo, v0, v6
	s_wait_alu 0xfffd
	v_add_co_ci_u32_e64 v22, null, 0, v1, vcc_lo
	v_lshlrev_b64_e32 v[0:1], 2, v[4:5]
	v_lshlrev_b64_e32 v[4:5], 2, v[9:10]
	v_cmp_ne_u32_e64 s0, 1, v7
	s_lshl_b64 s[6:7], s[22:23], 2
	s_lshl_b64 s[8:9], s[20:21], 2
	;; [unrolled: 1-line block ×4, first 2 shown]
	s_branch .LBB181_3
.LBB181_2:                              ;   in Loop: Header=BB181_3 Depth=1
	s_add_co_i32 s2, s2, 0x10000
	s_wait_alu 0xfffe
	s_cmp_lt_i32 s2, s31
	s_cbranch_scc0 .LBB181_10
.LBB181_3:                              ; =>This Loop Header: Depth=1
                                        ;     Child Loop BB181_5 Depth 2
	s_lshl_b64 s[20:21], s[2:3], 3
	v_dual_mov_b32 v38, 0 :: v_dual_mov_b32 v37, 0
	s_wait_alu 0xfffe
	s_add_nc_u64 s[22:23], s[12:13], s[20:21]
	s_add_nc_u64 s[26:27], s[18:19], s[20:21]
	s_clause 0x1
	global_load_b64 v[6:7], v14, s[22:23]
	global_load_b64 v[8:9], v14, s[26:27]
	v_dual_mov_b32 v36, 0 :: v_dual_mov_b32 v35, 0
	v_dual_mov_b32 v34, 0 :: v_dual_mov_b32 v33, 0
	;; [unrolled: 1-line block ×7, first 2 shown]
	s_and_b32 vcc_lo, exec_lo, s0
	s_wait_alu 0xfffe
	s_cbranch_vccnz .LBB181_6
; %bb.4:                                ;   in Loop: Header=BB181_3 Depth=1
	s_add_nc_u64 s[22:23], s[10:11], s[20:21]
	s_add_nc_u64 s[20:21], s[4:5], s[20:21]
	s_clause 0x1
	global_load_b64 v[10:11], v14, s[22:23]
	global_load_b64 v[12:13], v14, s[20:21]
	v_dual_mov_b32 v23, 0 :: v_dual_mov_b32 v24, 0
	v_dual_mov_b32 v25, 0 :: v_dual_mov_b32 v26, 0
	;; [unrolled: 1-line block ×8, first 2 shown]
	s_mov_b64 s[20:21], 0
	s_wait_loadcnt 0x1
	v_add_co_u32 v10, vcc_lo, v10, v19
	s_wait_alu 0xfffd
	v_add_co_ci_u32_e64 v11, null, v11, v20, vcc_lo
	s_wait_loadcnt 0x0
	v_add_co_u32 v12, vcc_lo, v12, v21
	s_wait_alu 0xfffd
	v_add_co_ci_u32_e64 v13, null, v13, v22, vcc_lo
.LBB181_5:                              ;   Parent Loop BB181_3 Depth=1
                                        ; =>  This Inner Loop Header: Depth=2
	flat_load_b32 v39, v[12:13]
	s_wait_alu 0xfffe
	s_add_nc_u64 s[20:21], s[20:21], 4
	v_add_co_u32 v12, vcc_lo, v12, 16
	s_wait_alu 0xfffe
	v_cmp_lt_i64_e64 s1, s[20:21], s[28:29]
	s_wait_alu 0xfffd
	v_add_co_ci_u32_e64 v13, null, 0, v13, vcc_lo
	s_and_b32 vcc_lo, exec_lo, s1
	s_wait_loadcnt_dscnt 0x0
	ds_store_b32 v15, v39
	flat_load_b32 v39, v[10:11]
	v_add_co_u32 v10, s1, v10, 16
	s_wait_alu 0xf1ff
	v_add_co_ci_u32_e64 v11, null, 0, v11, s1
	s_wait_loadcnt_dscnt 0x0
	ds_store_b32 v16, v39
	s_wait_dscnt 0x0
	s_barrier_signal -1
	s_barrier_wait -1
	global_inv scope:SCOPE_SE
	ds_load_b128 v[39:42], v18
	ds_load_2addr_b32 v[55:56], v17 offset1:16
	ds_load_2addr_b32 v[57:58], v17 offset0:32 offset1:48
	ds_load_b128 v[43:46], v18 offset:256
	ds_load_b128 v[47:50], v18 offset:512
	;; [unrolled: 1-line block ×3, first 2 shown]
	ds_load_2addr_b32 v[59:60], v17 offset0:64 offset1:80
	ds_load_2addr_b32 v[61:62], v17 offset0:96 offset1:112
	;; [unrolled: 1-line block ×6, first 2 shown]
	s_wait_loadcnt_dscnt 0x0
	s_barrier_signal -1
	s_barrier_wait -1
	global_inv scope:SCOPE_SE
	v_fmac_f32_e32 v37, v56, v39
	v_fmac_f32_e32 v38, v55, v39
	;; [unrolled: 1-line block ×15, first 2 shown]
	v_dual_fmac_f32 v24, v57, v51 :: v_dual_fmac_f32 v37, v60, v40
	v_fmac_f32_e32 v38, v59, v40
	v_fmac_f32_e32 v35, v62, v40
	v_fmac_f32_e32 v36, v61, v40
	v_fmac_f32_e32 v33, v60, v44
	v_fmac_f32_e32 v34, v59, v44
	v_fmac_f32_e32 v31, v62, v44
	v_fmac_f32_e32 v32, v61, v44
	v_fmac_f32_e32 v29, v60, v48
	v_fmac_f32_e32 v30, v59, v48
	v_fmac_f32_e32 v27, v62, v48
	v_fmac_f32_e32 v28, v61, v48
	v_fmac_f32_e32 v25, v60, v52
	v_fmac_f32_e32 v26, v59, v52
	v_fmac_f32_e32 v23, v62, v52
	v_dual_fmac_f32 v24, v61, v52 :: v_dual_fmac_f32 v37, v64, v41
	v_fmac_f32_e32 v38, v63, v41
	v_fmac_f32_e32 v35, v66, v41
	v_fmac_f32_e32 v36, v65, v41
	v_fmac_f32_e32 v33, v64, v45
	v_fmac_f32_e32 v34, v63, v45
	v_fmac_f32_e32 v31, v66, v45
	v_fmac_f32_e32 v32, v65, v45
	v_fmac_f32_e32 v29, v64, v49
	v_fmac_f32_e32 v30, v63, v49
	v_fmac_f32_e32 v27, v66, v49
	v_fmac_f32_e32 v28, v65, v49
	v_fmac_f32_e32 v25, v64, v53
	v_fmac_f32_e32 v26, v63, v53
	v_fmac_f32_e32 v23, v66, v53
	;; [unrolled: 15-line block ×3, first 2 shown]
	v_fmac_f32_e32 v24, v69, v54
	s_wait_alu 0xfffe
	s_cbranch_vccnz .LBB181_5
.LBB181_6:                              ;   in Loop: Header=BB181_3 Depth=1
	s_wait_loadcnt 0x0
	v_add_co_u32 v8, vcc_lo, v8, s6
	s_wait_alu 0xfffd
	v_add_co_ci_u32_e64 v9, null, s7, v9, vcc_lo
	s_and_not1_b32 vcc_lo, exec_lo, s24
	s_wait_alu 0xfffe
	s_cbranch_vccnz .LBB181_8
; %bb.7:                                ;   in Loop: Header=BB181_3 Depth=1
	v_add_co_u32 v12, vcc_lo, v8, v2
	s_wait_alu 0xfffd
	v_add_co_ci_u32_e64 v13, null, v9, v3, vcc_lo
	v_dual_mul_f32 v39, s30, v38 :: v_dual_mul_f32 v40, s30, v37
	s_delay_alu instid0(VALU_DEP_3) | instskip(SKIP_1) | instid1(VALU_DEP_3)
	v_add_co_u32 v10, vcc_lo, v12, v4
	s_wait_alu 0xfffd
	v_add_co_ci_u32_e64 v11, null, v13, v5, vcc_lo
	v_add_co_u32 v12, vcc_lo, v12, s8
	v_dual_mul_f32 v41, s30, v36 :: v_dual_mul_f32 v42, s30, v35
	s_wait_alu 0xfffd
	v_add_co_ci_u32_e64 v13, null, s9, v13, vcc_lo
	s_clause 0x3
	flat_store_b32 v[10:11], v39
	flat_store_b32 v[10:11], v40 offset:64
	flat_store_b32 v[10:11], v41 offset:128
	;; [unrolled: 1-line block ×3, first 2 shown]
	v_add_co_u32 v10, vcc_lo, v12, v4
	s_wait_alu 0xfffd
	v_add_co_ci_u32_e64 v11, null, v13, v5, vcc_lo
	v_add_co_u32 v43, vcc_lo, v12, s8
	s_wait_alu 0xfffd
	v_add_co_ci_u32_e64 v44, null, s9, v13, vcc_lo
	v_dual_mul_f32 v39, s30, v34 :: v_dual_mul_f32 v40, s30, v33
	v_dual_mul_f32 v41, s30, v32 :: v_dual_mul_f32 v42, s30, v31
	v_add_co_u32 v12, vcc_lo, v43, v4
	v_dual_mul_f32 v45, s30, v30 :: v_dual_mul_f32 v46, s30, v29
	s_wait_alu 0xfffd
	v_add_co_ci_u32_e64 v13, null, v44, v5, vcc_lo
	v_dual_mul_f32 v47, s30, v28 :: v_dual_mul_f32 v48, s30, v27
	s_clause 0x7
	flat_store_b32 v[10:11], v39
	flat_store_b32 v[10:11], v40 offset:64
	flat_store_b32 v[10:11], v41 offset:128
	;; [unrolled: 1-line block ×3, first 2 shown]
	flat_store_b32 v[12:13], v45
	flat_store_b32 v[12:13], v46 offset:64
	flat_store_b32 v[12:13], v47 offset:128
	;; [unrolled: 1-line block ×3, first 2 shown]
	v_add_co_u32 v10, vcc_lo, v43, s8
	s_wait_alu 0xfffd
	v_add_co_ci_u32_e64 v11, null, s9, v44, vcc_lo
	v_dual_mul_f32 v12, s30, v26 :: v_dual_mul_f32 v13, s30, v25
	s_delay_alu instid0(VALU_DEP_3) | instskip(SKIP_1) | instid1(VALU_DEP_3)
	v_add_co_u32 v10, vcc_lo, v10, v4
	s_wait_alu 0xfffd
	v_add_co_ci_u32_e64 v11, null, v11, v5, vcc_lo
	v_dual_mul_f32 v39, s30, v24 :: v_dual_mul_f32 v40, s30, v23
	s_clause 0x3
	flat_store_b32 v[10:11], v12
	flat_store_b32 v[10:11], v13 offset:64
	flat_store_b32 v[10:11], v39 offset:128
	;; [unrolled: 1-line block ×3, first 2 shown]
	s_cbranch_execnz .LBB181_2
	s_branch .LBB181_9
.LBB181_8:                              ;   in Loop: Header=BB181_3 Depth=1
.LBB181_9:                              ;   in Loop: Header=BB181_3 Depth=1
	v_add_co_u32 v6, vcc_lo, v6, s14
	s_wait_alu 0xfffd
	v_add_co_ci_u32_e64 v7, null, s15, v7, vcc_lo
	s_delay_alu instid0(VALU_DEP_2) | instskip(SKIP_1) | instid1(VALU_DEP_2)
	v_add_co_u32 v10, vcc_lo, v6, v0
	s_wait_alu 0xfffd
	v_add_co_ci_u32_e64 v11, null, v7, v1, vcc_lo
	s_delay_alu instid0(VALU_DEP_2) | instskip(SKIP_1) | instid1(VALU_DEP_2)
	v_add_co_u32 v6, vcc_lo, v10, v4
	s_wait_alu 0xfffd
	v_add_co_ci_u32_e64 v7, null, v11, v5, vcc_lo
	v_add_co_u32 v13, vcc_lo, v8, v2
	s_wait_alu 0xfffd
	v_add_co_ci_u32_e64 v39, null, v9, v3, vcc_lo
	flat_load_b32 v12, v[6:7]
	v_add_co_u32 v8, vcc_lo, v13, v4
	s_wait_alu 0xfffd
	v_add_co_ci_u32_e64 v9, null, v39, v5, vcc_lo
	v_add_co_u32 v10, vcc_lo, v10, s16
	s_wait_alu 0xfffd
	v_add_co_ci_u32_e64 v11, null, s17, v11, vcc_lo
	s_wait_loadcnt_dscnt 0x0
	v_mul_f32_e32 v12, s33, v12
	s_delay_alu instid0(VALU_DEP_1) | instskip(SKIP_4) | instid1(VALU_DEP_1)
	v_fmac_f32_e32 v12, s30, v38
	flat_store_b32 v[8:9], v12
	flat_load_b32 v12, v[6:7] offset:64
	s_wait_loadcnt_dscnt 0x0
	v_mul_f32_e32 v12, s33, v12
	v_fmac_f32_e32 v12, s30, v37
	flat_store_b32 v[8:9], v12 offset:64
	flat_load_b32 v12, v[6:7] offset:128
	s_wait_loadcnt_dscnt 0x0
	v_mul_f32_e32 v12, s33, v12
	s_delay_alu instid0(VALU_DEP_1)
	v_fmac_f32_e32 v12, s30, v36
	flat_store_b32 v[8:9], v12 offset:128
	flat_load_b32 v6, v[6:7] offset:192
	s_wait_loadcnt_dscnt 0x0
	v_mul_f32_e32 v12, s33, v6
	v_add_co_u32 v6, vcc_lo, v10, v4
	s_wait_alu 0xfffd
	v_add_co_ci_u32_e64 v7, null, v11, v5, vcc_lo
	s_delay_alu instid0(VALU_DEP_3)
	v_fmac_f32_e32 v12, s30, v35
	flat_store_b32 v[8:9], v12 offset:192
	flat_load_b32 v8, v[6:7]
	v_add_co_u32 v12, vcc_lo, v13, s8
	s_wait_alu 0xfffd
	v_add_co_ci_u32_e64 v13, null, s9, v39, vcc_lo
	s_wait_loadcnt_dscnt 0x0
	v_mul_f32_e32 v35, s33, v8
	v_add_co_u32 v8, vcc_lo, v12, v4
	s_wait_alu 0xfffd
	v_add_co_ci_u32_e64 v9, null, v13, v5, vcc_lo
	s_delay_alu instid0(VALU_DEP_3)
	v_fmac_f32_e32 v35, s30, v34
	v_add_co_u32 v10, vcc_lo, v10, s16
	s_wait_alu 0xfffd
	v_add_co_ci_u32_e64 v11, null, s17, v11, vcc_lo
	flat_store_b32 v[8:9], v35
	flat_load_b32 v34, v[6:7] offset:64
	s_wait_loadcnt_dscnt 0x0
	v_mul_f32_e32 v34, s33, v34
	s_delay_alu instid0(VALU_DEP_1) | instskip(SKIP_4) | instid1(VALU_DEP_1)
	v_fmac_f32_e32 v34, s30, v33
	flat_store_b32 v[8:9], v34 offset:64
	flat_load_b32 v33, v[6:7] offset:128
	s_wait_loadcnt_dscnt 0x0
	v_mul_f32_e32 v33, s33, v33
	v_fmac_f32_e32 v33, s30, v32
	flat_store_b32 v[8:9], v33 offset:128
	flat_load_b32 v6, v[6:7] offset:192
	s_wait_loadcnt_dscnt 0x0
	v_mul_f32_e32 v32, s33, v6
	v_add_co_u32 v6, vcc_lo, v10, v4
	s_wait_alu 0xfffd
	v_add_co_ci_u32_e64 v7, null, v11, v5, vcc_lo
	s_delay_alu instid0(VALU_DEP_3)
	v_fmac_f32_e32 v32, s30, v31
	v_add_co_u32 v12, vcc_lo, v12, s8
	s_wait_alu 0xfffd
	v_add_co_ci_u32_e64 v13, null, s9, v13, vcc_lo
	flat_store_b32 v[8:9], v32 offset:192
	flat_load_b32 v8, v[6:7]
	s_wait_loadcnt_dscnt 0x0
	v_mul_f32_e32 v31, s33, v8
	v_add_co_u32 v8, vcc_lo, v12, v4
	s_wait_alu 0xfffd
	v_add_co_ci_u32_e64 v9, null, v13, v5, vcc_lo
	s_delay_alu instid0(VALU_DEP_3) | instskip(SKIP_4) | instid1(VALU_DEP_1)
	v_fmac_f32_e32 v31, s30, v30
	flat_store_b32 v[8:9], v31
	flat_load_b32 v30, v[6:7] offset:64
	s_wait_loadcnt_dscnt 0x0
	v_mul_f32_e32 v30, s33, v30
	v_fmac_f32_e32 v30, s30, v29
	flat_store_b32 v[8:9], v30 offset:64
	flat_load_b32 v29, v[6:7] offset:128
	s_wait_loadcnt_dscnt 0x0
	v_mul_f32_e32 v29, s33, v29
	s_delay_alu instid0(VALU_DEP_1)
	v_fmac_f32_e32 v29, s30, v28
	flat_store_b32 v[8:9], v29 offset:128
	flat_load_b32 v6, v[6:7] offset:192
	s_wait_loadcnt_dscnt 0x0
	v_mul_f32_e32 v28, s33, v6
	v_add_co_u32 v6, vcc_lo, v10, s16
	s_wait_alu 0xfffd
	v_add_co_ci_u32_e64 v7, null, s17, v11, vcc_lo
	s_delay_alu instid0(VALU_DEP_3) | instskip(NEXT) | instid1(VALU_DEP_3)
	v_fmac_f32_e32 v28, s30, v27
	v_add_co_u32 v6, vcc_lo, v6, v4
	s_wait_alu 0xfffd
	s_delay_alu instid0(VALU_DEP_3)
	v_add_co_ci_u32_e64 v7, null, v7, v5, vcc_lo
	flat_store_b32 v[8:9], v28 offset:192
	flat_load_b32 v8, v[6:7]
	s_wait_loadcnt_dscnt 0x0
	v_mul_f32_e32 v10, s33, v8
	v_add_co_u32 v8, vcc_lo, v12, s8
	s_wait_alu 0xfffd
	v_add_co_ci_u32_e64 v9, null, s9, v13, vcc_lo
	s_delay_alu instid0(VALU_DEP_3) | instskip(NEXT) | instid1(VALU_DEP_3)
	v_fmac_f32_e32 v10, s30, v26
	v_add_co_u32 v8, vcc_lo, v8, v4
	s_wait_alu 0xfffd
	s_delay_alu instid0(VALU_DEP_3) | instskip(SKIP_4) | instid1(VALU_DEP_1)
	v_add_co_ci_u32_e64 v9, null, v9, v5, vcc_lo
	flat_store_b32 v[8:9], v10
	flat_load_b32 v10, v[6:7] offset:64
	s_wait_loadcnt_dscnt 0x0
	v_mul_f32_e32 v10, s33, v10
	v_fmac_f32_e32 v10, s30, v25
	flat_store_b32 v[8:9], v10 offset:64
	flat_load_b32 v10, v[6:7] offset:128
	s_wait_loadcnt_dscnt 0x0
	v_mul_f32_e32 v10, s33, v10
	s_delay_alu instid0(VALU_DEP_1) | instskip(SKIP_4) | instid1(VALU_DEP_1)
	v_fmac_f32_e32 v10, s30, v24
	flat_store_b32 v[8:9], v10 offset:128
	flat_load_b32 v6, v[6:7] offset:192
	s_wait_loadcnt_dscnt 0x0
	v_mul_f32_e32 v6, s33, v6
	v_fmac_f32_e32 v6, s30, v23
	flat_store_b32 v[8:9], v6 offset:192
	s_branch .LBB181_2
.LBB181_10:
	s_endpgm
	.section	.rodata,"a",@progbits
	.p2align	6, 0x0
	.amdhsa_kernel _ZN12_GLOBAL__N_127rocblas_gemm_batched_kernelIfLi16ELi16ELi64ELi64ELi4ELi64ELi4ELi4ELi64ELc67ELc78EKPKfS3_KPfEEvlllT_PT11_llS8_llS6_PT12_llPT13_lli
		.amdhsa_group_segment_fixed_size 2048
		.amdhsa_private_segment_fixed_size 0
		.amdhsa_kernarg_size 140
		.amdhsa_user_sgpr_count 2
		.amdhsa_user_sgpr_dispatch_ptr 0
		.amdhsa_user_sgpr_queue_ptr 0
		.amdhsa_user_sgpr_kernarg_segment_ptr 1
		.amdhsa_user_sgpr_dispatch_id 0
		.amdhsa_user_sgpr_private_segment_size 0
		.amdhsa_wavefront_size32 1
		.amdhsa_uses_dynamic_stack 0
		.amdhsa_enable_private_segment 0
		.amdhsa_system_sgpr_workgroup_id_x 1
		.amdhsa_system_sgpr_workgroup_id_y 1
		.amdhsa_system_sgpr_workgroup_id_z 1
		.amdhsa_system_sgpr_workgroup_info 0
		.amdhsa_system_vgpr_workitem_id 1
		.amdhsa_next_free_vgpr 71
		.amdhsa_next_free_sgpr 36
		.amdhsa_reserve_vcc 1
		.amdhsa_float_round_mode_32 0
		.amdhsa_float_round_mode_16_64 0
		.amdhsa_float_denorm_mode_32 3
		.amdhsa_float_denorm_mode_16_64 3
		.amdhsa_fp16_overflow 0
		.amdhsa_workgroup_processor_mode 1
		.amdhsa_memory_ordered 1
		.amdhsa_forward_progress 1
		.amdhsa_inst_pref_size 22
		.amdhsa_round_robin_scheduling 0
		.amdhsa_exception_fp_ieee_invalid_op 0
		.amdhsa_exception_fp_denorm_src 0
		.amdhsa_exception_fp_ieee_div_zero 0
		.amdhsa_exception_fp_ieee_overflow 0
		.amdhsa_exception_fp_ieee_underflow 0
		.amdhsa_exception_fp_ieee_inexact 0
		.amdhsa_exception_int_div_zero 0
	.end_amdhsa_kernel
	.section	.text._ZN12_GLOBAL__N_127rocblas_gemm_batched_kernelIfLi16ELi16ELi64ELi64ELi4ELi64ELi4ELi4ELi64ELc67ELc78EKPKfS3_KPfEEvlllT_PT11_llS8_llS6_PT12_llPT13_lli,"axG",@progbits,_ZN12_GLOBAL__N_127rocblas_gemm_batched_kernelIfLi16ELi16ELi64ELi64ELi4ELi64ELi4ELi4ELi64ELc67ELc78EKPKfS3_KPfEEvlllT_PT11_llS8_llS6_PT12_llPT13_lli,comdat
.Lfunc_end181:
	.size	_ZN12_GLOBAL__N_127rocblas_gemm_batched_kernelIfLi16ELi16ELi64ELi64ELi4ELi64ELi4ELi4ELi64ELc67ELc78EKPKfS3_KPfEEvlllT_PT11_llS8_llS6_PT12_llPT13_lli, .Lfunc_end181-_ZN12_GLOBAL__N_127rocblas_gemm_batched_kernelIfLi16ELi16ELi64ELi64ELi4ELi64ELi4ELi4ELi64ELc67ELc78EKPKfS3_KPfEEvlllT_PT11_llS8_llS6_PT12_llPT13_lli
                                        ; -- End function
	.set _ZN12_GLOBAL__N_127rocblas_gemm_batched_kernelIfLi16ELi16ELi64ELi64ELi4ELi64ELi4ELi4ELi64ELc67ELc78EKPKfS3_KPfEEvlllT_PT11_llS8_llS6_PT12_llPT13_lli.num_vgpr, 71
	.set _ZN12_GLOBAL__N_127rocblas_gemm_batched_kernelIfLi16ELi16ELi64ELi64ELi4ELi64ELi4ELi4ELi64ELc67ELc78EKPKfS3_KPfEEvlllT_PT11_llS8_llS6_PT12_llPT13_lli.num_agpr, 0
	.set _ZN12_GLOBAL__N_127rocblas_gemm_batched_kernelIfLi16ELi16ELi64ELi64ELi4ELi64ELi4ELi4ELi64ELc67ELc78EKPKfS3_KPfEEvlllT_PT11_llS8_llS6_PT12_llPT13_lli.numbered_sgpr, 36
	.set _ZN12_GLOBAL__N_127rocblas_gemm_batched_kernelIfLi16ELi16ELi64ELi64ELi4ELi64ELi4ELi4ELi64ELc67ELc78EKPKfS3_KPfEEvlllT_PT11_llS8_llS6_PT12_llPT13_lli.num_named_barrier, 0
	.set _ZN12_GLOBAL__N_127rocblas_gemm_batched_kernelIfLi16ELi16ELi64ELi64ELi4ELi64ELi4ELi4ELi64ELc67ELc78EKPKfS3_KPfEEvlllT_PT11_llS8_llS6_PT12_llPT13_lli.private_seg_size, 0
	.set _ZN12_GLOBAL__N_127rocblas_gemm_batched_kernelIfLi16ELi16ELi64ELi64ELi4ELi64ELi4ELi4ELi64ELc67ELc78EKPKfS3_KPfEEvlllT_PT11_llS8_llS6_PT12_llPT13_lli.uses_vcc, 1
	.set _ZN12_GLOBAL__N_127rocblas_gemm_batched_kernelIfLi16ELi16ELi64ELi64ELi4ELi64ELi4ELi4ELi64ELc67ELc78EKPKfS3_KPfEEvlllT_PT11_llS8_llS6_PT12_llPT13_lli.uses_flat_scratch, 1
	.set _ZN12_GLOBAL__N_127rocblas_gemm_batched_kernelIfLi16ELi16ELi64ELi64ELi4ELi64ELi4ELi4ELi64ELc67ELc78EKPKfS3_KPfEEvlllT_PT11_llS8_llS6_PT12_llPT13_lli.has_dyn_sized_stack, 0
	.set _ZN12_GLOBAL__N_127rocblas_gemm_batched_kernelIfLi16ELi16ELi64ELi64ELi4ELi64ELi4ELi4ELi64ELc67ELc78EKPKfS3_KPfEEvlllT_PT11_llS8_llS6_PT12_llPT13_lli.has_recursion, 0
	.set _ZN12_GLOBAL__N_127rocblas_gemm_batched_kernelIfLi16ELi16ELi64ELi64ELi4ELi64ELi4ELi4ELi64ELc67ELc78EKPKfS3_KPfEEvlllT_PT11_llS8_llS6_PT12_llPT13_lli.has_indirect_call, 0
	.section	.AMDGPU.csdata,"",@progbits
; Kernel info:
; codeLenInByte = 2792
; TotalNumSgprs: 38
; NumVgprs: 71
; ScratchSize: 0
; MemoryBound: 0
; FloatMode: 240
; IeeeMode: 1
; LDSByteSize: 2048 bytes/workgroup (compile time only)
; SGPRBlocks: 0
; VGPRBlocks: 8
; NumSGPRsForWavesPerEU: 38
; NumVGPRsForWavesPerEU: 71
; Occupancy: 16
; WaveLimiterHint : 1
; COMPUTE_PGM_RSRC2:SCRATCH_EN: 0
; COMPUTE_PGM_RSRC2:USER_SGPR: 2
; COMPUTE_PGM_RSRC2:TRAP_HANDLER: 0
; COMPUTE_PGM_RSRC2:TGID_X_EN: 1
; COMPUTE_PGM_RSRC2:TGID_Y_EN: 1
; COMPUTE_PGM_RSRC2:TGID_Z_EN: 1
; COMPUTE_PGM_RSRC2:TIDIG_COMP_CNT: 1
	.section	.text._ZN12_GLOBAL__N_127rocblas_gemm_batched_kernelIfLi16ELi16ELi64ELi64ELi4ELi64ELi4ELi4ELi64ELc67ELc84EKPKfS3_KPfEEvlllT_PT11_llS8_llS6_PT12_llPT13_lli,"axG",@progbits,_ZN12_GLOBAL__N_127rocblas_gemm_batched_kernelIfLi16ELi16ELi64ELi64ELi4ELi64ELi4ELi4ELi64ELc67ELc84EKPKfS3_KPfEEvlllT_PT11_llS8_llS6_PT12_llPT13_lli,comdat
	.globl	_ZN12_GLOBAL__N_127rocblas_gemm_batched_kernelIfLi16ELi16ELi64ELi64ELi4ELi64ELi4ELi4ELi64ELc67ELc84EKPKfS3_KPfEEvlllT_PT11_llS8_llS6_PT12_llPT13_lli ; -- Begin function _ZN12_GLOBAL__N_127rocblas_gemm_batched_kernelIfLi16ELi16ELi64ELi64ELi4ELi64ELi4ELi4ELi64ELc67ELc84EKPKfS3_KPfEEvlllT_PT11_llS8_llS6_PT12_llPT13_lli
	.p2align	8
	.type	_ZN12_GLOBAL__N_127rocblas_gemm_batched_kernelIfLi16ELi16ELi64ELi64ELi4ELi64ELi4ELi4ELi64ELc67ELc84EKPKfS3_KPfEEvlllT_PT11_llS8_llS6_PT12_llPT13_lli,@function
_ZN12_GLOBAL__N_127rocblas_gemm_batched_kernelIfLi16ELi16ELi64ELi64ELi4ELi64ELi4ELi4ELi64ELc67ELc84EKPKfS3_KPfEEvlllT_PT11_llS8_llS6_PT12_llPT13_lli: ; @_ZN12_GLOBAL__N_127rocblas_gemm_batched_kernelIfLi16ELi16ELi64ELi64ELi4ELi64ELi4ELi4ELi64ELc67ELc84EKPKfS3_KPfEEvlllT_PT11_llS8_llS6_PT12_llPT13_lli
; %bb.0:
	s_load_b32 s31, s[0:1], 0x88
	s_lshr_b32 s2, ttmp7, 16
	s_wait_kmcnt 0x0
	s_cmp_ge_i32 s2, s31
	s_cbranch_scc1 .LBB182_10
; %bb.1:
	s_clause 0x5
	s_load_b96 s[28:30], s[0:1], 0x10
	s_load_b256 s[4:11], s[0:1], 0x20
	s_load_b128 s[20:23], s[0:1], 0x78
	s_load_b128 s[24:27], s[0:1], 0x40
	s_load_b32 s33, s[0:1], 0x50
	s_load_b256 s[12:19], s[0:1], 0x58
	v_bfe_u32 v2, v0, 10, 10
	v_dual_mov_b32 v1, 0 :: v_dual_and_b32 v8, 0x3ff, v0
	s_lshl_b32 s0, ttmp7, 6
	v_and_b32_e32 v12, 3, v0
	s_delay_alu instid0(VALU_DEP_3)
	v_lshlrev_b32_e32 v3, 4, v2
	s_and_b32 s36, s0, 0x3fffc0
	s_mov_b32 s34, ttmp9
	v_add_nc_u32_e32 v14, s36, v2
	v_lshlrev_b32_e32 v5, 2, v12
	v_add_nc_u32_e32 v4, v3, v8
	v_add_nc_u32_e32 v19, 0x400, v3
	s_ashr_i32 s35, ttmp9, 31
	v_lshlrev_b32_e32 v18, 2, v8
	s_lshl_b64 s[0:1], s[34:35], 6
	v_lshrrev_b32_e32 v15, 6, v4
	v_lshrrev_b32_e32 v0, 2, v4
	v_add_co_u32 v8, s35, s0, v8
	s_wait_kmcnt 0x0
	v_mad_co_u64_u32 v[6:7], null, v14, s14, 0
	v_and_b32_e32 v13, 63, v4
	v_lshl_or_b32 v2, v0, 4, v5
	s_cmp_eq_f32 s33, 0
	v_add_co_ci_u32_e64 v9, null, s1, 0, s35
	s_delay_alu instid0(VALU_DEP_3) | instskip(NEXT) | instid1(VALU_DEP_3)
	v_lshlrev_b32_e32 v4, 2, v13
	v_add_nc_u32_e32 v17, 0x400, v2
	v_mad_co_u64_u32 v[2:3], null, s24, v12, v[0:1]
	s_cselect_b32 s34, -1, 0
	v_lshl_or_b32 v16, v15, 8, v4
	v_mad_co_u64_u32 v[4:5], null, v14, s20, 0
	s_mov_b32 s3, 0
	v_add_co_u32 v2, vcc_lo, v2, s36
	s_lshl_b64 s[36:37], s[14:15], 4
	v_mov_b32_e32 v0, v5
	s_delay_alu instid0(VALU_DEP_1)
	v_mad_co_u64_u32 v[10:11], null, v14, s21, v[0:1]
	v_mov_b32_e32 v0, v7
	v_or_b32_e32 v5, s0, v13
	v_mad_co_u64_u32 v[11:12], null, s25, v12, v[3:4]
	s_mul_i32 s0, s6, s1
	v_mad_co_u64_u32 v[12:13], null, v14, s15, v[0:1]
	v_mul_lo_u32 v0, s7, v5
	v_mad_co_u64_u32 v[13:14], null, s6, v5, 0
	v_add_co_ci_u32_e64 v3, null, 0, v11, vcc_lo
	v_mov_b32_e32 v5, v10
	v_mov_b32_e32 v7, v12
	s_lshl_b64 s[20:21], s[20:21], 4
	s_delay_alu instid0(VALU_DEP_3)
	v_lshlrev_b64_e32 v[2:3], 2, v[2:3]
	s_wait_alu 0xfffe
	v_add3_u32 v14, v14, s0, v0
	s_lshl_b64 s[0:1], s[26:27], 2
	v_lshlrev_b64_e32 v[4:5], 2, v[4:5]
	s_lshl_b64 s[6:7], s[24:25], 4
	s_lshl_b64 s[14:15], s[16:17], 2
	v_lshlrev_b64_e32 v[10:11], 2, v[13:14]
	s_wait_alu 0xfffe
	v_add_co_u32 v0, vcc_lo, s0, v2
	s_wait_alu 0xfffd
	v_add_co_ci_u32_e64 v20, null, s1, v3, vcc_lo
	s_lshl_b64 s[0:1], s[8:9], 2
	v_lshlrev_b32_e32 v2, 2, v15
	s_wait_alu 0xfffe
	v_add_co_u32 v3, vcc_lo, v10, s0
	v_cmp_gt_i64_e64 s0, s[28:29], 0
	s_wait_alu 0xfffd
	v_add_co_ci_u32_e64 v10, null, s1, v11, vcc_lo
	s_delay_alu instid0(VALU_DEP_3)
	v_add_co_u32 v21, vcc_lo, v3, v2
	v_lshlrev_b64_e32 v[2:3], 2, v[6:7]
	s_wait_alu 0xf1ff
	v_cndmask_b32_e64 v11, 0, 1, s0
	v_lshlrev_b64_e32 v[6:7], 2, v[8:9]
	s_wait_alu 0xfffd
	v_add_co_ci_u32_e64 v22, null, 0, v10, vcc_lo
	s_lshl_b64 s[8:9], s[22:23], 2
	v_cmp_ne_u32_e64 s0, 1, v11
	s_lshl_b64 s[16:17], s[36:37], 2
	s_lshl_b64 s[20:21], s[20:21], 2
	s_branch .LBB182_3
.LBB182_2:                              ;   in Loop: Header=BB182_3 Depth=1
	s_add_co_i32 s2, s2, 0x10000
	s_delay_alu instid0(SALU_CYCLE_1)
	s_cmp_lt_i32 s2, s31
	s_cbranch_scc0 .LBB182_10
.LBB182_3:                              ; =>This Loop Header: Depth=1
                                        ;     Child Loop BB182_5 Depth 2
	s_lshl_b64 s[22:23], s[2:3], 3
	v_dual_mov_b32 v38, 0 :: v_dual_mov_b32 v37, 0
	s_wait_alu 0xfffe
	s_add_nc_u64 s[24:25], s[12:13], s[22:23]
	s_add_nc_u64 s[26:27], s[18:19], s[22:23]
	s_clause 0x1
	global_load_b64 v[8:9], v1, s[24:25]
	global_load_b64 v[10:11], v1, s[26:27]
	v_dual_mov_b32 v36, 0 :: v_dual_mov_b32 v35, 0
	v_dual_mov_b32 v34, 0 :: v_dual_mov_b32 v33, 0
	;; [unrolled: 1-line block ×7, first 2 shown]
	s_and_b32 vcc_lo, exec_lo, s0
	s_wait_alu 0xfffe
	s_cbranch_vccnz .LBB182_6
; %bb.4:                                ;   in Loop: Header=BB182_3 Depth=1
	s_add_nc_u64 s[24:25], s[10:11], s[22:23]
	s_add_nc_u64 s[22:23], s[4:5], s[22:23]
	s_clause 0x1
	global_load_b64 v[12:13], v1, s[24:25]
	global_load_b64 v[14:15], v1, s[22:23]
	v_dual_mov_b32 v23, 0 :: v_dual_mov_b32 v24, 0
	v_dual_mov_b32 v25, 0 :: v_dual_mov_b32 v26, 0
	;; [unrolled: 1-line block ×8, first 2 shown]
	s_mov_b64 s[22:23], 0
	s_wait_loadcnt 0x1
	v_add_co_u32 v12, vcc_lo, v12, v0
	s_wait_alu 0xfffd
	v_add_co_ci_u32_e64 v13, null, v13, v20, vcc_lo
	s_wait_loadcnt 0x0
	v_add_co_u32 v14, vcc_lo, v14, v21
	s_wait_alu 0xfffd
	v_add_co_ci_u32_e64 v15, null, v15, v22, vcc_lo
.LBB182_5:                              ;   Parent Loop BB182_3 Depth=1
                                        ; =>  This Inner Loop Header: Depth=2
	flat_load_b32 v39, v[14:15]
	s_wait_alu 0xfffe
	s_add_nc_u64 s[22:23], s[22:23], 4
	v_add_co_u32 v14, vcc_lo, v14, 16
	s_wait_alu 0xfffe
	v_cmp_lt_i64_e64 s1, s[22:23], s[28:29]
	s_wait_alu 0xfffd
	v_add_co_ci_u32_e64 v15, null, 0, v15, vcc_lo
	s_and_b32 vcc_lo, exec_lo, s1
	s_wait_loadcnt_dscnt 0x0
	ds_store_b32 v16, v39
	flat_load_b32 v39, v[12:13]
	v_add_co_u32 v12, s1, v12, s6
	s_wait_alu 0xf1ff
	v_add_co_ci_u32_e64 v13, null, s7, v13, s1
	s_wait_loadcnt_dscnt 0x0
	ds_store_b32 v17, v39
	s_wait_dscnt 0x0
	s_barrier_signal -1
	s_barrier_wait -1
	global_inv scope:SCOPE_SE
	ds_load_b128 v[39:42], v19
	ds_load_2addr_b32 v[55:56], v18 offset1:16
	ds_load_2addr_b32 v[57:58], v18 offset0:32 offset1:48
	ds_load_b128 v[43:46], v19 offset:256
	ds_load_b128 v[47:50], v19 offset:512
	;; [unrolled: 1-line block ×3, first 2 shown]
	ds_load_2addr_b32 v[59:60], v18 offset0:64 offset1:80
	ds_load_2addr_b32 v[61:62], v18 offset0:96 offset1:112
	;; [unrolled: 1-line block ×6, first 2 shown]
	s_wait_loadcnt_dscnt 0x0
	s_barrier_signal -1
	s_barrier_wait -1
	global_inv scope:SCOPE_SE
	v_fmac_f32_e32 v37, v56, v39
	v_fmac_f32_e32 v38, v55, v39
	;; [unrolled: 1-line block ×15, first 2 shown]
	v_dual_fmac_f32 v24, v57, v51 :: v_dual_fmac_f32 v37, v60, v40
	v_fmac_f32_e32 v38, v59, v40
	v_fmac_f32_e32 v35, v62, v40
	v_fmac_f32_e32 v36, v61, v40
	v_fmac_f32_e32 v33, v60, v44
	v_fmac_f32_e32 v34, v59, v44
	v_fmac_f32_e32 v31, v62, v44
	v_fmac_f32_e32 v32, v61, v44
	v_fmac_f32_e32 v29, v60, v48
	v_fmac_f32_e32 v30, v59, v48
	v_fmac_f32_e32 v27, v62, v48
	v_fmac_f32_e32 v28, v61, v48
	v_fmac_f32_e32 v25, v60, v52
	v_fmac_f32_e32 v26, v59, v52
	v_fmac_f32_e32 v23, v62, v52
	v_dual_fmac_f32 v24, v61, v52 :: v_dual_fmac_f32 v37, v64, v41
	v_fmac_f32_e32 v38, v63, v41
	v_fmac_f32_e32 v35, v66, v41
	v_fmac_f32_e32 v36, v65, v41
	v_fmac_f32_e32 v33, v64, v45
	v_fmac_f32_e32 v34, v63, v45
	v_fmac_f32_e32 v31, v66, v45
	v_fmac_f32_e32 v32, v65, v45
	v_fmac_f32_e32 v29, v64, v49
	v_fmac_f32_e32 v30, v63, v49
	v_fmac_f32_e32 v27, v66, v49
	v_fmac_f32_e32 v28, v65, v49
	v_fmac_f32_e32 v25, v64, v53
	v_fmac_f32_e32 v26, v63, v53
	v_fmac_f32_e32 v23, v66, v53
	;; [unrolled: 15-line block ×3, first 2 shown]
	v_fmac_f32_e32 v24, v69, v54
	s_wait_alu 0xfffe
	s_cbranch_vccnz .LBB182_5
.LBB182_6:                              ;   in Loop: Header=BB182_3 Depth=1
	s_wait_loadcnt 0x0
	v_add_co_u32 v10, vcc_lo, v10, s8
	s_wait_alu 0xfffd
	v_add_co_ci_u32_e64 v11, null, s9, v11, vcc_lo
	s_and_not1_b32 vcc_lo, exec_lo, s34
	s_wait_alu 0xfffe
	s_cbranch_vccnz .LBB182_8
; %bb.7:                                ;   in Loop: Header=BB182_3 Depth=1
	v_add_co_u32 v14, vcc_lo, v10, v4
	s_wait_alu 0xfffd
	v_add_co_ci_u32_e64 v15, null, v11, v5, vcc_lo
	v_dual_mul_f32 v39, s30, v38 :: v_dual_mul_f32 v40, s30, v37
	s_delay_alu instid0(VALU_DEP_3) | instskip(SKIP_1) | instid1(VALU_DEP_3)
	v_add_co_u32 v12, vcc_lo, v14, v6
	s_wait_alu 0xfffd
	v_add_co_ci_u32_e64 v13, null, v15, v7, vcc_lo
	v_add_co_u32 v14, vcc_lo, v14, s20
	v_dual_mul_f32 v41, s30, v36 :: v_dual_mul_f32 v42, s30, v35
	s_wait_alu 0xfffd
	v_add_co_ci_u32_e64 v15, null, s21, v15, vcc_lo
	s_clause 0x3
	flat_store_b32 v[12:13], v39
	flat_store_b32 v[12:13], v40 offset:64
	flat_store_b32 v[12:13], v41 offset:128
	;; [unrolled: 1-line block ×3, first 2 shown]
	v_add_co_u32 v12, vcc_lo, v14, v6
	s_wait_alu 0xfffd
	v_add_co_ci_u32_e64 v13, null, v15, v7, vcc_lo
	v_add_co_u32 v43, vcc_lo, v14, s20
	s_wait_alu 0xfffd
	v_add_co_ci_u32_e64 v44, null, s21, v15, vcc_lo
	v_dual_mul_f32 v39, s30, v34 :: v_dual_mul_f32 v40, s30, v33
	v_dual_mul_f32 v41, s30, v32 :: v_dual_mul_f32 v42, s30, v31
	v_add_co_u32 v14, vcc_lo, v43, v6
	v_dual_mul_f32 v45, s30, v30 :: v_dual_mul_f32 v46, s30, v29
	s_wait_alu 0xfffd
	v_add_co_ci_u32_e64 v15, null, v44, v7, vcc_lo
	v_dual_mul_f32 v47, s30, v28 :: v_dual_mul_f32 v48, s30, v27
	s_clause 0x7
	flat_store_b32 v[12:13], v39
	flat_store_b32 v[12:13], v40 offset:64
	flat_store_b32 v[12:13], v41 offset:128
	;; [unrolled: 1-line block ×3, first 2 shown]
	flat_store_b32 v[14:15], v45
	flat_store_b32 v[14:15], v46 offset:64
	flat_store_b32 v[14:15], v47 offset:128
	;; [unrolled: 1-line block ×3, first 2 shown]
	v_add_co_u32 v12, vcc_lo, v43, s20
	s_wait_alu 0xfffd
	v_add_co_ci_u32_e64 v13, null, s21, v44, vcc_lo
	v_dual_mul_f32 v14, s30, v26 :: v_dual_mul_f32 v15, s30, v25
	s_delay_alu instid0(VALU_DEP_3) | instskip(SKIP_1) | instid1(VALU_DEP_3)
	v_add_co_u32 v12, vcc_lo, v12, v6
	s_wait_alu 0xfffd
	v_add_co_ci_u32_e64 v13, null, v13, v7, vcc_lo
	v_dual_mul_f32 v39, s30, v24 :: v_dual_mul_f32 v40, s30, v23
	s_clause 0x3
	flat_store_b32 v[12:13], v14
	flat_store_b32 v[12:13], v15 offset:64
	flat_store_b32 v[12:13], v39 offset:128
	flat_store_b32 v[12:13], v40 offset:192
	s_cbranch_execnz .LBB182_2
	s_branch .LBB182_9
.LBB182_8:                              ;   in Loop: Header=BB182_3 Depth=1
.LBB182_9:                              ;   in Loop: Header=BB182_3 Depth=1
	v_add_co_u32 v8, vcc_lo, v8, s14
	s_wait_alu 0xfffd
	v_add_co_ci_u32_e64 v9, null, s15, v9, vcc_lo
	s_delay_alu instid0(VALU_DEP_2) | instskip(SKIP_1) | instid1(VALU_DEP_2)
	v_add_co_u32 v12, vcc_lo, v8, v2
	s_wait_alu 0xfffd
	v_add_co_ci_u32_e64 v13, null, v9, v3, vcc_lo
	s_delay_alu instid0(VALU_DEP_2) | instskip(SKIP_1) | instid1(VALU_DEP_2)
	v_add_co_u32 v8, vcc_lo, v12, v6
	s_wait_alu 0xfffd
	v_add_co_ci_u32_e64 v9, null, v13, v7, vcc_lo
	v_add_co_u32 v15, vcc_lo, v10, v4
	s_wait_alu 0xfffd
	v_add_co_ci_u32_e64 v39, null, v11, v5, vcc_lo
	flat_load_b32 v14, v[8:9]
	v_add_co_u32 v10, vcc_lo, v15, v6
	s_wait_alu 0xfffd
	v_add_co_ci_u32_e64 v11, null, v39, v7, vcc_lo
	v_add_co_u32 v12, vcc_lo, v12, s16
	s_wait_alu 0xfffd
	v_add_co_ci_u32_e64 v13, null, s17, v13, vcc_lo
	s_wait_loadcnt_dscnt 0x0
	v_mul_f32_e32 v14, s33, v14
	s_delay_alu instid0(VALU_DEP_1) | instskip(SKIP_4) | instid1(VALU_DEP_1)
	v_fmac_f32_e32 v14, s30, v38
	flat_store_b32 v[10:11], v14
	flat_load_b32 v14, v[8:9] offset:64
	s_wait_loadcnt_dscnt 0x0
	v_mul_f32_e32 v14, s33, v14
	v_fmac_f32_e32 v14, s30, v37
	flat_store_b32 v[10:11], v14 offset:64
	flat_load_b32 v14, v[8:9] offset:128
	s_wait_loadcnt_dscnt 0x0
	v_mul_f32_e32 v14, s33, v14
	s_delay_alu instid0(VALU_DEP_1)
	v_fmac_f32_e32 v14, s30, v36
	flat_store_b32 v[10:11], v14 offset:128
	flat_load_b32 v8, v[8:9] offset:192
	s_wait_loadcnt_dscnt 0x0
	v_mul_f32_e32 v14, s33, v8
	v_add_co_u32 v8, vcc_lo, v12, v6
	s_wait_alu 0xfffd
	v_add_co_ci_u32_e64 v9, null, v13, v7, vcc_lo
	s_delay_alu instid0(VALU_DEP_3)
	v_fmac_f32_e32 v14, s30, v35
	flat_store_b32 v[10:11], v14 offset:192
	flat_load_b32 v10, v[8:9]
	v_add_co_u32 v14, vcc_lo, v15, s20
	s_wait_alu 0xfffd
	v_add_co_ci_u32_e64 v15, null, s21, v39, vcc_lo
	s_wait_loadcnt_dscnt 0x0
	v_mul_f32_e32 v35, s33, v10
	v_add_co_u32 v10, vcc_lo, v14, v6
	s_wait_alu 0xfffd
	v_add_co_ci_u32_e64 v11, null, v15, v7, vcc_lo
	s_delay_alu instid0(VALU_DEP_3)
	v_fmac_f32_e32 v35, s30, v34
	v_add_co_u32 v12, vcc_lo, v12, s16
	s_wait_alu 0xfffd
	v_add_co_ci_u32_e64 v13, null, s17, v13, vcc_lo
	flat_store_b32 v[10:11], v35
	flat_load_b32 v34, v[8:9] offset:64
	s_wait_loadcnt_dscnt 0x0
	v_mul_f32_e32 v34, s33, v34
	s_delay_alu instid0(VALU_DEP_1) | instskip(SKIP_4) | instid1(VALU_DEP_1)
	v_fmac_f32_e32 v34, s30, v33
	flat_store_b32 v[10:11], v34 offset:64
	flat_load_b32 v33, v[8:9] offset:128
	s_wait_loadcnt_dscnt 0x0
	v_mul_f32_e32 v33, s33, v33
	v_fmac_f32_e32 v33, s30, v32
	flat_store_b32 v[10:11], v33 offset:128
	flat_load_b32 v8, v[8:9] offset:192
	s_wait_loadcnt_dscnt 0x0
	v_mul_f32_e32 v32, s33, v8
	v_add_co_u32 v8, vcc_lo, v12, v6
	s_wait_alu 0xfffd
	v_add_co_ci_u32_e64 v9, null, v13, v7, vcc_lo
	s_delay_alu instid0(VALU_DEP_3)
	v_fmac_f32_e32 v32, s30, v31
	v_add_co_u32 v14, vcc_lo, v14, s20
	s_wait_alu 0xfffd
	v_add_co_ci_u32_e64 v15, null, s21, v15, vcc_lo
	flat_store_b32 v[10:11], v32 offset:192
	flat_load_b32 v10, v[8:9]
	s_wait_loadcnt_dscnt 0x0
	v_mul_f32_e32 v31, s33, v10
	v_add_co_u32 v10, vcc_lo, v14, v6
	s_wait_alu 0xfffd
	v_add_co_ci_u32_e64 v11, null, v15, v7, vcc_lo
	s_delay_alu instid0(VALU_DEP_3) | instskip(SKIP_4) | instid1(VALU_DEP_1)
	v_fmac_f32_e32 v31, s30, v30
	flat_store_b32 v[10:11], v31
	flat_load_b32 v30, v[8:9] offset:64
	s_wait_loadcnt_dscnt 0x0
	v_mul_f32_e32 v30, s33, v30
	v_fmac_f32_e32 v30, s30, v29
	flat_store_b32 v[10:11], v30 offset:64
	flat_load_b32 v29, v[8:9] offset:128
	s_wait_loadcnt_dscnt 0x0
	v_mul_f32_e32 v29, s33, v29
	s_delay_alu instid0(VALU_DEP_1)
	v_fmac_f32_e32 v29, s30, v28
	flat_store_b32 v[10:11], v29 offset:128
	flat_load_b32 v8, v[8:9] offset:192
	s_wait_loadcnt_dscnt 0x0
	v_mul_f32_e32 v28, s33, v8
	v_add_co_u32 v8, vcc_lo, v12, s16
	s_wait_alu 0xfffd
	v_add_co_ci_u32_e64 v9, null, s17, v13, vcc_lo
	s_delay_alu instid0(VALU_DEP_3) | instskip(NEXT) | instid1(VALU_DEP_3)
	v_fmac_f32_e32 v28, s30, v27
	v_add_co_u32 v8, vcc_lo, v8, v6
	s_wait_alu 0xfffd
	s_delay_alu instid0(VALU_DEP_3)
	v_add_co_ci_u32_e64 v9, null, v9, v7, vcc_lo
	flat_store_b32 v[10:11], v28 offset:192
	flat_load_b32 v10, v[8:9]
	s_wait_loadcnt_dscnt 0x0
	v_mul_f32_e32 v12, s33, v10
	v_add_co_u32 v10, vcc_lo, v14, s20
	s_wait_alu 0xfffd
	v_add_co_ci_u32_e64 v11, null, s21, v15, vcc_lo
	s_delay_alu instid0(VALU_DEP_3) | instskip(NEXT) | instid1(VALU_DEP_3)
	v_fmac_f32_e32 v12, s30, v26
	v_add_co_u32 v10, vcc_lo, v10, v6
	s_wait_alu 0xfffd
	s_delay_alu instid0(VALU_DEP_3) | instskip(SKIP_4) | instid1(VALU_DEP_1)
	v_add_co_ci_u32_e64 v11, null, v11, v7, vcc_lo
	flat_store_b32 v[10:11], v12
	flat_load_b32 v12, v[8:9] offset:64
	s_wait_loadcnt_dscnt 0x0
	v_mul_f32_e32 v12, s33, v12
	v_fmac_f32_e32 v12, s30, v25
	flat_store_b32 v[10:11], v12 offset:64
	flat_load_b32 v12, v[8:9] offset:128
	s_wait_loadcnt_dscnt 0x0
	v_mul_f32_e32 v12, s33, v12
	s_delay_alu instid0(VALU_DEP_1) | instskip(SKIP_4) | instid1(VALU_DEP_1)
	v_fmac_f32_e32 v12, s30, v24
	flat_store_b32 v[10:11], v12 offset:128
	flat_load_b32 v8, v[8:9] offset:192
	s_wait_loadcnt_dscnt 0x0
	v_mul_f32_e32 v8, s33, v8
	v_fmac_f32_e32 v8, s30, v23
	flat_store_b32 v[10:11], v8 offset:192
	s_branch .LBB182_2
.LBB182_10:
	s_endpgm
	.section	.rodata,"a",@progbits
	.p2align	6, 0x0
	.amdhsa_kernel _ZN12_GLOBAL__N_127rocblas_gemm_batched_kernelIfLi16ELi16ELi64ELi64ELi4ELi64ELi4ELi4ELi64ELc67ELc84EKPKfS3_KPfEEvlllT_PT11_llS8_llS6_PT12_llPT13_lli
		.amdhsa_group_segment_fixed_size 2048
		.amdhsa_private_segment_fixed_size 0
		.amdhsa_kernarg_size 140
		.amdhsa_user_sgpr_count 2
		.amdhsa_user_sgpr_dispatch_ptr 0
		.amdhsa_user_sgpr_queue_ptr 0
		.amdhsa_user_sgpr_kernarg_segment_ptr 1
		.amdhsa_user_sgpr_dispatch_id 0
		.amdhsa_user_sgpr_private_segment_size 0
		.amdhsa_wavefront_size32 1
		.amdhsa_uses_dynamic_stack 0
		.amdhsa_enable_private_segment 0
		.amdhsa_system_sgpr_workgroup_id_x 1
		.amdhsa_system_sgpr_workgroup_id_y 1
		.amdhsa_system_sgpr_workgroup_id_z 1
		.amdhsa_system_sgpr_workgroup_info 0
		.amdhsa_system_vgpr_workitem_id 1
		.amdhsa_next_free_vgpr 71
		.amdhsa_next_free_sgpr 38
		.amdhsa_reserve_vcc 1
		.amdhsa_float_round_mode_32 0
		.amdhsa_float_round_mode_16_64 0
		.amdhsa_float_denorm_mode_32 3
		.amdhsa_float_denorm_mode_16_64 3
		.amdhsa_fp16_overflow 0
		.amdhsa_workgroup_processor_mode 1
		.amdhsa_memory_ordered 1
		.amdhsa_forward_progress 1
		.amdhsa_inst_pref_size 22
		.amdhsa_round_robin_scheduling 0
		.amdhsa_exception_fp_ieee_invalid_op 0
		.amdhsa_exception_fp_denorm_src 0
		.amdhsa_exception_fp_ieee_div_zero 0
		.amdhsa_exception_fp_ieee_overflow 0
		.amdhsa_exception_fp_ieee_underflow 0
		.amdhsa_exception_fp_ieee_inexact 0
		.amdhsa_exception_int_div_zero 0
	.end_amdhsa_kernel
	.section	.text._ZN12_GLOBAL__N_127rocblas_gemm_batched_kernelIfLi16ELi16ELi64ELi64ELi4ELi64ELi4ELi4ELi64ELc67ELc84EKPKfS3_KPfEEvlllT_PT11_llS8_llS6_PT12_llPT13_lli,"axG",@progbits,_ZN12_GLOBAL__N_127rocblas_gemm_batched_kernelIfLi16ELi16ELi64ELi64ELi4ELi64ELi4ELi4ELi64ELc67ELc84EKPKfS3_KPfEEvlllT_PT11_llS8_llS6_PT12_llPT13_lli,comdat
.Lfunc_end182:
	.size	_ZN12_GLOBAL__N_127rocblas_gemm_batched_kernelIfLi16ELi16ELi64ELi64ELi4ELi64ELi4ELi4ELi64ELc67ELc84EKPKfS3_KPfEEvlllT_PT11_llS8_llS6_PT12_llPT13_lli, .Lfunc_end182-_ZN12_GLOBAL__N_127rocblas_gemm_batched_kernelIfLi16ELi16ELi64ELi64ELi4ELi64ELi4ELi4ELi64ELc67ELc84EKPKfS3_KPfEEvlllT_PT11_llS8_llS6_PT12_llPT13_lli
                                        ; -- End function
	.set _ZN12_GLOBAL__N_127rocblas_gemm_batched_kernelIfLi16ELi16ELi64ELi64ELi4ELi64ELi4ELi4ELi64ELc67ELc84EKPKfS3_KPfEEvlllT_PT11_llS8_llS6_PT12_llPT13_lli.num_vgpr, 71
	.set _ZN12_GLOBAL__N_127rocblas_gemm_batched_kernelIfLi16ELi16ELi64ELi64ELi4ELi64ELi4ELi4ELi64ELc67ELc84EKPKfS3_KPfEEvlllT_PT11_llS8_llS6_PT12_llPT13_lli.num_agpr, 0
	.set _ZN12_GLOBAL__N_127rocblas_gemm_batched_kernelIfLi16ELi16ELi64ELi64ELi4ELi64ELi4ELi4ELi64ELc67ELc84EKPKfS3_KPfEEvlllT_PT11_llS8_llS6_PT12_llPT13_lli.numbered_sgpr, 38
	.set _ZN12_GLOBAL__N_127rocblas_gemm_batched_kernelIfLi16ELi16ELi64ELi64ELi4ELi64ELi4ELi4ELi64ELc67ELc84EKPKfS3_KPfEEvlllT_PT11_llS8_llS6_PT12_llPT13_lli.num_named_barrier, 0
	.set _ZN12_GLOBAL__N_127rocblas_gemm_batched_kernelIfLi16ELi16ELi64ELi64ELi4ELi64ELi4ELi4ELi64ELc67ELc84EKPKfS3_KPfEEvlllT_PT11_llS8_llS6_PT12_llPT13_lli.private_seg_size, 0
	.set _ZN12_GLOBAL__N_127rocblas_gemm_batched_kernelIfLi16ELi16ELi64ELi64ELi4ELi64ELi4ELi4ELi64ELc67ELc84EKPKfS3_KPfEEvlllT_PT11_llS8_llS6_PT12_llPT13_lli.uses_vcc, 1
	.set _ZN12_GLOBAL__N_127rocblas_gemm_batched_kernelIfLi16ELi16ELi64ELi64ELi4ELi64ELi4ELi4ELi64ELc67ELc84EKPKfS3_KPfEEvlllT_PT11_llS8_llS6_PT12_llPT13_lli.uses_flat_scratch, 1
	.set _ZN12_GLOBAL__N_127rocblas_gemm_batched_kernelIfLi16ELi16ELi64ELi64ELi4ELi64ELi4ELi4ELi64ELc67ELc84EKPKfS3_KPfEEvlllT_PT11_llS8_llS6_PT12_llPT13_lli.has_dyn_sized_stack, 0
	.set _ZN12_GLOBAL__N_127rocblas_gemm_batched_kernelIfLi16ELi16ELi64ELi64ELi4ELi64ELi4ELi4ELi64ELc67ELc84EKPKfS3_KPfEEvlllT_PT11_llS8_llS6_PT12_llPT13_lli.has_recursion, 0
	.set _ZN12_GLOBAL__N_127rocblas_gemm_batched_kernelIfLi16ELi16ELi64ELi64ELi4ELi64ELi4ELi4ELi64ELc67ELc84EKPKfS3_KPfEEvlllT_PT11_llS8_llS6_PT12_llPT13_lli.has_indirect_call, 0
	.section	.AMDGPU.csdata,"",@progbits
; Kernel info:
; codeLenInByte = 2796
; TotalNumSgprs: 40
; NumVgprs: 71
; ScratchSize: 0
; MemoryBound: 0
; FloatMode: 240
; IeeeMode: 1
; LDSByteSize: 2048 bytes/workgroup (compile time only)
; SGPRBlocks: 0
; VGPRBlocks: 8
; NumSGPRsForWavesPerEU: 40
; NumVGPRsForWavesPerEU: 71
; Occupancy: 16
; WaveLimiterHint : 1
; COMPUTE_PGM_RSRC2:SCRATCH_EN: 0
; COMPUTE_PGM_RSRC2:USER_SGPR: 2
; COMPUTE_PGM_RSRC2:TRAP_HANDLER: 0
; COMPUTE_PGM_RSRC2:TGID_X_EN: 1
; COMPUTE_PGM_RSRC2:TGID_Y_EN: 1
; COMPUTE_PGM_RSRC2:TGID_Z_EN: 1
; COMPUTE_PGM_RSRC2:TIDIG_COMP_CNT: 1
	.section	.text._ZN12_GLOBAL__N_127rocblas_gemm_batched_kernelIfLi16ELi16ELi64ELi64ELi4ELi64ELi4ELi4ELi64ELc78ELc67EKPKfS3_KPfEEvlllT_PT11_llS8_llS6_PT12_llPT13_lli,"axG",@progbits,_ZN12_GLOBAL__N_127rocblas_gemm_batched_kernelIfLi16ELi16ELi64ELi64ELi4ELi64ELi4ELi4ELi64ELc78ELc67EKPKfS3_KPfEEvlllT_PT11_llS8_llS6_PT12_llPT13_lli,comdat
	.globl	_ZN12_GLOBAL__N_127rocblas_gemm_batched_kernelIfLi16ELi16ELi64ELi64ELi4ELi64ELi4ELi4ELi64ELc78ELc67EKPKfS3_KPfEEvlllT_PT11_llS8_llS6_PT12_llPT13_lli ; -- Begin function _ZN12_GLOBAL__N_127rocblas_gemm_batched_kernelIfLi16ELi16ELi64ELi64ELi4ELi64ELi4ELi4ELi64ELc78ELc67EKPKfS3_KPfEEvlllT_PT11_llS8_llS6_PT12_llPT13_lli
	.p2align	8
	.type	_ZN12_GLOBAL__N_127rocblas_gemm_batched_kernelIfLi16ELi16ELi64ELi64ELi4ELi64ELi4ELi4ELi64ELc78ELc67EKPKfS3_KPfEEvlllT_PT11_llS8_llS6_PT12_llPT13_lli,@function
_ZN12_GLOBAL__N_127rocblas_gemm_batched_kernelIfLi16ELi16ELi64ELi64ELi4ELi64ELi4ELi4ELi64ELc78ELc67EKPKfS3_KPfEEvlllT_PT11_llS8_llS6_PT12_llPT13_lli: ; @_ZN12_GLOBAL__N_127rocblas_gemm_batched_kernelIfLi16ELi16ELi64ELi64ELi4ELi64ELi4ELi4ELi64ELc78ELc67EKPKfS3_KPfEEvlllT_PT11_llS8_llS6_PT12_llPT13_lli
; %bb.0:
	s_load_b32 s31, s[0:1], 0x88
	s_lshr_b32 s2, ttmp7, 16
	s_wait_kmcnt 0x0
	s_cmp_ge_i32 s2, s31
	s_cbranch_scc1 .LBB183_10
; %bb.1:
	v_bfe_u32 v1, v0, 10, 10
	s_load_b128 s[20:23], s[0:1], 0x78
	v_and_b32_e32 v10, 0x3ff, v0
	s_clause 0x4
	s_load_b96 s[28:30], s[0:1], 0x10
	s_load_b256 s[4:11], s[0:1], 0x20
	s_load_b128 s[24:27], s[0:1], 0x40
	s_load_b32 s33, s[0:1], 0x50
	s_load_b256 s[12:19], s[0:1], 0x58
	v_lshlrev_b32_e32 v2, 4, v1
	s_lshl_b32 s0, ttmp7, 6
	v_and_b32_e32 v14, 3, v0
	s_and_b32 s38, s0, 0x3fffc0
	s_mov_b32 s34, ttmp9
	v_dual_mov_b32 v1, 0 :: v_dual_add_nc_u32 v22, s38, v1
	v_add_nc_u32_e32 v3, v2, v10
	v_lshlrev_b32_e32 v4, 2, v14
	v_add_nc_u32_e32 v19, 0x400, v2
	s_ashr_i32 s35, ttmp9, 31
	v_lshlrev_b32_e32 v18, 2, v10
	v_lshrrev_b32_e32 v0, 2, v3
	s_lshl_b64 s[0:1], s[34:35], 6
	s_mov_b32 s3, 0
	v_add_co_u32 v10, s35, s0, v10
	s_delay_alu instid0(VALU_DEP_2) | instskip(SKIP_3) | instid1(VALU_DEP_3)
	v_lshl_or_b32 v6, v0, 4, v4
	s_wait_kmcnt 0x0
	v_mad_co_u64_u32 v[4:5], null, v22, s20, 0
	v_mad_co_u64_u32 v[8:9], null, v22, s14, 0
	v_add_nc_u32_e32 v17, 0x400, v6
	s_cmp_eq_f32 s33, 0
	v_add_co_ci_u32_e64 v11, null, s1, 0, s35
	s_delay_alu instid0(VALU_DEP_4)
	v_mov_b32_e32 v2, v5
	v_and_b32_e32 v20, 63, v3
	v_lshrrev_b32_e32 v21, 6, v3
	s_cselect_b32 s34, -1, 0
	s_lshl_b64 s[36:37], s[20:21], 4
	s_lshl_b64 s[16:17], s[16:17], 2
	v_lshlrev_b32_e32 v3, 2, v20
	v_mad_co_u64_u32 v[12:13], null, s6, v21, s[0:1]
	s_lshl_b64 s[0:1], s[26:27], 2
	v_lshl_or_b32 v16, v21, 8, v3
	v_mad_co_u64_u32 v[2:3], null, v22, s21, v[2:3]
	s_lshl_b64 s[20:21], s[14:15], 4
	s_wait_alu 0xfffe
	s_lshl_b64 s[20:21], s[20:21], 2
	v_mov_b32_e32 v5, v2
	v_mad_co_u64_u32 v[6:7], null, s24, v14, v[0:1]
	v_mov_b32_e32 v2, v9
	s_delay_alu instid0(VALU_DEP_3) | instskip(NEXT) | instid1(VALU_DEP_2)
	v_lshlrev_b64_e32 v[4:5], 2, v[4:5]
	v_mad_co_u64_u32 v[2:3], null, v22, s15, v[2:3]
	s_delay_alu instid0(VALU_DEP_4) | instskip(SKIP_4) | instid1(VALU_DEP_2)
	v_mov_b32_e32 v0, v7
	v_add_co_u32 v6, vcc_lo, v6, s38
	s_lshl_b64 s[14:15], s[24:25], 4
	v_mad_co_u64_u32 v[14:15], null, s25, v14, v[0:1]
	v_dual_mov_b32 v0, v13 :: v_dual_mov_b32 v9, v2
	v_add_co_ci_u32_e64 v7, null, 0, v14, vcc_lo
	s_delay_alu instid0(VALU_DEP_2)
	v_mad_co_u64_u32 v[13:14], null, s7, v21, v[0:1]
	s_lshl_b64 s[6:7], s[6:7], 4
	v_lshlrev_b64_e32 v[2:3], 2, v[6:7]
	v_add_co_u32 v6, vcc_lo, v12, v20
	s_wait_alu 0xfffd
	v_add_co_ci_u32_e64 v7, null, 0, v13, vcc_lo
	s_delay_alu instid0(VALU_DEP_3)
	v_add_co_u32 v0, vcc_lo, s0, v2
	s_wait_alu 0xfffd
	v_add_co_ci_u32_e64 v20, null, s1, v3, vcc_lo
	s_lshl_b64 s[0:1], s[8:9], 2
	v_cmp_gt_i64_e64 s8, s[28:29], 0
	v_lshlrev_b64_e32 v[2:3], 2, v[6:7]
	s_delay_alu instid0(VALU_DEP_2) | instskip(SKIP_1) | instid1(VALU_DEP_2)
	v_cndmask_b32_e64 v6, 0, 1, s8
	s_wait_alu 0xfffe
	v_add_co_u32 v21, vcc_lo, s0, v2
	s_wait_alu 0xfffd
	s_delay_alu instid0(VALU_DEP_3)
	v_add_co_ci_u32_e64 v22, null, s1, v3, vcc_lo
	v_cmp_ne_u32_e64 s0, 1, v6
	v_lshlrev_b64_e32 v[2:3], 2, v[8:9]
	v_lshlrev_b64_e32 v[6:7], 2, v[10:11]
	s_lshl_b64 s[8:9], s[22:23], 2
	s_lshl_b64 s[22:23], s[36:37], 2
	s_branch .LBB183_3
.LBB183_2:                              ;   in Loop: Header=BB183_3 Depth=1
	s_add_co_i32 s2, s2, 0x10000
	s_delay_alu instid0(SALU_CYCLE_1)
	s_cmp_lt_i32 s2, s31
	s_cbranch_scc0 .LBB183_10
.LBB183_3:                              ; =>This Loop Header: Depth=1
                                        ;     Child Loop BB183_5 Depth 2
	s_lshl_b64 s[24:25], s[2:3], 3
	v_dual_mov_b32 v38, 0 :: v_dual_mov_b32 v37, 0
	s_wait_alu 0xfffe
	s_add_nc_u64 s[26:27], s[12:13], s[24:25]
	s_add_nc_u64 s[36:37], s[18:19], s[24:25]
	s_clause 0x1
	global_load_b64 v[8:9], v1, s[26:27]
	global_load_b64 v[10:11], v1, s[36:37]
	v_dual_mov_b32 v36, 0 :: v_dual_mov_b32 v35, 0
	v_dual_mov_b32 v34, 0 :: v_dual_mov_b32 v33, 0
	;; [unrolled: 1-line block ×7, first 2 shown]
	s_and_b32 vcc_lo, exec_lo, s0
	s_wait_alu 0xfffe
	s_cbranch_vccnz .LBB183_6
; %bb.4:                                ;   in Loop: Header=BB183_3 Depth=1
	s_add_nc_u64 s[26:27], s[10:11], s[24:25]
	s_add_nc_u64 s[24:25], s[4:5], s[24:25]
	s_clause 0x1
	global_load_b64 v[12:13], v1, s[26:27]
	global_load_b64 v[14:15], v1, s[24:25]
	v_dual_mov_b32 v23, 0 :: v_dual_mov_b32 v24, 0
	v_dual_mov_b32 v25, 0 :: v_dual_mov_b32 v26, 0
	;; [unrolled: 1-line block ×8, first 2 shown]
	s_mov_b64 s[24:25], 0
	s_wait_loadcnt 0x1
	v_add_co_u32 v12, vcc_lo, v12, v0
	s_wait_alu 0xfffd
	v_add_co_ci_u32_e64 v13, null, v13, v20, vcc_lo
	s_wait_loadcnt 0x0
	v_add_co_u32 v14, vcc_lo, v14, v21
	s_wait_alu 0xfffd
	v_add_co_ci_u32_e64 v15, null, v15, v22, vcc_lo
.LBB183_5:                              ;   Parent Loop BB183_3 Depth=1
                                        ; =>  This Inner Loop Header: Depth=2
	flat_load_b32 v39, v[14:15]
	s_wait_alu 0xfffe
	s_add_nc_u64 s[24:25], s[24:25], 4
	v_add_co_u32 v14, vcc_lo, v14, s6
	s_wait_alu 0xfffe
	v_cmp_lt_i64_e64 s1, s[24:25], s[28:29]
	s_wait_alu 0xfffd
	v_add_co_ci_u32_e64 v15, null, s7, v15, vcc_lo
	s_and_b32 vcc_lo, exec_lo, s1
	s_wait_loadcnt_dscnt 0x0
	ds_store_b32 v16, v39
	flat_load_b32 v39, v[12:13]
	v_add_co_u32 v12, s1, v12, s14
	s_wait_alu 0xf1ff
	v_add_co_ci_u32_e64 v13, null, s15, v13, s1
	s_wait_loadcnt_dscnt 0x0
	ds_store_b32 v17, v39
	s_wait_dscnt 0x0
	s_barrier_signal -1
	s_barrier_wait -1
	global_inv scope:SCOPE_SE
	ds_load_b128 v[39:42], v19
	ds_load_2addr_b32 v[55:56], v18 offset1:16
	ds_load_2addr_b32 v[57:58], v18 offset0:32 offset1:48
	ds_load_b128 v[43:46], v19 offset:256
	ds_load_b128 v[47:50], v19 offset:512
	;; [unrolled: 1-line block ×3, first 2 shown]
	ds_load_2addr_b32 v[59:60], v18 offset0:64 offset1:80
	ds_load_2addr_b32 v[61:62], v18 offset0:96 offset1:112
	;; [unrolled: 1-line block ×6, first 2 shown]
	s_wait_loadcnt_dscnt 0x0
	s_barrier_signal -1
	s_barrier_wait -1
	global_inv scope:SCOPE_SE
	v_fmac_f32_e32 v37, v56, v39
	v_fmac_f32_e32 v38, v55, v39
	;; [unrolled: 1-line block ×15, first 2 shown]
	v_dual_fmac_f32 v24, v57, v51 :: v_dual_fmac_f32 v37, v60, v40
	v_fmac_f32_e32 v38, v59, v40
	v_fmac_f32_e32 v35, v62, v40
	v_fmac_f32_e32 v36, v61, v40
	v_fmac_f32_e32 v33, v60, v44
	v_fmac_f32_e32 v34, v59, v44
	v_fmac_f32_e32 v31, v62, v44
	v_fmac_f32_e32 v32, v61, v44
	v_fmac_f32_e32 v29, v60, v48
	v_fmac_f32_e32 v30, v59, v48
	v_fmac_f32_e32 v27, v62, v48
	v_fmac_f32_e32 v28, v61, v48
	v_fmac_f32_e32 v25, v60, v52
	v_fmac_f32_e32 v26, v59, v52
	v_fmac_f32_e32 v23, v62, v52
	v_dual_fmac_f32 v24, v61, v52 :: v_dual_fmac_f32 v37, v64, v41
	v_fmac_f32_e32 v38, v63, v41
	v_fmac_f32_e32 v35, v66, v41
	v_fmac_f32_e32 v36, v65, v41
	v_fmac_f32_e32 v33, v64, v45
	v_fmac_f32_e32 v34, v63, v45
	v_fmac_f32_e32 v31, v66, v45
	v_fmac_f32_e32 v32, v65, v45
	v_fmac_f32_e32 v29, v64, v49
	v_fmac_f32_e32 v30, v63, v49
	v_fmac_f32_e32 v27, v66, v49
	v_fmac_f32_e32 v28, v65, v49
	v_fmac_f32_e32 v25, v64, v53
	v_fmac_f32_e32 v26, v63, v53
	v_fmac_f32_e32 v23, v66, v53
	;; [unrolled: 15-line block ×3, first 2 shown]
	v_fmac_f32_e32 v24, v69, v54
	s_wait_alu 0xfffe
	s_cbranch_vccnz .LBB183_5
.LBB183_6:                              ;   in Loop: Header=BB183_3 Depth=1
	s_wait_loadcnt 0x0
	v_add_co_u32 v10, vcc_lo, v10, s8
	s_wait_alu 0xfffd
	v_add_co_ci_u32_e64 v11, null, s9, v11, vcc_lo
	s_and_not1_b32 vcc_lo, exec_lo, s34
	s_wait_alu 0xfffe
	s_cbranch_vccnz .LBB183_8
; %bb.7:                                ;   in Loop: Header=BB183_3 Depth=1
	v_add_co_u32 v14, vcc_lo, v10, v4
	s_wait_alu 0xfffd
	v_add_co_ci_u32_e64 v15, null, v11, v5, vcc_lo
	v_dual_mul_f32 v39, s30, v38 :: v_dual_mul_f32 v40, s30, v37
	s_delay_alu instid0(VALU_DEP_3) | instskip(SKIP_1) | instid1(VALU_DEP_3)
	v_add_co_u32 v12, vcc_lo, v14, v6
	s_wait_alu 0xfffd
	v_add_co_ci_u32_e64 v13, null, v15, v7, vcc_lo
	v_add_co_u32 v14, vcc_lo, v14, s22
	v_dual_mul_f32 v41, s30, v36 :: v_dual_mul_f32 v42, s30, v35
	s_wait_alu 0xfffd
	v_add_co_ci_u32_e64 v15, null, s23, v15, vcc_lo
	s_clause 0x3
	flat_store_b32 v[12:13], v39
	flat_store_b32 v[12:13], v40 offset:64
	flat_store_b32 v[12:13], v41 offset:128
	;; [unrolled: 1-line block ×3, first 2 shown]
	v_add_co_u32 v12, vcc_lo, v14, v6
	s_wait_alu 0xfffd
	v_add_co_ci_u32_e64 v13, null, v15, v7, vcc_lo
	v_add_co_u32 v43, vcc_lo, v14, s22
	s_wait_alu 0xfffd
	v_add_co_ci_u32_e64 v44, null, s23, v15, vcc_lo
	v_dual_mul_f32 v39, s30, v34 :: v_dual_mul_f32 v40, s30, v33
	v_dual_mul_f32 v41, s30, v32 :: v_dual_mul_f32 v42, s30, v31
	v_add_co_u32 v14, vcc_lo, v43, v6
	v_dual_mul_f32 v45, s30, v30 :: v_dual_mul_f32 v46, s30, v29
	s_wait_alu 0xfffd
	v_add_co_ci_u32_e64 v15, null, v44, v7, vcc_lo
	v_dual_mul_f32 v47, s30, v28 :: v_dual_mul_f32 v48, s30, v27
	s_clause 0x7
	flat_store_b32 v[12:13], v39
	flat_store_b32 v[12:13], v40 offset:64
	flat_store_b32 v[12:13], v41 offset:128
	;; [unrolled: 1-line block ×3, first 2 shown]
	flat_store_b32 v[14:15], v45
	flat_store_b32 v[14:15], v46 offset:64
	flat_store_b32 v[14:15], v47 offset:128
	;; [unrolled: 1-line block ×3, first 2 shown]
	v_add_co_u32 v12, vcc_lo, v43, s22
	s_wait_alu 0xfffd
	v_add_co_ci_u32_e64 v13, null, s23, v44, vcc_lo
	v_dual_mul_f32 v14, s30, v26 :: v_dual_mul_f32 v15, s30, v25
	s_delay_alu instid0(VALU_DEP_3) | instskip(SKIP_1) | instid1(VALU_DEP_3)
	v_add_co_u32 v12, vcc_lo, v12, v6
	s_wait_alu 0xfffd
	v_add_co_ci_u32_e64 v13, null, v13, v7, vcc_lo
	v_dual_mul_f32 v39, s30, v24 :: v_dual_mul_f32 v40, s30, v23
	s_clause 0x3
	flat_store_b32 v[12:13], v14
	flat_store_b32 v[12:13], v15 offset:64
	flat_store_b32 v[12:13], v39 offset:128
	;; [unrolled: 1-line block ×3, first 2 shown]
	s_cbranch_execnz .LBB183_2
	s_branch .LBB183_9
.LBB183_8:                              ;   in Loop: Header=BB183_3 Depth=1
.LBB183_9:                              ;   in Loop: Header=BB183_3 Depth=1
	v_add_co_u32 v8, vcc_lo, v8, s16
	s_wait_alu 0xfffd
	v_add_co_ci_u32_e64 v9, null, s17, v9, vcc_lo
	s_delay_alu instid0(VALU_DEP_2) | instskip(SKIP_1) | instid1(VALU_DEP_2)
	v_add_co_u32 v12, vcc_lo, v8, v2
	s_wait_alu 0xfffd
	v_add_co_ci_u32_e64 v13, null, v9, v3, vcc_lo
	s_delay_alu instid0(VALU_DEP_2) | instskip(SKIP_1) | instid1(VALU_DEP_2)
	v_add_co_u32 v8, vcc_lo, v12, v6
	s_wait_alu 0xfffd
	v_add_co_ci_u32_e64 v9, null, v13, v7, vcc_lo
	v_add_co_u32 v15, vcc_lo, v10, v4
	s_wait_alu 0xfffd
	v_add_co_ci_u32_e64 v39, null, v11, v5, vcc_lo
	flat_load_b32 v14, v[8:9]
	v_add_co_u32 v10, vcc_lo, v15, v6
	s_wait_alu 0xfffd
	v_add_co_ci_u32_e64 v11, null, v39, v7, vcc_lo
	v_add_co_u32 v12, vcc_lo, v12, s20
	s_wait_alu 0xfffd
	v_add_co_ci_u32_e64 v13, null, s21, v13, vcc_lo
	s_wait_loadcnt_dscnt 0x0
	v_mul_f32_e32 v14, s33, v14
	s_delay_alu instid0(VALU_DEP_1) | instskip(SKIP_4) | instid1(VALU_DEP_1)
	v_fmac_f32_e32 v14, s30, v38
	flat_store_b32 v[10:11], v14
	flat_load_b32 v14, v[8:9] offset:64
	s_wait_loadcnt_dscnt 0x0
	v_mul_f32_e32 v14, s33, v14
	v_fmac_f32_e32 v14, s30, v37
	flat_store_b32 v[10:11], v14 offset:64
	flat_load_b32 v14, v[8:9] offset:128
	s_wait_loadcnt_dscnt 0x0
	v_mul_f32_e32 v14, s33, v14
	s_delay_alu instid0(VALU_DEP_1)
	v_fmac_f32_e32 v14, s30, v36
	flat_store_b32 v[10:11], v14 offset:128
	flat_load_b32 v8, v[8:9] offset:192
	s_wait_loadcnt_dscnt 0x0
	v_mul_f32_e32 v14, s33, v8
	v_add_co_u32 v8, vcc_lo, v12, v6
	s_wait_alu 0xfffd
	v_add_co_ci_u32_e64 v9, null, v13, v7, vcc_lo
	s_delay_alu instid0(VALU_DEP_3)
	v_fmac_f32_e32 v14, s30, v35
	flat_store_b32 v[10:11], v14 offset:192
	flat_load_b32 v10, v[8:9]
	v_add_co_u32 v14, vcc_lo, v15, s22
	s_wait_alu 0xfffd
	v_add_co_ci_u32_e64 v15, null, s23, v39, vcc_lo
	s_wait_loadcnt_dscnt 0x0
	v_mul_f32_e32 v35, s33, v10
	v_add_co_u32 v10, vcc_lo, v14, v6
	s_wait_alu 0xfffd
	v_add_co_ci_u32_e64 v11, null, v15, v7, vcc_lo
	s_delay_alu instid0(VALU_DEP_3)
	v_fmac_f32_e32 v35, s30, v34
	v_add_co_u32 v12, vcc_lo, v12, s20
	s_wait_alu 0xfffd
	v_add_co_ci_u32_e64 v13, null, s21, v13, vcc_lo
	flat_store_b32 v[10:11], v35
	flat_load_b32 v34, v[8:9] offset:64
	s_wait_loadcnt_dscnt 0x0
	v_mul_f32_e32 v34, s33, v34
	s_delay_alu instid0(VALU_DEP_1) | instskip(SKIP_4) | instid1(VALU_DEP_1)
	v_fmac_f32_e32 v34, s30, v33
	flat_store_b32 v[10:11], v34 offset:64
	flat_load_b32 v33, v[8:9] offset:128
	s_wait_loadcnt_dscnt 0x0
	v_mul_f32_e32 v33, s33, v33
	v_fmac_f32_e32 v33, s30, v32
	flat_store_b32 v[10:11], v33 offset:128
	flat_load_b32 v8, v[8:9] offset:192
	s_wait_loadcnt_dscnt 0x0
	v_mul_f32_e32 v32, s33, v8
	v_add_co_u32 v8, vcc_lo, v12, v6
	s_wait_alu 0xfffd
	v_add_co_ci_u32_e64 v9, null, v13, v7, vcc_lo
	s_delay_alu instid0(VALU_DEP_3)
	v_fmac_f32_e32 v32, s30, v31
	v_add_co_u32 v14, vcc_lo, v14, s22
	s_wait_alu 0xfffd
	v_add_co_ci_u32_e64 v15, null, s23, v15, vcc_lo
	flat_store_b32 v[10:11], v32 offset:192
	flat_load_b32 v10, v[8:9]
	s_wait_loadcnt_dscnt 0x0
	v_mul_f32_e32 v31, s33, v10
	v_add_co_u32 v10, vcc_lo, v14, v6
	s_wait_alu 0xfffd
	v_add_co_ci_u32_e64 v11, null, v15, v7, vcc_lo
	s_delay_alu instid0(VALU_DEP_3) | instskip(SKIP_4) | instid1(VALU_DEP_1)
	v_fmac_f32_e32 v31, s30, v30
	flat_store_b32 v[10:11], v31
	flat_load_b32 v30, v[8:9] offset:64
	s_wait_loadcnt_dscnt 0x0
	v_mul_f32_e32 v30, s33, v30
	v_fmac_f32_e32 v30, s30, v29
	flat_store_b32 v[10:11], v30 offset:64
	flat_load_b32 v29, v[8:9] offset:128
	s_wait_loadcnt_dscnt 0x0
	v_mul_f32_e32 v29, s33, v29
	s_delay_alu instid0(VALU_DEP_1)
	v_fmac_f32_e32 v29, s30, v28
	flat_store_b32 v[10:11], v29 offset:128
	flat_load_b32 v8, v[8:9] offset:192
	s_wait_loadcnt_dscnt 0x0
	v_mul_f32_e32 v28, s33, v8
	v_add_co_u32 v8, vcc_lo, v12, s20
	s_wait_alu 0xfffd
	v_add_co_ci_u32_e64 v9, null, s21, v13, vcc_lo
	s_delay_alu instid0(VALU_DEP_3) | instskip(NEXT) | instid1(VALU_DEP_3)
	v_fmac_f32_e32 v28, s30, v27
	v_add_co_u32 v8, vcc_lo, v8, v6
	s_wait_alu 0xfffd
	s_delay_alu instid0(VALU_DEP_3)
	v_add_co_ci_u32_e64 v9, null, v9, v7, vcc_lo
	flat_store_b32 v[10:11], v28 offset:192
	flat_load_b32 v10, v[8:9]
	s_wait_loadcnt_dscnt 0x0
	v_mul_f32_e32 v12, s33, v10
	v_add_co_u32 v10, vcc_lo, v14, s22
	s_wait_alu 0xfffd
	v_add_co_ci_u32_e64 v11, null, s23, v15, vcc_lo
	s_delay_alu instid0(VALU_DEP_3) | instskip(NEXT) | instid1(VALU_DEP_3)
	v_fmac_f32_e32 v12, s30, v26
	v_add_co_u32 v10, vcc_lo, v10, v6
	s_wait_alu 0xfffd
	s_delay_alu instid0(VALU_DEP_3) | instskip(SKIP_4) | instid1(VALU_DEP_1)
	v_add_co_ci_u32_e64 v11, null, v11, v7, vcc_lo
	flat_store_b32 v[10:11], v12
	flat_load_b32 v12, v[8:9] offset:64
	s_wait_loadcnt_dscnt 0x0
	v_mul_f32_e32 v12, s33, v12
	v_fmac_f32_e32 v12, s30, v25
	flat_store_b32 v[10:11], v12 offset:64
	flat_load_b32 v12, v[8:9] offset:128
	s_wait_loadcnt_dscnt 0x0
	v_mul_f32_e32 v12, s33, v12
	s_delay_alu instid0(VALU_DEP_1) | instskip(SKIP_4) | instid1(VALU_DEP_1)
	v_fmac_f32_e32 v12, s30, v24
	flat_store_b32 v[10:11], v12 offset:128
	flat_load_b32 v8, v[8:9] offset:192
	s_wait_loadcnt_dscnt 0x0
	v_mul_f32_e32 v8, s33, v8
	v_fmac_f32_e32 v8, s30, v23
	flat_store_b32 v[10:11], v8 offset:192
	s_branch .LBB183_2
.LBB183_10:
	s_endpgm
	.section	.rodata,"a",@progbits
	.p2align	6, 0x0
	.amdhsa_kernel _ZN12_GLOBAL__N_127rocblas_gemm_batched_kernelIfLi16ELi16ELi64ELi64ELi4ELi64ELi4ELi4ELi64ELc78ELc67EKPKfS3_KPfEEvlllT_PT11_llS8_llS6_PT12_llPT13_lli
		.amdhsa_group_segment_fixed_size 2048
		.amdhsa_private_segment_fixed_size 0
		.amdhsa_kernarg_size 140
		.amdhsa_user_sgpr_count 2
		.amdhsa_user_sgpr_dispatch_ptr 0
		.amdhsa_user_sgpr_queue_ptr 0
		.amdhsa_user_sgpr_kernarg_segment_ptr 1
		.amdhsa_user_sgpr_dispatch_id 0
		.amdhsa_user_sgpr_private_segment_size 0
		.amdhsa_wavefront_size32 1
		.amdhsa_uses_dynamic_stack 0
		.amdhsa_enable_private_segment 0
		.amdhsa_system_sgpr_workgroup_id_x 1
		.amdhsa_system_sgpr_workgroup_id_y 1
		.amdhsa_system_sgpr_workgroup_id_z 1
		.amdhsa_system_sgpr_workgroup_info 0
		.amdhsa_system_vgpr_workitem_id 1
		.amdhsa_next_free_vgpr 71
		.amdhsa_next_free_sgpr 39
		.amdhsa_reserve_vcc 1
		.amdhsa_float_round_mode_32 0
		.amdhsa_float_round_mode_16_64 0
		.amdhsa_float_denorm_mode_32 3
		.amdhsa_float_denorm_mode_16_64 3
		.amdhsa_fp16_overflow 0
		.amdhsa_workgroup_processor_mode 1
		.amdhsa_memory_ordered 1
		.amdhsa_forward_progress 1
		.amdhsa_inst_pref_size 22
		.amdhsa_round_robin_scheduling 0
		.amdhsa_exception_fp_ieee_invalid_op 0
		.amdhsa_exception_fp_denorm_src 0
		.amdhsa_exception_fp_ieee_div_zero 0
		.amdhsa_exception_fp_ieee_overflow 0
		.amdhsa_exception_fp_ieee_underflow 0
		.amdhsa_exception_fp_ieee_inexact 0
		.amdhsa_exception_int_div_zero 0
	.end_amdhsa_kernel
	.section	.text._ZN12_GLOBAL__N_127rocblas_gemm_batched_kernelIfLi16ELi16ELi64ELi64ELi4ELi64ELi4ELi4ELi64ELc78ELc67EKPKfS3_KPfEEvlllT_PT11_llS8_llS6_PT12_llPT13_lli,"axG",@progbits,_ZN12_GLOBAL__N_127rocblas_gemm_batched_kernelIfLi16ELi16ELi64ELi64ELi4ELi64ELi4ELi4ELi64ELc78ELc67EKPKfS3_KPfEEvlllT_PT11_llS8_llS6_PT12_llPT13_lli,comdat
.Lfunc_end183:
	.size	_ZN12_GLOBAL__N_127rocblas_gemm_batched_kernelIfLi16ELi16ELi64ELi64ELi4ELi64ELi4ELi4ELi64ELc78ELc67EKPKfS3_KPfEEvlllT_PT11_llS8_llS6_PT12_llPT13_lli, .Lfunc_end183-_ZN12_GLOBAL__N_127rocblas_gemm_batched_kernelIfLi16ELi16ELi64ELi64ELi4ELi64ELi4ELi4ELi64ELc78ELc67EKPKfS3_KPfEEvlllT_PT11_llS8_llS6_PT12_llPT13_lli
                                        ; -- End function
	.set _ZN12_GLOBAL__N_127rocblas_gemm_batched_kernelIfLi16ELi16ELi64ELi64ELi4ELi64ELi4ELi4ELi64ELc78ELc67EKPKfS3_KPfEEvlllT_PT11_llS8_llS6_PT12_llPT13_lli.num_vgpr, 71
	.set _ZN12_GLOBAL__N_127rocblas_gemm_batched_kernelIfLi16ELi16ELi64ELi64ELi4ELi64ELi4ELi4ELi64ELc78ELc67EKPKfS3_KPfEEvlllT_PT11_llS8_llS6_PT12_llPT13_lli.num_agpr, 0
	.set _ZN12_GLOBAL__N_127rocblas_gemm_batched_kernelIfLi16ELi16ELi64ELi64ELi4ELi64ELi4ELi4ELi64ELc78ELc67EKPKfS3_KPfEEvlllT_PT11_llS8_llS6_PT12_llPT13_lli.numbered_sgpr, 39
	.set _ZN12_GLOBAL__N_127rocblas_gemm_batched_kernelIfLi16ELi16ELi64ELi64ELi4ELi64ELi4ELi4ELi64ELc78ELc67EKPKfS3_KPfEEvlllT_PT11_llS8_llS6_PT12_llPT13_lli.num_named_barrier, 0
	.set _ZN12_GLOBAL__N_127rocblas_gemm_batched_kernelIfLi16ELi16ELi64ELi64ELi4ELi64ELi4ELi4ELi64ELc78ELc67EKPKfS3_KPfEEvlllT_PT11_llS8_llS6_PT12_llPT13_lli.private_seg_size, 0
	.set _ZN12_GLOBAL__N_127rocblas_gemm_batched_kernelIfLi16ELi16ELi64ELi64ELi4ELi64ELi4ELi4ELi64ELc78ELc67EKPKfS3_KPfEEvlllT_PT11_llS8_llS6_PT12_llPT13_lli.uses_vcc, 1
	.set _ZN12_GLOBAL__N_127rocblas_gemm_batched_kernelIfLi16ELi16ELi64ELi64ELi4ELi64ELi4ELi4ELi64ELc78ELc67EKPKfS3_KPfEEvlllT_PT11_llS8_llS6_PT12_llPT13_lli.uses_flat_scratch, 1
	.set _ZN12_GLOBAL__N_127rocblas_gemm_batched_kernelIfLi16ELi16ELi64ELi64ELi4ELi64ELi4ELi4ELi64ELc78ELc67EKPKfS3_KPfEEvlllT_PT11_llS8_llS6_PT12_llPT13_lli.has_dyn_sized_stack, 0
	.set _ZN12_GLOBAL__N_127rocblas_gemm_batched_kernelIfLi16ELi16ELi64ELi64ELi4ELi64ELi4ELi4ELi64ELc78ELc67EKPKfS3_KPfEEvlllT_PT11_llS8_llS6_PT12_llPT13_lli.has_recursion, 0
	.set _ZN12_GLOBAL__N_127rocblas_gemm_batched_kernelIfLi16ELi16ELi64ELi64ELi4ELi64ELi4ELi4ELi64ELc78ELc67EKPKfS3_KPfEEvlllT_PT11_llS8_llS6_PT12_llPT13_lli.has_indirect_call, 0
	.section	.AMDGPU.csdata,"",@progbits
; Kernel info:
; codeLenInByte = 2792
; TotalNumSgprs: 41
; NumVgprs: 71
; ScratchSize: 0
; MemoryBound: 0
; FloatMode: 240
; IeeeMode: 1
; LDSByteSize: 2048 bytes/workgroup (compile time only)
; SGPRBlocks: 0
; VGPRBlocks: 8
; NumSGPRsForWavesPerEU: 41
; NumVGPRsForWavesPerEU: 71
; Occupancy: 16
; WaveLimiterHint : 1
; COMPUTE_PGM_RSRC2:SCRATCH_EN: 0
; COMPUTE_PGM_RSRC2:USER_SGPR: 2
; COMPUTE_PGM_RSRC2:TRAP_HANDLER: 0
; COMPUTE_PGM_RSRC2:TGID_X_EN: 1
; COMPUTE_PGM_RSRC2:TGID_Y_EN: 1
; COMPUTE_PGM_RSRC2:TGID_Z_EN: 1
; COMPUTE_PGM_RSRC2:TIDIG_COMP_CNT: 1
	.section	.text._ZN12_GLOBAL__N_127rocblas_gemm_batched_kernelIfLi16ELi16ELi64ELi64ELi4ELi64ELi4ELi4ELi64ELc84ELc67EKPKfS3_KPfEEvlllT_PT11_llS8_llS6_PT12_llPT13_lli,"axG",@progbits,_ZN12_GLOBAL__N_127rocblas_gemm_batched_kernelIfLi16ELi16ELi64ELi64ELi4ELi64ELi4ELi4ELi64ELc84ELc67EKPKfS3_KPfEEvlllT_PT11_llS8_llS6_PT12_llPT13_lli,comdat
	.globl	_ZN12_GLOBAL__N_127rocblas_gemm_batched_kernelIfLi16ELi16ELi64ELi64ELi4ELi64ELi4ELi4ELi64ELc84ELc67EKPKfS3_KPfEEvlllT_PT11_llS8_llS6_PT12_llPT13_lli ; -- Begin function _ZN12_GLOBAL__N_127rocblas_gemm_batched_kernelIfLi16ELi16ELi64ELi64ELi4ELi64ELi4ELi4ELi64ELc84ELc67EKPKfS3_KPfEEvlllT_PT11_llS8_llS6_PT12_llPT13_lli
	.p2align	8
	.type	_ZN12_GLOBAL__N_127rocblas_gemm_batched_kernelIfLi16ELi16ELi64ELi64ELi4ELi64ELi4ELi4ELi64ELc84ELc67EKPKfS3_KPfEEvlllT_PT11_llS8_llS6_PT12_llPT13_lli,@function
_ZN12_GLOBAL__N_127rocblas_gemm_batched_kernelIfLi16ELi16ELi64ELi64ELi4ELi64ELi4ELi4ELi64ELc84ELc67EKPKfS3_KPfEEvlllT_PT11_llS8_llS6_PT12_llPT13_lli: ; @_ZN12_GLOBAL__N_127rocblas_gemm_batched_kernelIfLi16ELi16ELi64ELi64ELi4ELi64ELi4ELi4ELi64ELc84ELc67EKPKfS3_KPfEEvlllT_PT11_llS8_llS6_PT12_llPT13_lli
; %bb.0:
	s_load_b32 s31, s[0:1], 0x88
	s_lshr_b32 s2, ttmp7, 16
	s_wait_kmcnt 0x0
	s_cmp_ge_i32 s2, s31
	s_cbranch_scc1 .LBB184_10
; %bb.1:
	s_clause 0x5
	s_load_b96 s[28:30], s[0:1], 0x10
	s_load_b256 s[4:11], s[0:1], 0x20
	s_load_b128 s[20:23], s[0:1], 0x78
	s_load_b128 s[24:27], s[0:1], 0x40
	s_load_b32 s33, s[0:1], 0x50
	s_load_b256 s[12:19], s[0:1], 0x58
	v_bfe_u32 v2, v0, 10, 10
	v_dual_mov_b32 v1, 0 :: v_dual_and_b32 v8, 0x3ff, v0
	s_lshl_b32 s0, ttmp7, 6
	v_and_b32_e32 v12, 3, v0
	s_delay_alu instid0(VALU_DEP_3)
	v_lshlrev_b32_e32 v3, 4, v2
	s_and_b32 s36, s0, 0x3fffc0
	s_mov_b32 s34, ttmp9
	v_add_nc_u32_e32 v14, s36, v2
	v_lshlrev_b32_e32 v5, 2, v12
	v_add_nc_u32_e32 v4, v3, v8
	v_add_nc_u32_e32 v19, 0x400, v3
	s_ashr_i32 s35, ttmp9, 31
	v_lshlrev_b32_e32 v18, 2, v8
	s_lshl_b64 s[0:1], s[34:35], 6
	v_lshrrev_b32_e32 v15, 6, v4
	v_lshrrev_b32_e32 v0, 2, v4
	v_add_co_u32 v8, s35, s0, v8
	s_wait_kmcnt 0x0
	v_mad_co_u64_u32 v[6:7], null, v14, s14, 0
	v_and_b32_e32 v13, 63, v4
	v_lshl_or_b32 v2, v0, 4, v5
	s_cmp_eq_f32 s33, 0
	v_add_co_ci_u32_e64 v9, null, s1, 0, s35
	s_delay_alu instid0(VALU_DEP_3) | instskip(NEXT) | instid1(VALU_DEP_3)
	v_lshlrev_b32_e32 v4, 2, v13
	v_add_nc_u32_e32 v17, 0x400, v2
	v_mad_co_u64_u32 v[2:3], null, s24, v12, v[0:1]
	s_cselect_b32 s34, -1, 0
	v_lshl_or_b32 v16, v15, 8, v4
	v_mad_co_u64_u32 v[4:5], null, v14, s20, 0
	s_mov_b32 s3, 0
	v_add_co_u32 v2, vcc_lo, v2, s36
	s_lshl_b64 s[36:37], s[14:15], 4
	v_mov_b32_e32 v0, v5
	s_delay_alu instid0(VALU_DEP_1)
	v_mad_co_u64_u32 v[10:11], null, v14, s21, v[0:1]
	v_mov_b32_e32 v0, v7
	v_or_b32_e32 v5, s0, v13
	v_mad_co_u64_u32 v[11:12], null, s25, v12, v[3:4]
	s_mul_i32 s0, s6, s1
	v_mad_co_u64_u32 v[12:13], null, v14, s15, v[0:1]
	v_mul_lo_u32 v0, s7, v5
	v_mad_co_u64_u32 v[13:14], null, s6, v5, 0
	v_add_co_ci_u32_e64 v3, null, 0, v11, vcc_lo
	v_mov_b32_e32 v5, v10
	v_mov_b32_e32 v7, v12
	s_lshl_b64 s[20:21], s[20:21], 4
	s_delay_alu instid0(VALU_DEP_3)
	v_lshlrev_b64_e32 v[2:3], 2, v[2:3]
	s_wait_alu 0xfffe
	v_add3_u32 v14, v14, s0, v0
	s_lshl_b64 s[0:1], s[26:27], 2
	v_lshlrev_b64_e32 v[4:5], 2, v[4:5]
	s_lshl_b64 s[6:7], s[24:25], 4
	s_lshl_b64 s[14:15], s[16:17], 2
	v_lshlrev_b64_e32 v[10:11], 2, v[13:14]
	s_wait_alu 0xfffe
	v_add_co_u32 v0, vcc_lo, s0, v2
	s_wait_alu 0xfffd
	v_add_co_ci_u32_e64 v20, null, s1, v3, vcc_lo
	s_lshl_b64 s[0:1], s[8:9], 2
	v_lshlrev_b32_e32 v2, 2, v15
	s_wait_alu 0xfffe
	v_add_co_u32 v3, vcc_lo, v10, s0
	v_cmp_gt_i64_e64 s0, s[28:29], 0
	s_wait_alu 0xfffd
	v_add_co_ci_u32_e64 v10, null, s1, v11, vcc_lo
	s_delay_alu instid0(VALU_DEP_3)
	v_add_co_u32 v21, vcc_lo, v3, v2
	v_lshlrev_b64_e32 v[2:3], 2, v[6:7]
	s_wait_alu 0xf1ff
	v_cndmask_b32_e64 v11, 0, 1, s0
	v_lshlrev_b64_e32 v[6:7], 2, v[8:9]
	s_wait_alu 0xfffd
	v_add_co_ci_u32_e64 v22, null, 0, v10, vcc_lo
	s_lshl_b64 s[8:9], s[22:23], 2
	v_cmp_ne_u32_e64 s0, 1, v11
	s_lshl_b64 s[16:17], s[36:37], 2
	s_lshl_b64 s[20:21], s[20:21], 2
	s_branch .LBB184_3
.LBB184_2:                              ;   in Loop: Header=BB184_3 Depth=1
	s_add_co_i32 s2, s2, 0x10000
	s_delay_alu instid0(SALU_CYCLE_1)
	s_cmp_lt_i32 s2, s31
	s_cbranch_scc0 .LBB184_10
.LBB184_3:                              ; =>This Loop Header: Depth=1
                                        ;     Child Loop BB184_5 Depth 2
	s_lshl_b64 s[22:23], s[2:3], 3
	v_dual_mov_b32 v38, 0 :: v_dual_mov_b32 v37, 0
	s_wait_alu 0xfffe
	s_add_nc_u64 s[24:25], s[12:13], s[22:23]
	s_add_nc_u64 s[26:27], s[18:19], s[22:23]
	s_clause 0x1
	global_load_b64 v[8:9], v1, s[24:25]
	global_load_b64 v[10:11], v1, s[26:27]
	v_dual_mov_b32 v36, 0 :: v_dual_mov_b32 v35, 0
	v_dual_mov_b32 v34, 0 :: v_dual_mov_b32 v33, 0
	;; [unrolled: 1-line block ×7, first 2 shown]
	s_and_b32 vcc_lo, exec_lo, s0
	s_wait_alu 0xfffe
	s_cbranch_vccnz .LBB184_6
; %bb.4:                                ;   in Loop: Header=BB184_3 Depth=1
	s_add_nc_u64 s[24:25], s[10:11], s[22:23]
	s_add_nc_u64 s[22:23], s[4:5], s[22:23]
	s_clause 0x1
	global_load_b64 v[12:13], v1, s[24:25]
	global_load_b64 v[14:15], v1, s[22:23]
	v_dual_mov_b32 v23, 0 :: v_dual_mov_b32 v24, 0
	v_dual_mov_b32 v25, 0 :: v_dual_mov_b32 v26, 0
	;; [unrolled: 1-line block ×8, first 2 shown]
	s_mov_b64 s[22:23], 0
	s_wait_loadcnt 0x1
	v_add_co_u32 v12, vcc_lo, v12, v0
	s_wait_alu 0xfffd
	v_add_co_ci_u32_e64 v13, null, v13, v20, vcc_lo
	s_wait_loadcnt 0x0
	v_add_co_u32 v14, vcc_lo, v14, v21
	s_wait_alu 0xfffd
	v_add_co_ci_u32_e64 v15, null, v15, v22, vcc_lo
.LBB184_5:                              ;   Parent Loop BB184_3 Depth=1
                                        ; =>  This Inner Loop Header: Depth=2
	flat_load_b32 v39, v[14:15]
	s_wait_alu 0xfffe
	s_add_nc_u64 s[22:23], s[22:23], 4
	v_add_co_u32 v14, vcc_lo, v14, 16
	s_wait_alu 0xfffe
	v_cmp_lt_i64_e64 s1, s[22:23], s[28:29]
	s_wait_alu 0xfffd
	v_add_co_ci_u32_e64 v15, null, 0, v15, vcc_lo
	s_and_b32 vcc_lo, exec_lo, s1
	s_wait_loadcnt_dscnt 0x0
	ds_store_b32 v16, v39
	flat_load_b32 v39, v[12:13]
	v_add_co_u32 v12, s1, v12, s6
	s_wait_alu 0xf1ff
	v_add_co_ci_u32_e64 v13, null, s7, v13, s1
	s_wait_loadcnt_dscnt 0x0
	ds_store_b32 v17, v39
	s_wait_dscnt 0x0
	s_barrier_signal -1
	s_barrier_wait -1
	global_inv scope:SCOPE_SE
	ds_load_b128 v[39:42], v19
	ds_load_2addr_b32 v[55:56], v18 offset1:16
	ds_load_2addr_b32 v[57:58], v18 offset0:32 offset1:48
	ds_load_b128 v[43:46], v19 offset:256
	ds_load_b128 v[47:50], v19 offset:512
	;; [unrolled: 1-line block ×3, first 2 shown]
	ds_load_2addr_b32 v[59:60], v18 offset0:64 offset1:80
	ds_load_2addr_b32 v[61:62], v18 offset0:96 offset1:112
	;; [unrolled: 1-line block ×6, first 2 shown]
	s_wait_loadcnt_dscnt 0x0
	s_barrier_signal -1
	s_barrier_wait -1
	global_inv scope:SCOPE_SE
	v_fmac_f32_e32 v37, v56, v39
	v_fmac_f32_e32 v38, v55, v39
	;; [unrolled: 1-line block ×15, first 2 shown]
	v_dual_fmac_f32 v24, v57, v51 :: v_dual_fmac_f32 v37, v60, v40
	v_fmac_f32_e32 v38, v59, v40
	v_fmac_f32_e32 v35, v62, v40
	v_fmac_f32_e32 v36, v61, v40
	v_fmac_f32_e32 v33, v60, v44
	v_fmac_f32_e32 v34, v59, v44
	v_fmac_f32_e32 v31, v62, v44
	v_fmac_f32_e32 v32, v61, v44
	v_fmac_f32_e32 v29, v60, v48
	v_fmac_f32_e32 v30, v59, v48
	v_fmac_f32_e32 v27, v62, v48
	v_fmac_f32_e32 v28, v61, v48
	v_fmac_f32_e32 v25, v60, v52
	v_fmac_f32_e32 v26, v59, v52
	v_fmac_f32_e32 v23, v62, v52
	v_dual_fmac_f32 v24, v61, v52 :: v_dual_fmac_f32 v37, v64, v41
	v_fmac_f32_e32 v38, v63, v41
	v_fmac_f32_e32 v35, v66, v41
	v_fmac_f32_e32 v36, v65, v41
	v_fmac_f32_e32 v33, v64, v45
	v_fmac_f32_e32 v34, v63, v45
	v_fmac_f32_e32 v31, v66, v45
	v_fmac_f32_e32 v32, v65, v45
	v_fmac_f32_e32 v29, v64, v49
	v_fmac_f32_e32 v30, v63, v49
	v_fmac_f32_e32 v27, v66, v49
	v_fmac_f32_e32 v28, v65, v49
	v_fmac_f32_e32 v25, v64, v53
	v_fmac_f32_e32 v26, v63, v53
	v_fmac_f32_e32 v23, v66, v53
	;; [unrolled: 15-line block ×3, first 2 shown]
	v_fmac_f32_e32 v24, v69, v54
	s_wait_alu 0xfffe
	s_cbranch_vccnz .LBB184_5
.LBB184_6:                              ;   in Loop: Header=BB184_3 Depth=1
	s_wait_loadcnt 0x0
	v_add_co_u32 v10, vcc_lo, v10, s8
	s_wait_alu 0xfffd
	v_add_co_ci_u32_e64 v11, null, s9, v11, vcc_lo
	s_and_not1_b32 vcc_lo, exec_lo, s34
	s_wait_alu 0xfffe
	s_cbranch_vccnz .LBB184_8
; %bb.7:                                ;   in Loop: Header=BB184_3 Depth=1
	v_add_co_u32 v14, vcc_lo, v10, v4
	s_wait_alu 0xfffd
	v_add_co_ci_u32_e64 v15, null, v11, v5, vcc_lo
	v_dual_mul_f32 v39, s30, v38 :: v_dual_mul_f32 v40, s30, v37
	s_delay_alu instid0(VALU_DEP_3) | instskip(SKIP_1) | instid1(VALU_DEP_3)
	v_add_co_u32 v12, vcc_lo, v14, v6
	s_wait_alu 0xfffd
	v_add_co_ci_u32_e64 v13, null, v15, v7, vcc_lo
	v_add_co_u32 v14, vcc_lo, v14, s20
	v_dual_mul_f32 v41, s30, v36 :: v_dual_mul_f32 v42, s30, v35
	s_wait_alu 0xfffd
	v_add_co_ci_u32_e64 v15, null, s21, v15, vcc_lo
	s_clause 0x3
	flat_store_b32 v[12:13], v39
	flat_store_b32 v[12:13], v40 offset:64
	flat_store_b32 v[12:13], v41 offset:128
	;; [unrolled: 1-line block ×3, first 2 shown]
	v_add_co_u32 v12, vcc_lo, v14, v6
	s_wait_alu 0xfffd
	v_add_co_ci_u32_e64 v13, null, v15, v7, vcc_lo
	v_add_co_u32 v43, vcc_lo, v14, s20
	s_wait_alu 0xfffd
	v_add_co_ci_u32_e64 v44, null, s21, v15, vcc_lo
	v_dual_mul_f32 v39, s30, v34 :: v_dual_mul_f32 v40, s30, v33
	v_dual_mul_f32 v41, s30, v32 :: v_dual_mul_f32 v42, s30, v31
	v_add_co_u32 v14, vcc_lo, v43, v6
	v_dual_mul_f32 v45, s30, v30 :: v_dual_mul_f32 v46, s30, v29
	s_wait_alu 0xfffd
	v_add_co_ci_u32_e64 v15, null, v44, v7, vcc_lo
	v_dual_mul_f32 v47, s30, v28 :: v_dual_mul_f32 v48, s30, v27
	s_clause 0x7
	flat_store_b32 v[12:13], v39
	flat_store_b32 v[12:13], v40 offset:64
	flat_store_b32 v[12:13], v41 offset:128
	;; [unrolled: 1-line block ×3, first 2 shown]
	flat_store_b32 v[14:15], v45
	flat_store_b32 v[14:15], v46 offset:64
	flat_store_b32 v[14:15], v47 offset:128
	;; [unrolled: 1-line block ×3, first 2 shown]
	v_add_co_u32 v12, vcc_lo, v43, s20
	s_wait_alu 0xfffd
	v_add_co_ci_u32_e64 v13, null, s21, v44, vcc_lo
	v_dual_mul_f32 v14, s30, v26 :: v_dual_mul_f32 v15, s30, v25
	s_delay_alu instid0(VALU_DEP_3) | instskip(SKIP_1) | instid1(VALU_DEP_3)
	v_add_co_u32 v12, vcc_lo, v12, v6
	s_wait_alu 0xfffd
	v_add_co_ci_u32_e64 v13, null, v13, v7, vcc_lo
	v_dual_mul_f32 v39, s30, v24 :: v_dual_mul_f32 v40, s30, v23
	s_clause 0x3
	flat_store_b32 v[12:13], v14
	flat_store_b32 v[12:13], v15 offset:64
	flat_store_b32 v[12:13], v39 offset:128
	;; [unrolled: 1-line block ×3, first 2 shown]
	s_cbranch_execnz .LBB184_2
	s_branch .LBB184_9
.LBB184_8:                              ;   in Loop: Header=BB184_3 Depth=1
.LBB184_9:                              ;   in Loop: Header=BB184_3 Depth=1
	v_add_co_u32 v8, vcc_lo, v8, s14
	s_wait_alu 0xfffd
	v_add_co_ci_u32_e64 v9, null, s15, v9, vcc_lo
	s_delay_alu instid0(VALU_DEP_2) | instskip(SKIP_1) | instid1(VALU_DEP_2)
	v_add_co_u32 v12, vcc_lo, v8, v2
	s_wait_alu 0xfffd
	v_add_co_ci_u32_e64 v13, null, v9, v3, vcc_lo
	s_delay_alu instid0(VALU_DEP_2) | instskip(SKIP_1) | instid1(VALU_DEP_2)
	v_add_co_u32 v8, vcc_lo, v12, v6
	s_wait_alu 0xfffd
	v_add_co_ci_u32_e64 v9, null, v13, v7, vcc_lo
	v_add_co_u32 v15, vcc_lo, v10, v4
	s_wait_alu 0xfffd
	v_add_co_ci_u32_e64 v39, null, v11, v5, vcc_lo
	flat_load_b32 v14, v[8:9]
	v_add_co_u32 v10, vcc_lo, v15, v6
	s_wait_alu 0xfffd
	v_add_co_ci_u32_e64 v11, null, v39, v7, vcc_lo
	v_add_co_u32 v12, vcc_lo, v12, s16
	s_wait_alu 0xfffd
	v_add_co_ci_u32_e64 v13, null, s17, v13, vcc_lo
	s_wait_loadcnt_dscnt 0x0
	v_mul_f32_e32 v14, s33, v14
	s_delay_alu instid0(VALU_DEP_1) | instskip(SKIP_4) | instid1(VALU_DEP_1)
	v_fmac_f32_e32 v14, s30, v38
	flat_store_b32 v[10:11], v14
	flat_load_b32 v14, v[8:9] offset:64
	s_wait_loadcnt_dscnt 0x0
	v_mul_f32_e32 v14, s33, v14
	v_fmac_f32_e32 v14, s30, v37
	flat_store_b32 v[10:11], v14 offset:64
	flat_load_b32 v14, v[8:9] offset:128
	s_wait_loadcnt_dscnt 0x0
	v_mul_f32_e32 v14, s33, v14
	s_delay_alu instid0(VALU_DEP_1)
	v_fmac_f32_e32 v14, s30, v36
	flat_store_b32 v[10:11], v14 offset:128
	flat_load_b32 v8, v[8:9] offset:192
	s_wait_loadcnt_dscnt 0x0
	v_mul_f32_e32 v14, s33, v8
	v_add_co_u32 v8, vcc_lo, v12, v6
	s_wait_alu 0xfffd
	v_add_co_ci_u32_e64 v9, null, v13, v7, vcc_lo
	s_delay_alu instid0(VALU_DEP_3)
	v_fmac_f32_e32 v14, s30, v35
	flat_store_b32 v[10:11], v14 offset:192
	flat_load_b32 v10, v[8:9]
	v_add_co_u32 v14, vcc_lo, v15, s20
	s_wait_alu 0xfffd
	v_add_co_ci_u32_e64 v15, null, s21, v39, vcc_lo
	s_wait_loadcnt_dscnt 0x0
	v_mul_f32_e32 v35, s33, v10
	v_add_co_u32 v10, vcc_lo, v14, v6
	s_wait_alu 0xfffd
	v_add_co_ci_u32_e64 v11, null, v15, v7, vcc_lo
	s_delay_alu instid0(VALU_DEP_3)
	v_fmac_f32_e32 v35, s30, v34
	v_add_co_u32 v12, vcc_lo, v12, s16
	s_wait_alu 0xfffd
	v_add_co_ci_u32_e64 v13, null, s17, v13, vcc_lo
	flat_store_b32 v[10:11], v35
	flat_load_b32 v34, v[8:9] offset:64
	s_wait_loadcnt_dscnt 0x0
	v_mul_f32_e32 v34, s33, v34
	s_delay_alu instid0(VALU_DEP_1) | instskip(SKIP_4) | instid1(VALU_DEP_1)
	v_fmac_f32_e32 v34, s30, v33
	flat_store_b32 v[10:11], v34 offset:64
	flat_load_b32 v33, v[8:9] offset:128
	s_wait_loadcnt_dscnt 0x0
	v_mul_f32_e32 v33, s33, v33
	v_fmac_f32_e32 v33, s30, v32
	flat_store_b32 v[10:11], v33 offset:128
	flat_load_b32 v8, v[8:9] offset:192
	s_wait_loadcnt_dscnt 0x0
	v_mul_f32_e32 v32, s33, v8
	v_add_co_u32 v8, vcc_lo, v12, v6
	s_wait_alu 0xfffd
	v_add_co_ci_u32_e64 v9, null, v13, v7, vcc_lo
	s_delay_alu instid0(VALU_DEP_3)
	v_fmac_f32_e32 v32, s30, v31
	v_add_co_u32 v14, vcc_lo, v14, s20
	s_wait_alu 0xfffd
	v_add_co_ci_u32_e64 v15, null, s21, v15, vcc_lo
	flat_store_b32 v[10:11], v32 offset:192
	flat_load_b32 v10, v[8:9]
	s_wait_loadcnt_dscnt 0x0
	v_mul_f32_e32 v31, s33, v10
	v_add_co_u32 v10, vcc_lo, v14, v6
	s_wait_alu 0xfffd
	v_add_co_ci_u32_e64 v11, null, v15, v7, vcc_lo
	s_delay_alu instid0(VALU_DEP_3) | instskip(SKIP_4) | instid1(VALU_DEP_1)
	v_fmac_f32_e32 v31, s30, v30
	flat_store_b32 v[10:11], v31
	flat_load_b32 v30, v[8:9] offset:64
	s_wait_loadcnt_dscnt 0x0
	v_mul_f32_e32 v30, s33, v30
	v_fmac_f32_e32 v30, s30, v29
	flat_store_b32 v[10:11], v30 offset:64
	flat_load_b32 v29, v[8:9] offset:128
	s_wait_loadcnt_dscnt 0x0
	v_mul_f32_e32 v29, s33, v29
	s_delay_alu instid0(VALU_DEP_1)
	v_fmac_f32_e32 v29, s30, v28
	flat_store_b32 v[10:11], v29 offset:128
	flat_load_b32 v8, v[8:9] offset:192
	s_wait_loadcnt_dscnt 0x0
	v_mul_f32_e32 v28, s33, v8
	v_add_co_u32 v8, vcc_lo, v12, s16
	s_wait_alu 0xfffd
	v_add_co_ci_u32_e64 v9, null, s17, v13, vcc_lo
	s_delay_alu instid0(VALU_DEP_3) | instskip(NEXT) | instid1(VALU_DEP_3)
	v_fmac_f32_e32 v28, s30, v27
	v_add_co_u32 v8, vcc_lo, v8, v6
	s_wait_alu 0xfffd
	s_delay_alu instid0(VALU_DEP_3)
	v_add_co_ci_u32_e64 v9, null, v9, v7, vcc_lo
	flat_store_b32 v[10:11], v28 offset:192
	flat_load_b32 v10, v[8:9]
	s_wait_loadcnt_dscnt 0x0
	v_mul_f32_e32 v12, s33, v10
	v_add_co_u32 v10, vcc_lo, v14, s20
	s_wait_alu 0xfffd
	v_add_co_ci_u32_e64 v11, null, s21, v15, vcc_lo
	s_delay_alu instid0(VALU_DEP_3) | instskip(NEXT) | instid1(VALU_DEP_3)
	v_fmac_f32_e32 v12, s30, v26
	v_add_co_u32 v10, vcc_lo, v10, v6
	s_wait_alu 0xfffd
	s_delay_alu instid0(VALU_DEP_3) | instskip(SKIP_4) | instid1(VALU_DEP_1)
	v_add_co_ci_u32_e64 v11, null, v11, v7, vcc_lo
	flat_store_b32 v[10:11], v12
	flat_load_b32 v12, v[8:9] offset:64
	s_wait_loadcnt_dscnt 0x0
	v_mul_f32_e32 v12, s33, v12
	v_fmac_f32_e32 v12, s30, v25
	flat_store_b32 v[10:11], v12 offset:64
	flat_load_b32 v12, v[8:9] offset:128
	s_wait_loadcnt_dscnt 0x0
	v_mul_f32_e32 v12, s33, v12
	s_delay_alu instid0(VALU_DEP_1) | instskip(SKIP_4) | instid1(VALU_DEP_1)
	v_fmac_f32_e32 v12, s30, v24
	flat_store_b32 v[10:11], v12 offset:128
	flat_load_b32 v8, v[8:9] offset:192
	s_wait_loadcnt_dscnt 0x0
	v_mul_f32_e32 v8, s33, v8
	v_fmac_f32_e32 v8, s30, v23
	flat_store_b32 v[10:11], v8 offset:192
	s_branch .LBB184_2
.LBB184_10:
	s_endpgm
	.section	.rodata,"a",@progbits
	.p2align	6, 0x0
	.amdhsa_kernel _ZN12_GLOBAL__N_127rocblas_gemm_batched_kernelIfLi16ELi16ELi64ELi64ELi4ELi64ELi4ELi4ELi64ELc84ELc67EKPKfS3_KPfEEvlllT_PT11_llS8_llS6_PT12_llPT13_lli
		.amdhsa_group_segment_fixed_size 2048
		.amdhsa_private_segment_fixed_size 0
		.amdhsa_kernarg_size 140
		.amdhsa_user_sgpr_count 2
		.amdhsa_user_sgpr_dispatch_ptr 0
		.amdhsa_user_sgpr_queue_ptr 0
		.amdhsa_user_sgpr_kernarg_segment_ptr 1
		.amdhsa_user_sgpr_dispatch_id 0
		.amdhsa_user_sgpr_private_segment_size 0
		.amdhsa_wavefront_size32 1
		.amdhsa_uses_dynamic_stack 0
		.amdhsa_enable_private_segment 0
		.amdhsa_system_sgpr_workgroup_id_x 1
		.amdhsa_system_sgpr_workgroup_id_y 1
		.amdhsa_system_sgpr_workgroup_id_z 1
		.amdhsa_system_sgpr_workgroup_info 0
		.amdhsa_system_vgpr_workitem_id 1
		.amdhsa_next_free_vgpr 71
		.amdhsa_next_free_sgpr 38
		.amdhsa_reserve_vcc 1
		.amdhsa_float_round_mode_32 0
		.amdhsa_float_round_mode_16_64 0
		.amdhsa_float_denorm_mode_32 3
		.amdhsa_float_denorm_mode_16_64 3
		.amdhsa_fp16_overflow 0
		.amdhsa_workgroup_processor_mode 1
		.amdhsa_memory_ordered 1
		.amdhsa_forward_progress 1
		.amdhsa_inst_pref_size 22
		.amdhsa_round_robin_scheduling 0
		.amdhsa_exception_fp_ieee_invalid_op 0
		.amdhsa_exception_fp_denorm_src 0
		.amdhsa_exception_fp_ieee_div_zero 0
		.amdhsa_exception_fp_ieee_overflow 0
		.amdhsa_exception_fp_ieee_underflow 0
		.amdhsa_exception_fp_ieee_inexact 0
		.amdhsa_exception_int_div_zero 0
	.end_amdhsa_kernel
	.section	.text._ZN12_GLOBAL__N_127rocblas_gemm_batched_kernelIfLi16ELi16ELi64ELi64ELi4ELi64ELi4ELi4ELi64ELc84ELc67EKPKfS3_KPfEEvlllT_PT11_llS8_llS6_PT12_llPT13_lli,"axG",@progbits,_ZN12_GLOBAL__N_127rocblas_gemm_batched_kernelIfLi16ELi16ELi64ELi64ELi4ELi64ELi4ELi4ELi64ELc84ELc67EKPKfS3_KPfEEvlllT_PT11_llS8_llS6_PT12_llPT13_lli,comdat
.Lfunc_end184:
	.size	_ZN12_GLOBAL__N_127rocblas_gemm_batched_kernelIfLi16ELi16ELi64ELi64ELi4ELi64ELi4ELi4ELi64ELc84ELc67EKPKfS3_KPfEEvlllT_PT11_llS8_llS6_PT12_llPT13_lli, .Lfunc_end184-_ZN12_GLOBAL__N_127rocblas_gemm_batched_kernelIfLi16ELi16ELi64ELi64ELi4ELi64ELi4ELi4ELi64ELc84ELc67EKPKfS3_KPfEEvlllT_PT11_llS8_llS6_PT12_llPT13_lli
                                        ; -- End function
	.set _ZN12_GLOBAL__N_127rocblas_gemm_batched_kernelIfLi16ELi16ELi64ELi64ELi4ELi64ELi4ELi4ELi64ELc84ELc67EKPKfS3_KPfEEvlllT_PT11_llS8_llS6_PT12_llPT13_lli.num_vgpr, 71
	.set _ZN12_GLOBAL__N_127rocblas_gemm_batched_kernelIfLi16ELi16ELi64ELi64ELi4ELi64ELi4ELi4ELi64ELc84ELc67EKPKfS3_KPfEEvlllT_PT11_llS8_llS6_PT12_llPT13_lli.num_agpr, 0
	.set _ZN12_GLOBAL__N_127rocblas_gemm_batched_kernelIfLi16ELi16ELi64ELi64ELi4ELi64ELi4ELi4ELi64ELc84ELc67EKPKfS3_KPfEEvlllT_PT11_llS8_llS6_PT12_llPT13_lli.numbered_sgpr, 38
	.set _ZN12_GLOBAL__N_127rocblas_gemm_batched_kernelIfLi16ELi16ELi64ELi64ELi4ELi64ELi4ELi4ELi64ELc84ELc67EKPKfS3_KPfEEvlllT_PT11_llS8_llS6_PT12_llPT13_lli.num_named_barrier, 0
	.set _ZN12_GLOBAL__N_127rocblas_gemm_batched_kernelIfLi16ELi16ELi64ELi64ELi4ELi64ELi4ELi4ELi64ELc84ELc67EKPKfS3_KPfEEvlllT_PT11_llS8_llS6_PT12_llPT13_lli.private_seg_size, 0
	.set _ZN12_GLOBAL__N_127rocblas_gemm_batched_kernelIfLi16ELi16ELi64ELi64ELi4ELi64ELi4ELi4ELi64ELc84ELc67EKPKfS3_KPfEEvlllT_PT11_llS8_llS6_PT12_llPT13_lli.uses_vcc, 1
	.set _ZN12_GLOBAL__N_127rocblas_gemm_batched_kernelIfLi16ELi16ELi64ELi64ELi4ELi64ELi4ELi4ELi64ELc84ELc67EKPKfS3_KPfEEvlllT_PT11_llS8_llS6_PT12_llPT13_lli.uses_flat_scratch, 1
	.set _ZN12_GLOBAL__N_127rocblas_gemm_batched_kernelIfLi16ELi16ELi64ELi64ELi4ELi64ELi4ELi4ELi64ELc84ELc67EKPKfS3_KPfEEvlllT_PT11_llS8_llS6_PT12_llPT13_lli.has_dyn_sized_stack, 0
	.set _ZN12_GLOBAL__N_127rocblas_gemm_batched_kernelIfLi16ELi16ELi64ELi64ELi4ELi64ELi4ELi4ELi64ELc84ELc67EKPKfS3_KPfEEvlllT_PT11_llS8_llS6_PT12_llPT13_lli.has_recursion, 0
	.set _ZN12_GLOBAL__N_127rocblas_gemm_batched_kernelIfLi16ELi16ELi64ELi64ELi4ELi64ELi4ELi4ELi64ELc84ELc67EKPKfS3_KPfEEvlllT_PT11_llS8_llS6_PT12_llPT13_lli.has_indirect_call, 0
	.section	.AMDGPU.csdata,"",@progbits
; Kernel info:
; codeLenInByte = 2796
; TotalNumSgprs: 40
; NumVgprs: 71
; ScratchSize: 0
; MemoryBound: 0
; FloatMode: 240
; IeeeMode: 1
; LDSByteSize: 2048 bytes/workgroup (compile time only)
; SGPRBlocks: 0
; VGPRBlocks: 8
; NumSGPRsForWavesPerEU: 40
; NumVGPRsForWavesPerEU: 71
; Occupancy: 16
; WaveLimiterHint : 1
; COMPUTE_PGM_RSRC2:SCRATCH_EN: 0
; COMPUTE_PGM_RSRC2:USER_SGPR: 2
; COMPUTE_PGM_RSRC2:TRAP_HANDLER: 0
; COMPUTE_PGM_RSRC2:TGID_X_EN: 1
; COMPUTE_PGM_RSRC2:TGID_Y_EN: 1
; COMPUTE_PGM_RSRC2:TGID_Z_EN: 1
; COMPUTE_PGM_RSRC2:TIDIG_COMP_CNT: 1
	.section	.text._ZN12_GLOBAL__N_127rocblas_gemm_batched_kernelIfLi16ELi16ELi32ELi32ELi8ELi32ELi8ELi8ELi32ELc78ELc78EKPKfS3_KPfEEvlllT_PT11_llS8_llS6_PT12_llPT13_lli,"axG",@progbits,_ZN12_GLOBAL__N_127rocblas_gemm_batched_kernelIfLi16ELi16ELi32ELi32ELi8ELi32ELi8ELi8ELi32ELc78ELc78EKPKfS3_KPfEEvlllT_PT11_llS8_llS6_PT12_llPT13_lli,comdat
	.globl	_ZN12_GLOBAL__N_127rocblas_gemm_batched_kernelIfLi16ELi16ELi32ELi32ELi8ELi32ELi8ELi8ELi32ELc78ELc78EKPKfS3_KPfEEvlllT_PT11_llS8_llS6_PT12_llPT13_lli ; -- Begin function _ZN12_GLOBAL__N_127rocblas_gemm_batched_kernelIfLi16ELi16ELi32ELi32ELi8ELi32ELi8ELi8ELi32ELc78ELc78EKPKfS3_KPfEEvlllT_PT11_llS8_llS6_PT12_llPT13_lli
	.p2align	8
	.type	_ZN12_GLOBAL__N_127rocblas_gemm_batched_kernelIfLi16ELi16ELi32ELi32ELi8ELi32ELi8ELi8ELi32ELc78ELc78EKPKfS3_KPfEEvlllT_PT11_llS8_llS6_PT12_llPT13_lli,@function
_ZN12_GLOBAL__N_127rocblas_gemm_batched_kernelIfLi16ELi16ELi32ELi32ELi8ELi32ELi8ELi8ELi32ELc78ELc78EKPKfS3_KPfEEvlllT_PT11_llS8_llS6_PT12_llPT13_lli: ; @_ZN12_GLOBAL__N_127rocblas_gemm_batched_kernelIfLi16ELi16ELi32ELi32ELi8ELi32ELi8ELi8ELi32ELc78ELc78EKPKfS3_KPfEEvlllT_PT11_llS8_llS6_PT12_llPT13_lli
; %bb.0:
	s_load_b32 s31, s[0:1], 0x88
	s_lshr_b32 s2, ttmp7, 16
	s_wait_kmcnt 0x0
	s_cmp_ge_i32 s2, s31
	s_cbranch_scc1 .LBB185_10
; %bb.1:
	v_and_b32_e32 v12, 0x3ff, v0
	v_bfe_u32 v6, v0, 10, 10
	s_clause 0x5
	s_load_b96 s[28:30], s[0:1], 0x10
	s_load_b256 s[4:11], s[0:1], 0x20
	s_load_b128 s[20:23], s[0:1], 0x78
	s_load_b128 s[24:27], s[0:1], 0x40
	s_load_b32 s33, s[0:1], 0x50
	s_load_b256 s[12:19], s[0:1], 0x58
	v_lshlrev_b32_e32 v0, 2, v0
	s_lshl_b32 s0, ttmp7, 5
	v_lshl_add_u32 v1, v6, 4, v12
	v_mov_b32_e32 v14, 0
	s_and_b32 s3, s0, 0x1fffe0
	v_and_b32_e32 v21, 28, v0
	v_add_nc_u32_e32 v9, s3, v6
	v_and_b32_e32 v13, 31, v1
	v_lshrrev_b32_e32 v19, 5, v1
	v_lshrrev_b32_e32 v1, 3, v1
	v_lshl_add_u32 v18, v6, 5, 0x400
	s_mov_b32 s34, ttmp9
	s_ashr_i32 s35, ttmp9, 31
	s_delay_alu instid0(VALU_DEP_2)
	v_lshl_or_b32 v4, v1, 5, v21
	v_add_nc_u32_e32 v11, s3, v1
	s_lshl_b64 s[0:1], s[34:35], 5
	s_mov_b32 s3, 0
	s_wait_kmcnt 0x0
	v_mad_co_u64_u32 v[2:3], null, v9, s20, 0
	v_add_nc_u32_e32 v16, 0x400, v4
	v_mad_co_u64_u32 v[4:5], null, s24, v11, 0
	s_cmp_eq_f32 s33, 0
	s_cselect_b32 s24, -1, 0
	s_lshl_b64 s[34:35], s[14:15], 4
	v_mad_co_u64_u32 v[6:7], null, v9, s21, v[3:4]
	v_dual_mov_b32 v3, v5 :: v_dual_lshlrev_b32 v0, 2, v13
	v_mad_co_u64_u32 v[7:8], null, s6, v19, s[0:1]
	v_lshlrev_b32_e32 v17, 2, v12
	s_delay_alu instid0(VALU_DEP_3)
	v_lshl_or_b32 v15, v19, 7, v0
	v_mad_co_u64_u32 v[0:1], null, v9, s14, 0
	s_lshl_b64 s[20:21], s[20:21], 4
	s_wait_alu 0xfffe
	s_lshl_b64 s[20:21], s[20:21], 2
	v_mad_co_u64_u32 v[9:10], null, v9, s15, v[1:2]
	v_mad_co_u64_u32 v[10:11], null, s25, v11, v[3:4]
	v_mov_b32_e32 v1, v8
	v_add_co_u32 v11, s0, s0, v12
	v_mov_b32_e32 v3, v6
	v_add_co_u32 v6, vcc_lo, v7, v13
	v_mov_b32_e32 v5, v10
	v_mad_co_u64_u32 v[19:20], null, s7, v19, v[1:2]
	s_wait_alu 0xf1ff
	v_add_co_ci_u32_e64 v12, null, s1, 0, s0
	s_delay_alu instid0(VALU_DEP_3)
	v_lshlrev_b64_e32 v[4:5], 2, v[4:5]
	s_lshl_b64 s[0:1], s[26:27], 2
	v_mov_b32_e32 v1, v9
	v_lshlrev_b64_e32 v[2:3], 2, v[2:3]
	v_add_co_ci_u32_e64 v7, null, 0, v19, vcc_lo
	s_wait_alu 0xfffe
	v_add_co_u32 v8, vcc_lo, v4, s0
	s_wait_alu 0xfffd
	v_add_co_ci_u32_e64 v9, null, s1, v5, vcc_lo
	s_lshl_b64 s[0:1], s[8:9], 2
	v_cmp_gt_i64_e64 s8, s[28:29], 0
	v_lshlrev_b64_e32 v[4:5], 2, v[6:7]
	v_add_co_u32 v19, vcc_lo, v8, v21
	s_wait_alu 0xfffd
	v_add_co_ci_u32_e64 v20, null, 0, v9, vcc_lo
	s_delay_alu instid0(VALU_DEP_4)
	v_cndmask_b32_e64 v6, 0, 1, s8
	s_wait_alu 0xfffe
	v_add_co_u32 v21, vcc_lo, s0, v4
	s_wait_alu 0xfffd
	v_add_co_ci_u32_e64 v22, null, s1, v5, vcc_lo
	v_lshlrev_b64_e32 v[0:1], 2, v[0:1]
	v_lshlrev_b64_e32 v[4:5], 2, v[11:12]
	v_cmp_ne_u32_e64 s0, 1, v6
	s_lshl_b64 s[6:7], s[6:7], 5
	s_lshl_b64 s[8:9], s[22:23], 2
	;; [unrolled: 1-line block ×4, first 2 shown]
	s_branch .LBB185_3
.LBB185_2:                              ;   in Loop: Header=BB185_3 Depth=1
	s_add_co_i32 s2, s2, 0x10000
	s_wait_alu 0xfffe
	s_cmp_lt_i32 s2, s31
	s_cbranch_scc0 .LBB185_10
.LBB185_3:                              ; =>This Loop Header: Depth=1
                                        ;     Child Loop BB185_5 Depth 2
	s_lshl_b64 s[22:23], s[2:3], 3
	v_dual_mov_b32 v26, 0 :: v_dual_mov_b32 v25, 0
	s_wait_alu 0xfffe
	s_add_nc_u64 s[26:27], s[12:13], s[22:23]
	s_add_nc_u64 s[34:35], s[18:19], s[22:23]
	s_clause 0x1
	global_load_b64 v[6:7], v14, s[26:27]
	global_load_b64 v[8:9], v14, s[34:35]
	v_dual_mov_b32 v24, 0 :: v_dual_mov_b32 v23, 0
	s_and_b32 vcc_lo, exec_lo, s0
	s_wait_alu 0xfffe
	s_cbranch_vccnz .LBB185_6
; %bb.4:                                ;   in Loop: Header=BB185_3 Depth=1
	s_add_nc_u64 s[26:27], s[10:11], s[22:23]
	s_add_nc_u64 s[22:23], s[4:5], s[22:23]
	s_clause 0x1
	global_load_b64 v[10:11], v14, s[26:27]
	global_load_b64 v[12:13], v14, s[22:23]
	v_dual_mov_b32 v23, 0 :: v_dual_mov_b32 v24, 0
	v_dual_mov_b32 v25, 0 :: v_dual_mov_b32 v26, 0
	s_mov_b64 s[22:23], 0
	s_wait_loadcnt 0x1
	v_add_co_u32 v10, vcc_lo, v10, v19
	s_wait_alu 0xfffd
	v_add_co_ci_u32_e64 v11, null, v11, v20, vcc_lo
	s_wait_loadcnt 0x0
	v_add_co_u32 v12, vcc_lo, v12, v21
	s_wait_alu 0xfffd
	v_add_co_ci_u32_e64 v13, null, v13, v22, vcc_lo
.LBB185_5:                              ;   Parent Loop BB185_3 Depth=1
                                        ; =>  This Inner Loop Header: Depth=2
	flat_load_b32 v27, v[12:13]
	s_wait_alu 0xfffe
	s_add_nc_u64 s[22:23], s[22:23], 8
	v_add_co_u32 v12, vcc_lo, v12, s6
	s_wait_alu 0xfffe
	v_cmp_lt_i64_e64 s1, s[22:23], s[28:29]
	s_wait_alu 0xfffd
	v_add_co_ci_u32_e64 v13, null, s7, v13, vcc_lo
	s_and_b32 vcc_lo, exec_lo, s1
	s_wait_loadcnt_dscnt 0x0
	ds_store_b32 v15, v27
	flat_load_b32 v27, v[10:11]
	v_add_co_u32 v10, s1, v10, 32
	s_wait_alu 0xf1ff
	v_add_co_ci_u32_e64 v11, null, 0, v11, s1
	s_wait_loadcnt_dscnt 0x0
	ds_store_b32 v16, v27
	s_wait_dscnt 0x0
	s_barrier_signal -1
	s_barrier_wait -1
	global_inv scope:SCOPE_SE
	ds_load_b128 v[27:30], v18
	ds_load_2addr_b32 v[43:44], v17 offset1:16
	ds_load_b128 v[31:34], v18 offset:512
	ds_load_2addr_b32 v[45:46], v17 offset0:32 offset1:48
	ds_load_2addr_b32 v[47:48], v17 offset0:64 offset1:80
	ds_load_b128 v[35:38], v18 offset:16
	ds_load_2addr_b32 v[49:50], v17 offset0:96 offset1:112
	ds_load_2addr_b32 v[51:52], v17 offset0:128 offset1:144
	;; [unrolled: 3-line block ×3, first 2 shown]
	ds_load_2addr_b32 v[57:58], v17 offset0:224 offset1:240
	s_wait_loadcnt_dscnt 0x0
	s_barrier_signal -1
	s_barrier_wait -1
	global_inv scope:SCOPE_SE
	v_fmac_f32_e32 v25, v44, v27
	v_fmac_f32_e32 v26, v43, v27
	;; [unrolled: 1-line block ×3, first 2 shown]
	s_delay_alu instid0(VALU_DEP_3) | instskip(NEXT) | instid1(VALU_DEP_3)
	v_dual_fmac_f32 v24, v43, v31 :: v_dual_fmac_f32 v25, v46, v28
	v_fmac_f32_e32 v26, v45, v28
	s_delay_alu instid0(VALU_DEP_3) | instskip(NEXT) | instid1(VALU_DEP_3)
	v_fmac_f32_e32 v23, v46, v32
	v_dual_fmac_f32 v24, v45, v32 :: v_dual_fmac_f32 v25, v48, v29
	s_delay_alu instid0(VALU_DEP_3) | instskip(NEXT) | instid1(VALU_DEP_3)
	v_fmac_f32_e32 v26, v47, v29
	v_fmac_f32_e32 v23, v48, v33
	s_delay_alu instid0(VALU_DEP_3) | instskip(NEXT) | instid1(VALU_DEP_3)
	v_dual_fmac_f32 v24, v47, v33 :: v_dual_fmac_f32 v25, v50, v30
	v_fmac_f32_e32 v26, v49, v30
	s_delay_alu instid0(VALU_DEP_3) | instskip(NEXT) | instid1(VALU_DEP_3)
	v_fmac_f32_e32 v23, v50, v34
	v_dual_fmac_f32 v24, v49, v34 :: v_dual_fmac_f32 v25, v52, v35
	s_delay_alu instid0(VALU_DEP_3) | instskip(NEXT) | instid1(VALU_DEP_3)
	v_fmac_f32_e32 v26, v51, v35
	v_fmac_f32_e32 v23, v52, v39
	;; [unrolled: 9-line block ×3, first 2 shown]
	s_delay_alu instid0(VALU_DEP_3) | instskip(NEXT) | instid1(VALU_DEP_3)
	v_dual_fmac_f32 v24, v55, v41 :: v_dual_fmac_f32 v25, v58, v38
	v_fmac_f32_e32 v26, v57, v38
	s_delay_alu instid0(VALU_DEP_3) | instskip(NEXT) | instid1(VALU_DEP_3)
	v_fmac_f32_e32 v23, v58, v42
	v_fmac_f32_e32 v24, v57, v42
	s_wait_alu 0xfffe
	s_cbranch_vccnz .LBB185_5
.LBB185_6:                              ;   in Loop: Header=BB185_3 Depth=1
	s_wait_loadcnt 0x0
	v_add_co_u32 v8, vcc_lo, v8, s8
	s_wait_alu 0xfffd
	v_add_co_ci_u32_e64 v9, null, s9, v9, vcc_lo
	s_and_not1_b32 vcc_lo, exec_lo, s24
	s_wait_alu 0xfffe
	s_cbranch_vccnz .LBB185_8
; %bb.7:                                ;   in Loop: Header=BB185_3 Depth=1
	v_add_co_u32 v12, vcc_lo, v8, v2
	s_wait_alu 0xfffd
	v_add_co_ci_u32_e64 v13, null, v9, v3, vcc_lo
	v_dual_mul_f32 v27, s30, v26 :: v_dual_mul_f32 v28, s30, v25
	s_delay_alu instid0(VALU_DEP_3) | instskip(SKIP_1) | instid1(VALU_DEP_3)
	v_add_co_u32 v10, vcc_lo, v12, v4
	s_wait_alu 0xfffd
	v_add_co_ci_u32_e64 v11, null, v13, v5, vcc_lo
	v_add_co_u32 v12, vcc_lo, v12, s20
	s_wait_alu 0xfffd
	v_add_co_ci_u32_e64 v13, null, s21, v13, vcc_lo
	v_dual_mul_f32 v29, s30, v24 :: v_dual_mul_f32 v30, s30, v23
	s_delay_alu instid0(VALU_DEP_3) | instskip(SKIP_1) | instid1(VALU_DEP_3)
	v_add_co_u32 v12, vcc_lo, v12, v4
	s_wait_alu 0xfffd
	v_add_co_ci_u32_e64 v13, null, v13, v5, vcc_lo
	s_clause 0x3
	flat_store_b32 v[10:11], v27
	flat_store_b32 v[10:11], v28 offset:64
	flat_store_b32 v[12:13], v29
	flat_store_b32 v[12:13], v30 offset:64
	s_cbranch_execnz .LBB185_2
	s_branch .LBB185_9
.LBB185_8:                              ;   in Loop: Header=BB185_3 Depth=1
.LBB185_9:                              ;   in Loop: Header=BB185_3 Depth=1
	v_add_co_u32 v6, vcc_lo, v6, s14
	s_wait_alu 0xfffd
	v_add_co_ci_u32_e64 v7, null, s15, v7, vcc_lo
	s_delay_alu instid0(VALU_DEP_2) | instskip(SKIP_1) | instid1(VALU_DEP_2)
	v_add_co_u32 v10, vcc_lo, v6, v0
	s_wait_alu 0xfffd
	v_add_co_ci_u32_e64 v11, null, v7, v1, vcc_lo
	s_delay_alu instid0(VALU_DEP_2) | instskip(SKIP_1) | instid1(VALU_DEP_2)
	v_add_co_u32 v6, vcc_lo, v10, v4
	s_wait_alu 0xfffd
	v_add_co_ci_u32_e64 v7, null, v11, v5, vcc_lo
	v_add_co_u32 v13, vcc_lo, v8, v2
	s_wait_alu 0xfffd
	v_add_co_ci_u32_e64 v27, null, v9, v3, vcc_lo
	flat_load_b32 v12, v[6:7]
	v_add_co_u32 v8, vcc_lo, v13, v4
	s_wait_alu 0xfffd
	v_add_co_ci_u32_e64 v9, null, v27, v5, vcc_lo
	s_wait_loadcnt_dscnt 0x0
	v_mul_f32_e32 v12, s33, v12
	s_delay_alu instid0(VALU_DEP_1)
	v_fmac_f32_e32 v12, s30, v26
	flat_store_b32 v[8:9], v12
	flat_load_b32 v6, v[6:7] offset:64
	s_wait_loadcnt_dscnt 0x0
	v_mul_f32_e32 v12, s33, v6
	v_add_co_u32 v6, vcc_lo, v10, s16
	s_wait_alu 0xfffd
	v_add_co_ci_u32_e64 v7, null, s17, v11, vcc_lo
	s_delay_alu instid0(VALU_DEP_3) | instskip(NEXT) | instid1(VALU_DEP_3)
	v_fmac_f32_e32 v12, s30, v25
	v_add_co_u32 v6, vcc_lo, v6, v4
	s_wait_alu 0xfffd
	s_delay_alu instid0(VALU_DEP_3)
	v_add_co_ci_u32_e64 v7, null, v7, v5, vcc_lo
	flat_store_b32 v[8:9], v12 offset:64
	flat_load_b32 v8, v[6:7]
	s_wait_loadcnt_dscnt 0x0
	v_mul_f32_e32 v10, s33, v8
	v_add_co_u32 v8, vcc_lo, v13, s20
	s_wait_alu 0xfffd
	v_add_co_ci_u32_e64 v9, null, s21, v27, vcc_lo
	s_delay_alu instid0(VALU_DEP_3) | instskip(NEXT) | instid1(VALU_DEP_3)
	v_fmac_f32_e32 v10, s30, v24
	v_add_co_u32 v8, vcc_lo, v8, v4
	s_wait_alu 0xfffd
	s_delay_alu instid0(VALU_DEP_3) | instskip(SKIP_4) | instid1(VALU_DEP_1)
	v_add_co_ci_u32_e64 v9, null, v9, v5, vcc_lo
	flat_store_b32 v[8:9], v10
	flat_load_b32 v6, v[6:7] offset:64
	s_wait_loadcnt_dscnt 0x0
	v_mul_f32_e32 v6, s33, v6
	v_fmac_f32_e32 v6, s30, v23
	flat_store_b32 v[8:9], v6 offset:64
	s_branch .LBB185_2
.LBB185_10:
	s_endpgm
	.section	.rodata,"a",@progbits
	.p2align	6, 0x0
	.amdhsa_kernel _ZN12_GLOBAL__N_127rocblas_gemm_batched_kernelIfLi16ELi16ELi32ELi32ELi8ELi32ELi8ELi8ELi32ELc78ELc78EKPKfS3_KPfEEvlllT_PT11_llS8_llS6_PT12_llPT13_lli
		.amdhsa_group_segment_fixed_size 2048
		.amdhsa_private_segment_fixed_size 0
		.amdhsa_kernarg_size 140
		.amdhsa_user_sgpr_count 2
		.amdhsa_user_sgpr_dispatch_ptr 0
		.amdhsa_user_sgpr_queue_ptr 0
		.amdhsa_user_sgpr_kernarg_segment_ptr 1
		.amdhsa_user_sgpr_dispatch_id 0
		.amdhsa_user_sgpr_private_segment_size 0
		.amdhsa_wavefront_size32 1
		.amdhsa_uses_dynamic_stack 0
		.amdhsa_enable_private_segment 0
		.amdhsa_system_sgpr_workgroup_id_x 1
		.amdhsa_system_sgpr_workgroup_id_y 1
		.amdhsa_system_sgpr_workgroup_id_z 1
		.amdhsa_system_sgpr_workgroup_info 0
		.amdhsa_system_vgpr_workitem_id 1
		.amdhsa_next_free_vgpr 59
		.amdhsa_next_free_sgpr 36
		.amdhsa_reserve_vcc 1
		.amdhsa_float_round_mode_32 0
		.amdhsa_float_round_mode_16_64 0
		.amdhsa_float_denorm_mode_32 3
		.amdhsa_float_denorm_mode_16_64 3
		.amdhsa_fp16_overflow 0
		.amdhsa_workgroup_processor_mode 1
		.amdhsa_memory_ordered 1
		.amdhsa_forward_progress 1
		.amdhsa_inst_pref_size 14
		.amdhsa_round_robin_scheduling 0
		.amdhsa_exception_fp_ieee_invalid_op 0
		.amdhsa_exception_fp_denorm_src 0
		.amdhsa_exception_fp_ieee_div_zero 0
		.amdhsa_exception_fp_ieee_overflow 0
		.amdhsa_exception_fp_ieee_underflow 0
		.amdhsa_exception_fp_ieee_inexact 0
		.amdhsa_exception_int_div_zero 0
	.end_amdhsa_kernel
	.section	.text._ZN12_GLOBAL__N_127rocblas_gemm_batched_kernelIfLi16ELi16ELi32ELi32ELi8ELi32ELi8ELi8ELi32ELc78ELc78EKPKfS3_KPfEEvlllT_PT11_llS8_llS6_PT12_llPT13_lli,"axG",@progbits,_ZN12_GLOBAL__N_127rocblas_gemm_batched_kernelIfLi16ELi16ELi32ELi32ELi8ELi32ELi8ELi8ELi32ELc78ELc78EKPKfS3_KPfEEvlllT_PT11_llS8_llS6_PT12_llPT13_lli,comdat
.Lfunc_end185:
	.size	_ZN12_GLOBAL__N_127rocblas_gemm_batched_kernelIfLi16ELi16ELi32ELi32ELi8ELi32ELi8ELi8ELi32ELc78ELc78EKPKfS3_KPfEEvlllT_PT11_llS8_llS6_PT12_llPT13_lli, .Lfunc_end185-_ZN12_GLOBAL__N_127rocblas_gemm_batched_kernelIfLi16ELi16ELi32ELi32ELi8ELi32ELi8ELi8ELi32ELc78ELc78EKPKfS3_KPfEEvlllT_PT11_llS8_llS6_PT12_llPT13_lli
                                        ; -- End function
	.set _ZN12_GLOBAL__N_127rocblas_gemm_batched_kernelIfLi16ELi16ELi32ELi32ELi8ELi32ELi8ELi8ELi32ELc78ELc78EKPKfS3_KPfEEvlllT_PT11_llS8_llS6_PT12_llPT13_lli.num_vgpr, 59
	.set _ZN12_GLOBAL__N_127rocblas_gemm_batched_kernelIfLi16ELi16ELi32ELi32ELi8ELi32ELi8ELi8ELi32ELc78ELc78EKPKfS3_KPfEEvlllT_PT11_llS8_llS6_PT12_llPT13_lli.num_agpr, 0
	.set _ZN12_GLOBAL__N_127rocblas_gemm_batched_kernelIfLi16ELi16ELi32ELi32ELi8ELi32ELi8ELi8ELi32ELc78ELc78EKPKfS3_KPfEEvlllT_PT11_llS8_llS6_PT12_llPT13_lli.numbered_sgpr, 36
	.set _ZN12_GLOBAL__N_127rocblas_gemm_batched_kernelIfLi16ELi16ELi32ELi32ELi8ELi32ELi8ELi8ELi32ELc78ELc78EKPKfS3_KPfEEvlllT_PT11_llS8_llS6_PT12_llPT13_lli.num_named_barrier, 0
	.set _ZN12_GLOBAL__N_127rocblas_gemm_batched_kernelIfLi16ELi16ELi32ELi32ELi8ELi32ELi8ELi8ELi32ELc78ELc78EKPKfS3_KPfEEvlllT_PT11_llS8_llS6_PT12_llPT13_lli.private_seg_size, 0
	.set _ZN12_GLOBAL__N_127rocblas_gemm_batched_kernelIfLi16ELi16ELi32ELi32ELi8ELi32ELi8ELi8ELi32ELc78ELc78EKPKfS3_KPfEEvlllT_PT11_llS8_llS6_PT12_llPT13_lli.uses_vcc, 1
	.set _ZN12_GLOBAL__N_127rocblas_gemm_batched_kernelIfLi16ELi16ELi32ELi32ELi8ELi32ELi8ELi8ELi32ELc78ELc78EKPKfS3_KPfEEvlllT_PT11_llS8_llS6_PT12_llPT13_lli.uses_flat_scratch, 1
	.set _ZN12_GLOBAL__N_127rocblas_gemm_batched_kernelIfLi16ELi16ELi32ELi32ELi8ELi32ELi8ELi8ELi32ELc78ELc78EKPKfS3_KPfEEvlllT_PT11_llS8_llS6_PT12_llPT13_lli.has_dyn_sized_stack, 0
	.set _ZN12_GLOBAL__N_127rocblas_gemm_batched_kernelIfLi16ELi16ELi32ELi32ELi8ELi32ELi8ELi8ELi32ELc78ELc78EKPKfS3_KPfEEvlllT_PT11_llS8_llS6_PT12_llPT13_lli.has_recursion, 0
	.set _ZN12_GLOBAL__N_127rocblas_gemm_batched_kernelIfLi16ELi16ELi32ELi32ELi8ELi32ELi8ELi8ELi32ELc78ELc78EKPKfS3_KPfEEvlllT_PT11_llS8_llS6_PT12_llPT13_lli.has_indirect_call, 0
	.section	.AMDGPU.csdata,"",@progbits
; Kernel info:
; codeLenInByte = 1700
; TotalNumSgprs: 38
; NumVgprs: 59
; ScratchSize: 0
; MemoryBound: 0
; FloatMode: 240
; IeeeMode: 1
; LDSByteSize: 2048 bytes/workgroup (compile time only)
; SGPRBlocks: 0
; VGPRBlocks: 7
; NumSGPRsForWavesPerEU: 38
; NumVGPRsForWavesPerEU: 59
; Occupancy: 16
; WaveLimiterHint : 1
; COMPUTE_PGM_RSRC2:SCRATCH_EN: 0
; COMPUTE_PGM_RSRC2:USER_SGPR: 2
; COMPUTE_PGM_RSRC2:TRAP_HANDLER: 0
; COMPUTE_PGM_RSRC2:TGID_X_EN: 1
; COMPUTE_PGM_RSRC2:TGID_Y_EN: 1
; COMPUTE_PGM_RSRC2:TGID_Z_EN: 1
; COMPUTE_PGM_RSRC2:TIDIG_COMP_CNT: 1
	.section	.text._ZN12_GLOBAL__N_127rocblas_gemm_batched_kernelIfLi16ELi16ELi32ELi32ELi8ELi32ELi8ELi8ELi32ELc84ELc78EKPKfS3_KPfEEvlllT_PT11_llS8_llS6_PT12_llPT13_lli,"axG",@progbits,_ZN12_GLOBAL__N_127rocblas_gemm_batched_kernelIfLi16ELi16ELi32ELi32ELi8ELi32ELi8ELi8ELi32ELc84ELc78EKPKfS3_KPfEEvlllT_PT11_llS8_llS6_PT12_llPT13_lli,comdat
	.globl	_ZN12_GLOBAL__N_127rocblas_gemm_batched_kernelIfLi16ELi16ELi32ELi32ELi8ELi32ELi8ELi8ELi32ELc84ELc78EKPKfS3_KPfEEvlllT_PT11_llS8_llS6_PT12_llPT13_lli ; -- Begin function _ZN12_GLOBAL__N_127rocblas_gemm_batched_kernelIfLi16ELi16ELi32ELi32ELi8ELi32ELi8ELi8ELi32ELc84ELc78EKPKfS3_KPfEEvlllT_PT11_llS8_llS6_PT12_llPT13_lli
	.p2align	8
	.type	_ZN12_GLOBAL__N_127rocblas_gemm_batched_kernelIfLi16ELi16ELi32ELi32ELi8ELi32ELi8ELi8ELi32ELc84ELc78EKPKfS3_KPfEEvlllT_PT11_llS8_llS6_PT12_llPT13_lli,@function
_ZN12_GLOBAL__N_127rocblas_gemm_batched_kernelIfLi16ELi16ELi32ELi32ELi8ELi32ELi8ELi8ELi32ELc84ELc78EKPKfS3_KPfEEvlllT_PT11_llS8_llS6_PT12_llPT13_lli: ; @_ZN12_GLOBAL__N_127rocblas_gemm_batched_kernelIfLi16ELi16ELi32ELi32ELi8ELi32ELi8ELi8ELi32ELc84ELc78EKPKfS3_KPfEEvlllT_PT11_llS8_llS6_PT12_llPT13_lli
; %bb.0:
	s_load_b32 s31, s[0:1], 0x88
	s_lshr_b32 s2, ttmp7, 16
	s_wait_kmcnt 0x0
	s_cmp_ge_i32 s2, s31
	s_cbranch_scc1 .LBB186_10
; %bb.1:
	v_and_b32_e32 v10, 0x3ff, v0
	v_bfe_u32 v6, v0, 10, 10
	s_clause 0x5
	s_load_b96 s[28:30], s[0:1], 0x10
	s_load_b256 s[4:11], s[0:1], 0x20
	s_load_b128 s[20:23], s[0:1], 0x78
	s_load_b128 s[24:27], s[0:1], 0x40
	s_load_b32 s33, s[0:1], 0x50
	s_load_b256 s[12:19], s[0:1], 0x58
	v_lshlrev_b32_e32 v0, 2, v0
	s_lshl_b32 s0, ttmp7, 5
	v_lshl_add_u32 v1, v6, 4, v10
	v_mov_b32_e32 v14, 0
	s_and_b32 s3, s0, 0x1fffe0
	v_and_b32_e32 v19, 28, v0
	v_add_nc_u32_e32 v9, s3, v6
	v_and_b32_e32 v11, 31, v1
	v_lshrrev_b32_e32 v13, 5, v1
	v_lshrrev_b32_e32 v1, 3, v1
	s_mov_b32 s34, ttmp9
	s_ashr_i32 s35, ttmp9, 31
	v_lshlrev_b32_e32 v0, 2, v11
	v_lshl_add_u32 v18, v6, 5, 0x400
	v_lshl_or_b32 v2, v1, 5, v19
	v_add_nc_u32_e32 v8, s3, v1
	s_lshl_b64 s[0:1], s[34:35], 5
	v_lshl_or_b32 v15, v13, 7, v0
	s_wait_kmcnt 0x0
	s_cmp_eq_f32 s33, 0
	v_add_nc_u32_e32 v16, 0x400, v2
	v_mad_co_u64_u32 v[2:3], null, v9, s20, 0
	v_mad_co_u64_u32 v[4:5], null, v9, s14, 0
	;; [unrolled: 1-line block ×3, first 2 shown]
	s_cselect_b32 s24, -1, 0
	s_lshl_b64 s[34:35], s[14:15], 4
	s_mov_b32 s3, 0
	v_mad_co_u64_u32 v[6:7], null, v9, s21, v[3:4]
	v_mad_co_u64_u32 v[7:8], null, s25, v8, v[1:2]
	v_or_b32_e32 v3, s0, v11
	s_lshl_b64 s[20:21], s[20:21], 4
	s_delay_alu instid0(VALU_DEP_3) | instskip(NEXT) | instid1(VALU_DEP_3)
	v_mad_co_u64_u32 v[8:9], null, v9, s15, v[5:6]
	v_mov_b32_e32 v1, v7
	s_delay_alu instid0(VALU_DEP_3)
	v_mul_lo_u32 v7, s7, v3
	v_mad_co_u64_u32 v[11:12], null, s6, v3, 0
	s_mul_i32 s6, s6, s1
	v_lshlrev_b64_e32 v[0:1], 2, v[0:1]
	v_add_co_u32 v9, s0, s0, v10
	v_lshlrev_b32_e32 v17, 2, v10
	s_wait_alu 0xf1ff
	v_add_co_ci_u32_e64 v10, null, s1, 0, s0
	s_wait_alu 0xfffe
	v_add3_u32 v12, v12, s6, v7
	s_lshl_b64 s[0:1], s[26:27], 2
	v_mov_b32_e32 v3, v6
	s_wait_alu 0xfffe
	v_add_co_u32 v6, vcc_lo, v0, s0
	s_delay_alu instid0(VALU_DEP_1) | instskip(SKIP_1) | instid1(VALU_DEP_3)
	v_add_co_ci_u32_e64 v7, null, s1, v1, vcc_lo
	v_lshlrev_b64_e32 v[0:1], 2, v[11:12]
	v_add_co_u32 v19, vcc_lo, v6, v19
	s_lshl_b64 s[0:1], s[8:9], 2
	s_wait_alu 0xfffd
	v_add_co_ci_u32_e64 v20, null, 0, v7, vcc_lo
	s_wait_alu 0xfffe
	v_add_co_u32 v0, vcc_lo, v0, s0
	v_cmp_gt_i64_e64 s0, s[28:29], 0
	v_dual_mov_b32 v5, v8 :: v_dual_lshlrev_b32 v6, 2, v13
	s_wait_alu 0xfffd
	v_add_co_ci_u32_e64 v1, null, s1, v1, vcc_lo
	v_lshlrev_b64_e32 v[2:3], 2, v[2:3]
	s_wait_alu 0xf1ff
	v_cndmask_b32_e64 v7, 0, 1, s0
	v_add_co_u32 v21, vcc_lo, v0, v6
	s_wait_alu 0xfffd
	v_add_co_ci_u32_e64 v22, null, 0, v1, vcc_lo
	v_lshlrev_b64_e32 v[0:1], 2, v[4:5]
	v_lshlrev_b64_e32 v[4:5], 2, v[9:10]
	v_cmp_ne_u32_e64 s0, 1, v7
	s_lshl_b64 s[6:7], s[22:23], 2
	s_lshl_b64 s[8:9], s[20:21], 2
	;; [unrolled: 1-line block ×4, first 2 shown]
	s_branch .LBB186_3
.LBB186_2:                              ;   in Loop: Header=BB186_3 Depth=1
	s_add_co_i32 s2, s2, 0x10000
	s_wait_alu 0xfffe
	s_cmp_lt_i32 s2, s31
	s_cbranch_scc0 .LBB186_10
.LBB186_3:                              ; =>This Loop Header: Depth=1
                                        ;     Child Loop BB186_5 Depth 2
	s_lshl_b64 s[20:21], s[2:3], 3
	v_dual_mov_b32 v26, 0 :: v_dual_mov_b32 v25, 0
	s_wait_alu 0xfffe
	s_add_nc_u64 s[22:23], s[12:13], s[20:21]
	s_add_nc_u64 s[26:27], s[18:19], s[20:21]
	s_clause 0x1
	global_load_b64 v[6:7], v14, s[22:23]
	global_load_b64 v[8:9], v14, s[26:27]
	v_dual_mov_b32 v24, 0 :: v_dual_mov_b32 v23, 0
	s_and_b32 vcc_lo, exec_lo, s0
	s_wait_alu 0xfffe
	s_cbranch_vccnz .LBB186_6
; %bb.4:                                ;   in Loop: Header=BB186_3 Depth=1
	s_add_nc_u64 s[22:23], s[10:11], s[20:21]
	s_add_nc_u64 s[20:21], s[4:5], s[20:21]
	s_clause 0x1
	global_load_b64 v[10:11], v14, s[22:23]
	global_load_b64 v[12:13], v14, s[20:21]
	v_dual_mov_b32 v23, 0 :: v_dual_mov_b32 v24, 0
	v_dual_mov_b32 v25, 0 :: v_dual_mov_b32 v26, 0
	s_mov_b64 s[20:21], 0
	s_wait_loadcnt 0x1
	v_add_co_u32 v10, vcc_lo, v10, v19
	s_wait_alu 0xfffd
	v_add_co_ci_u32_e64 v11, null, v11, v20, vcc_lo
	s_wait_loadcnt 0x0
	v_add_co_u32 v12, vcc_lo, v12, v21
	s_wait_alu 0xfffd
	v_add_co_ci_u32_e64 v13, null, v13, v22, vcc_lo
.LBB186_5:                              ;   Parent Loop BB186_3 Depth=1
                                        ; =>  This Inner Loop Header: Depth=2
	flat_load_b32 v27, v[12:13]
	s_wait_alu 0xfffe
	s_add_nc_u64 s[20:21], s[20:21], 8
	v_add_co_u32 v12, vcc_lo, v12, 32
	s_wait_alu 0xfffe
	v_cmp_lt_i64_e64 s1, s[20:21], s[28:29]
	s_wait_alu 0xfffd
	v_add_co_ci_u32_e64 v13, null, 0, v13, vcc_lo
	s_and_b32 vcc_lo, exec_lo, s1
	s_wait_loadcnt_dscnt 0x0
	ds_store_b32 v15, v27
	flat_load_b32 v27, v[10:11]
	v_add_co_u32 v10, s1, v10, 32
	s_wait_alu 0xf1ff
	v_add_co_ci_u32_e64 v11, null, 0, v11, s1
	s_wait_loadcnt_dscnt 0x0
	ds_store_b32 v16, v27
	s_wait_dscnt 0x0
	s_barrier_signal -1
	s_barrier_wait -1
	global_inv scope:SCOPE_SE
	ds_load_b128 v[27:30], v18
	ds_load_2addr_b32 v[43:44], v17 offset1:16
	ds_load_b128 v[31:34], v18 offset:512
	ds_load_2addr_b32 v[45:46], v17 offset0:32 offset1:48
	ds_load_2addr_b32 v[47:48], v17 offset0:64 offset1:80
	ds_load_b128 v[35:38], v18 offset:16
	ds_load_2addr_b32 v[49:50], v17 offset0:96 offset1:112
	ds_load_2addr_b32 v[51:52], v17 offset0:128 offset1:144
	;; [unrolled: 3-line block ×3, first 2 shown]
	ds_load_2addr_b32 v[57:58], v17 offset0:224 offset1:240
	s_wait_loadcnt_dscnt 0x0
	s_barrier_signal -1
	s_barrier_wait -1
	global_inv scope:SCOPE_SE
	v_fmac_f32_e32 v25, v44, v27
	v_fmac_f32_e32 v26, v43, v27
	;; [unrolled: 1-line block ×3, first 2 shown]
	s_delay_alu instid0(VALU_DEP_3) | instskip(NEXT) | instid1(VALU_DEP_3)
	v_dual_fmac_f32 v24, v43, v31 :: v_dual_fmac_f32 v25, v46, v28
	v_fmac_f32_e32 v26, v45, v28
	s_delay_alu instid0(VALU_DEP_3) | instskip(NEXT) | instid1(VALU_DEP_3)
	v_fmac_f32_e32 v23, v46, v32
	v_dual_fmac_f32 v24, v45, v32 :: v_dual_fmac_f32 v25, v48, v29
	s_delay_alu instid0(VALU_DEP_3) | instskip(NEXT) | instid1(VALU_DEP_3)
	v_fmac_f32_e32 v26, v47, v29
	v_fmac_f32_e32 v23, v48, v33
	s_delay_alu instid0(VALU_DEP_3) | instskip(NEXT) | instid1(VALU_DEP_3)
	v_dual_fmac_f32 v24, v47, v33 :: v_dual_fmac_f32 v25, v50, v30
	v_fmac_f32_e32 v26, v49, v30
	s_delay_alu instid0(VALU_DEP_3) | instskip(NEXT) | instid1(VALU_DEP_3)
	v_fmac_f32_e32 v23, v50, v34
	v_dual_fmac_f32 v24, v49, v34 :: v_dual_fmac_f32 v25, v52, v35
	s_delay_alu instid0(VALU_DEP_3) | instskip(NEXT) | instid1(VALU_DEP_3)
	v_fmac_f32_e32 v26, v51, v35
	v_fmac_f32_e32 v23, v52, v39
	;; [unrolled: 9-line block ×3, first 2 shown]
	s_delay_alu instid0(VALU_DEP_3) | instskip(NEXT) | instid1(VALU_DEP_3)
	v_dual_fmac_f32 v24, v55, v41 :: v_dual_fmac_f32 v25, v58, v38
	v_fmac_f32_e32 v26, v57, v38
	s_delay_alu instid0(VALU_DEP_3) | instskip(NEXT) | instid1(VALU_DEP_3)
	v_fmac_f32_e32 v23, v58, v42
	v_fmac_f32_e32 v24, v57, v42
	s_wait_alu 0xfffe
	s_cbranch_vccnz .LBB186_5
.LBB186_6:                              ;   in Loop: Header=BB186_3 Depth=1
	s_wait_loadcnt 0x0
	v_add_co_u32 v8, vcc_lo, v8, s6
	s_wait_alu 0xfffd
	v_add_co_ci_u32_e64 v9, null, s7, v9, vcc_lo
	s_and_not1_b32 vcc_lo, exec_lo, s24
	s_wait_alu 0xfffe
	s_cbranch_vccnz .LBB186_8
; %bb.7:                                ;   in Loop: Header=BB186_3 Depth=1
	v_add_co_u32 v12, vcc_lo, v8, v2
	s_wait_alu 0xfffd
	v_add_co_ci_u32_e64 v13, null, v9, v3, vcc_lo
	v_dual_mul_f32 v27, s30, v26 :: v_dual_mul_f32 v28, s30, v25
	s_delay_alu instid0(VALU_DEP_3) | instskip(SKIP_1) | instid1(VALU_DEP_3)
	v_add_co_u32 v10, vcc_lo, v12, v4
	s_wait_alu 0xfffd
	v_add_co_ci_u32_e64 v11, null, v13, v5, vcc_lo
	v_add_co_u32 v12, vcc_lo, v12, s8
	s_wait_alu 0xfffd
	v_add_co_ci_u32_e64 v13, null, s9, v13, vcc_lo
	v_dual_mul_f32 v29, s30, v24 :: v_dual_mul_f32 v30, s30, v23
	s_delay_alu instid0(VALU_DEP_3) | instskip(SKIP_1) | instid1(VALU_DEP_3)
	v_add_co_u32 v12, vcc_lo, v12, v4
	s_wait_alu 0xfffd
	v_add_co_ci_u32_e64 v13, null, v13, v5, vcc_lo
	s_clause 0x3
	flat_store_b32 v[10:11], v27
	flat_store_b32 v[10:11], v28 offset:64
	flat_store_b32 v[12:13], v29
	flat_store_b32 v[12:13], v30 offset:64
	s_cbranch_execnz .LBB186_2
	s_branch .LBB186_9
.LBB186_8:                              ;   in Loop: Header=BB186_3 Depth=1
.LBB186_9:                              ;   in Loop: Header=BB186_3 Depth=1
	v_add_co_u32 v6, vcc_lo, v6, s14
	s_wait_alu 0xfffd
	v_add_co_ci_u32_e64 v7, null, s15, v7, vcc_lo
	s_delay_alu instid0(VALU_DEP_2) | instskip(SKIP_1) | instid1(VALU_DEP_2)
	v_add_co_u32 v10, vcc_lo, v6, v0
	s_wait_alu 0xfffd
	v_add_co_ci_u32_e64 v11, null, v7, v1, vcc_lo
	s_delay_alu instid0(VALU_DEP_2) | instskip(SKIP_1) | instid1(VALU_DEP_2)
	v_add_co_u32 v6, vcc_lo, v10, v4
	s_wait_alu 0xfffd
	v_add_co_ci_u32_e64 v7, null, v11, v5, vcc_lo
	v_add_co_u32 v13, vcc_lo, v8, v2
	s_wait_alu 0xfffd
	v_add_co_ci_u32_e64 v27, null, v9, v3, vcc_lo
	flat_load_b32 v12, v[6:7]
	v_add_co_u32 v8, vcc_lo, v13, v4
	s_wait_alu 0xfffd
	v_add_co_ci_u32_e64 v9, null, v27, v5, vcc_lo
	s_wait_loadcnt_dscnt 0x0
	v_mul_f32_e32 v12, s33, v12
	s_delay_alu instid0(VALU_DEP_1)
	v_fmac_f32_e32 v12, s30, v26
	flat_store_b32 v[8:9], v12
	flat_load_b32 v6, v[6:7] offset:64
	s_wait_loadcnt_dscnt 0x0
	v_mul_f32_e32 v12, s33, v6
	v_add_co_u32 v6, vcc_lo, v10, s16
	s_wait_alu 0xfffd
	v_add_co_ci_u32_e64 v7, null, s17, v11, vcc_lo
	s_delay_alu instid0(VALU_DEP_3) | instskip(NEXT) | instid1(VALU_DEP_3)
	v_fmac_f32_e32 v12, s30, v25
	v_add_co_u32 v6, vcc_lo, v6, v4
	s_wait_alu 0xfffd
	s_delay_alu instid0(VALU_DEP_3)
	v_add_co_ci_u32_e64 v7, null, v7, v5, vcc_lo
	flat_store_b32 v[8:9], v12 offset:64
	flat_load_b32 v8, v[6:7]
	s_wait_loadcnt_dscnt 0x0
	v_mul_f32_e32 v10, s33, v8
	v_add_co_u32 v8, vcc_lo, v13, s8
	s_wait_alu 0xfffd
	v_add_co_ci_u32_e64 v9, null, s9, v27, vcc_lo
	s_delay_alu instid0(VALU_DEP_3) | instskip(NEXT) | instid1(VALU_DEP_3)
	v_fmac_f32_e32 v10, s30, v24
	v_add_co_u32 v8, vcc_lo, v8, v4
	s_wait_alu 0xfffd
	s_delay_alu instid0(VALU_DEP_3) | instskip(SKIP_4) | instid1(VALU_DEP_1)
	v_add_co_ci_u32_e64 v9, null, v9, v5, vcc_lo
	flat_store_b32 v[8:9], v10
	flat_load_b32 v6, v[6:7] offset:64
	s_wait_loadcnt_dscnt 0x0
	v_mul_f32_e32 v6, s33, v6
	v_fmac_f32_e32 v6, s30, v23
	flat_store_b32 v[8:9], v6 offset:64
	s_branch .LBB186_2
.LBB186_10:
	s_endpgm
	.section	.rodata,"a",@progbits
	.p2align	6, 0x0
	.amdhsa_kernel _ZN12_GLOBAL__N_127rocblas_gemm_batched_kernelIfLi16ELi16ELi32ELi32ELi8ELi32ELi8ELi8ELi32ELc84ELc78EKPKfS3_KPfEEvlllT_PT11_llS8_llS6_PT12_llPT13_lli
		.amdhsa_group_segment_fixed_size 2048
		.amdhsa_private_segment_fixed_size 0
		.amdhsa_kernarg_size 140
		.amdhsa_user_sgpr_count 2
		.amdhsa_user_sgpr_dispatch_ptr 0
		.amdhsa_user_sgpr_queue_ptr 0
		.amdhsa_user_sgpr_kernarg_segment_ptr 1
		.amdhsa_user_sgpr_dispatch_id 0
		.amdhsa_user_sgpr_private_segment_size 0
		.amdhsa_wavefront_size32 1
		.amdhsa_uses_dynamic_stack 0
		.amdhsa_enable_private_segment 0
		.amdhsa_system_sgpr_workgroup_id_x 1
		.amdhsa_system_sgpr_workgroup_id_y 1
		.amdhsa_system_sgpr_workgroup_id_z 1
		.amdhsa_system_sgpr_workgroup_info 0
		.amdhsa_system_vgpr_workitem_id 1
		.amdhsa_next_free_vgpr 59
		.amdhsa_next_free_sgpr 36
		.amdhsa_reserve_vcc 1
		.amdhsa_float_round_mode_32 0
		.amdhsa_float_round_mode_16_64 0
		.amdhsa_float_denorm_mode_32 3
		.amdhsa_float_denorm_mode_16_64 3
		.amdhsa_fp16_overflow 0
		.amdhsa_workgroup_processor_mode 1
		.amdhsa_memory_ordered 1
		.amdhsa_forward_progress 1
		.amdhsa_inst_pref_size 14
		.amdhsa_round_robin_scheduling 0
		.amdhsa_exception_fp_ieee_invalid_op 0
		.amdhsa_exception_fp_denorm_src 0
		.amdhsa_exception_fp_ieee_div_zero 0
		.amdhsa_exception_fp_ieee_overflow 0
		.amdhsa_exception_fp_ieee_underflow 0
		.amdhsa_exception_fp_ieee_inexact 0
		.amdhsa_exception_int_div_zero 0
	.end_amdhsa_kernel
	.section	.text._ZN12_GLOBAL__N_127rocblas_gemm_batched_kernelIfLi16ELi16ELi32ELi32ELi8ELi32ELi8ELi8ELi32ELc84ELc78EKPKfS3_KPfEEvlllT_PT11_llS8_llS6_PT12_llPT13_lli,"axG",@progbits,_ZN12_GLOBAL__N_127rocblas_gemm_batched_kernelIfLi16ELi16ELi32ELi32ELi8ELi32ELi8ELi8ELi32ELc84ELc78EKPKfS3_KPfEEvlllT_PT11_llS8_llS6_PT12_llPT13_lli,comdat
.Lfunc_end186:
	.size	_ZN12_GLOBAL__N_127rocblas_gemm_batched_kernelIfLi16ELi16ELi32ELi32ELi8ELi32ELi8ELi8ELi32ELc84ELc78EKPKfS3_KPfEEvlllT_PT11_llS8_llS6_PT12_llPT13_lli, .Lfunc_end186-_ZN12_GLOBAL__N_127rocblas_gemm_batched_kernelIfLi16ELi16ELi32ELi32ELi8ELi32ELi8ELi8ELi32ELc84ELc78EKPKfS3_KPfEEvlllT_PT11_llS8_llS6_PT12_llPT13_lli
                                        ; -- End function
	.set _ZN12_GLOBAL__N_127rocblas_gemm_batched_kernelIfLi16ELi16ELi32ELi32ELi8ELi32ELi8ELi8ELi32ELc84ELc78EKPKfS3_KPfEEvlllT_PT11_llS8_llS6_PT12_llPT13_lli.num_vgpr, 59
	.set _ZN12_GLOBAL__N_127rocblas_gemm_batched_kernelIfLi16ELi16ELi32ELi32ELi8ELi32ELi8ELi8ELi32ELc84ELc78EKPKfS3_KPfEEvlllT_PT11_llS8_llS6_PT12_llPT13_lli.num_agpr, 0
	.set _ZN12_GLOBAL__N_127rocblas_gemm_batched_kernelIfLi16ELi16ELi32ELi32ELi8ELi32ELi8ELi8ELi32ELc84ELc78EKPKfS3_KPfEEvlllT_PT11_llS8_llS6_PT12_llPT13_lli.numbered_sgpr, 36
	.set _ZN12_GLOBAL__N_127rocblas_gemm_batched_kernelIfLi16ELi16ELi32ELi32ELi8ELi32ELi8ELi8ELi32ELc84ELc78EKPKfS3_KPfEEvlllT_PT11_llS8_llS6_PT12_llPT13_lli.num_named_barrier, 0
	.set _ZN12_GLOBAL__N_127rocblas_gemm_batched_kernelIfLi16ELi16ELi32ELi32ELi8ELi32ELi8ELi8ELi32ELc84ELc78EKPKfS3_KPfEEvlllT_PT11_llS8_llS6_PT12_llPT13_lli.private_seg_size, 0
	.set _ZN12_GLOBAL__N_127rocblas_gemm_batched_kernelIfLi16ELi16ELi32ELi32ELi8ELi32ELi8ELi8ELi32ELc84ELc78EKPKfS3_KPfEEvlllT_PT11_llS8_llS6_PT12_llPT13_lli.uses_vcc, 1
	.set _ZN12_GLOBAL__N_127rocblas_gemm_batched_kernelIfLi16ELi16ELi32ELi32ELi8ELi32ELi8ELi8ELi32ELc84ELc78EKPKfS3_KPfEEvlllT_PT11_llS8_llS6_PT12_llPT13_lli.uses_flat_scratch, 1
	.set _ZN12_GLOBAL__N_127rocblas_gemm_batched_kernelIfLi16ELi16ELi32ELi32ELi8ELi32ELi8ELi8ELi32ELc84ELc78EKPKfS3_KPfEEvlllT_PT11_llS8_llS6_PT12_llPT13_lli.has_dyn_sized_stack, 0
	.set _ZN12_GLOBAL__N_127rocblas_gemm_batched_kernelIfLi16ELi16ELi32ELi32ELi8ELi32ELi8ELi8ELi32ELc84ELc78EKPKfS3_KPfEEvlllT_PT11_llS8_llS6_PT12_llPT13_lli.has_recursion, 0
	.set _ZN12_GLOBAL__N_127rocblas_gemm_batched_kernelIfLi16ELi16ELi32ELi32ELi8ELi32ELi8ELi8ELi32ELc84ELc78EKPKfS3_KPfEEvlllT_PT11_llS8_llS6_PT12_llPT13_lli.has_indirect_call, 0
	.section	.AMDGPU.csdata,"",@progbits
; Kernel info:
; codeLenInByte = 1708
; TotalNumSgprs: 38
; NumVgprs: 59
; ScratchSize: 0
; MemoryBound: 0
; FloatMode: 240
; IeeeMode: 1
; LDSByteSize: 2048 bytes/workgroup (compile time only)
; SGPRBlocks: 0
; VGPRBlocks: 7
; NumSGPRsForWavesPerEU: 38
; NumVGPRsForWavesPerEU: 59
; Occupancy: 16
; WaveLimiterHint : 1
; COMPUTE_PGM_RSRC2:SCRATCH_EN: 0
; COMPUTE_PGM_RSRC2:USER_SGPR: 2
; COMPUTE_PGM_RSRC2:TRAP_HANDLER: 0
; COMPUTE_PGM_RSRC2:TGID_X_EN: 1
; COMPUTE_PGM_RSRC2:TGID_Y_EN: 1
; COMPUTE_PGM_RSRC2:TGID_Z_EN: 1
; COMPUTE_PGM_RSRC2:TIDIG_COMP_CNT: 1
	.section	.text._ZN12_GLOBAL__N_127rocblas_gemm_batched_kernelIfLi16ELi16ELi32ELi32ELi8ELi32ELi8ELi8ELi32ELc78ELc84EKPKfS3_KPfEEvlllT_PT11_llS8_llS6_PT12_llPT13_lli,"axG",@progbits,_ZN12_GLOBAL__N_127rocblas_gemm_batched_kernelIfLi16ELi16ELi32ELi32ELi8ELi32ELi8ELi8ELi32ELc78ELc84EKPKfS3_KPfEEvlllT_PT11_llS8_llS6_PT12_llPT13_lli,comdat
	.globl	_ZN12_GLOBAL__N_127rocblas_gemm_batched_kernelIfLi16ELi16ELi32ELi32ELi8ELi32ELi8ELi8ELi32ELc78ELc84EKPKfS3_KPfEEvlllT_PT11_llS8_llS6_PT12_llPT13_lli ; -- Begin function _ZN12_GLOBAL__N_127rocblas_gemm_batched_kernelIfLi16ELi16ELi32ELi32ELi8ELi32ELi8ELi8ELi32ELc78ELc84EKPKfS3_KPfEEvlllT_PT11_llS8_llS6_PT12_llPT13_lli
	.p2align	8
	.type	_ZN12_GLOBAL__N_127rocblas_gemm_batched_kernelIfLi16ELi16ELi32ELi32ELi8ELi32ELi8ELi8ELi32ELc78ELc84EKPKfS3_KPfEEvlllT_PT11_llS8_llS6_PT12_llPT13_lli,@function
_ZN12_GLOBAL__N_127rocblas_gemm_batched_kernelIfLi16ELi16ELi32ELi32ELi8ELi32ELi8ELi8ELi32ELc78ELc84EKPKfS3_KPfEEvlllT_PT11_llS8_llS6_PT12_llPT13_lli: ; @_ZN12_GLOBAL__N_127rocblas_gemm_batched_kernelIfLi16ELi16ELi32ELi32ELi8ELi32ELi8ELi8ELi32ELc78ELc84EKPKfS3_KPfEEvlllT_PT11_llS8_llS6_PT12_llPT13_lli
; %bb.0:
	s_load_b32 s31, s[0:1], 0x88
	s_lshr_b32 s2, ttmp7, 16
	s_wait_kmcnt 0x0
	s_cmp_ge_i32 s2, s31
	s_cbranch_scc1 .LBB187_10
; %bb.1:
	s_clause 0x2
	s_load_b128 s[20:23], s[0:1], 0x78
	s_load_b96 s[28:30], s[0:1], 0x10
	s_load_b256 s[4:11], s[0:1], 0x20
	v_bfe_u32 v2, v0, 10, 10
	s_clause 0x2
	s_load_b128 s[24:27], s[0:1], 0x40
	s_load_b32 s33, s[0:1], 0x50
	s_load_b256 s[12:19], s[0:1], 0x58
	s_lshl_b32 s0, ttmp7, 5
	v_and_b32_e32 v10, 0x3ff, v0
	s_and_b32 s38, s0, 0x1fffe0
	v_and_b32_e32 v14, 7, v0
	v_add_nc_u32_e32 v22, s38, v2
	v_lshl_add_u32 v19, v2, 5, 0x400
	v_lshl_add_u32 v1, v2, 4, v10
	s_mov_b32 s34, ttmp9
	s_ashr_i32 s35, ttmp9, 31
	s_mov_b32 s3, 0
	s_lshl_b64 s[0:1], s[34:35], 5
	v_lshrrev_b32_e32 v0, 3, v1
	v_lshrrev_b32_e32 v21, 5, v1
	s_wait_kmcnt 0x0
	v_mad_co_u64_u32 v[4:5], null, v22, s20, 0
	v_lshlrev_b32_e32 v3, 2, v14
	s_delay_alu instid0(VALU_DEP_3)
	v_mad_co_u64_u32 v[12:13], null, s6, v21, s[0:1]
	v_mad_co_u64_u32 v[8:9], null, v22, s14, 0
	s_cmp_eq_f32 s33, 0
	v_mov_b32_e32 v2, v5
	v_lshl_or_b32 v3, v0, 5, v3
	s_cselect_b32 s34, -1, 0
	s_lshl_b64 s[36:37], s[20:21], 4
	s_lshl_b64 s[16:17], s[16:17], 2
	s_delay_alu instid0(VALU_DEP_1)
	v_add_nc_u32_e32 v17, 0x400, v3
	v_mad_co_u64_u32 v[2:3], null, v22, s21, v[2:3]
	s_lshl_b64 s[20:21], s[14:15], 4
	s_wait_alu 0xfffe
	s_lshl_b64 s[20:21], s[20:21], 2
	v_dual_mov_b32 v5, v2 :: v_dual_mov_b32 v2, v9
	s_delay_alu instid0(VALU_DEP_1) | instskip(NEXT) | instid1(VALU_DEP_2)
	v_lshlrev_b64_e32 v[4:5], 2, v[4:5]
	v_mad_co_u64_u32 v[2:3], null, v22, s15, v[2:3]
	v_dual_mov_b32 v1, 0 :: v_dual_and_b32 v20, 31, v1
	v_lshlrev_b32_e32 v18, 2, v10
	v_add_co_u32 v10, s35, s0, v10
	s_delay_alu instid0(VALU_DEP_1) | instskip(NEXT) | instid1(VALU_DEP_4)
	v_add_co_ci_u32_e64 v11, null, s1, 0, s35
	v_dual_mov_b32 v9, v2 :: v_dual_lshlrev_b32 v6, 2, v20
	s_lshl_b64 s[0:1], s[26:27], 2
	s_lshl_b64 s[14:15], s[24:25], 5
	s_delay_alu instid0(VALU_DEP_1) | instskip(SKIP_1) | instid1(VALU_DEP_1)
	v_lshl_or_b32 v16, v21, 7, v6
	v_mad_co_u64_u32 v[6:7], null, s24, v14, v[0:1]
	v_mov_b32_e32 v0, v7
	s_delay_alu instid0(VALU_DEP_2) | instskip(NEXT) | instid1(VALU_DEP_2)
	v_add_co_u32 v6, vcc_lo, v6, s38
	v_mad_co_u64_u32 v[14:15], null, s25, v14, v[0:1]
	v_mov_b32_e32 v0, v13
	s_delay_alu instid0(VALU_DEP_2) | instskip(NEXT) | instid1(VALU_DEP_2)
	v_add_co_ci_u32_e64 v7, null, 0, v14, vcc_lo
	v_mad_co_u64_u32 v[13:14], null, s7, v21, v[0:1]
	s_lshl_b64 s[6:7], s[6:7], 5
	v_lshlrev_b64_e32 v[2:3], 2, v[6:7]
	v_add_co_u32 v6, vcc_lo, v12, v20
	s_wait_alu 0xfffd
	v_add_co_ci_u32_e64 v7, null, 0, v13, vcc_lo
	s_wait_alu 0xfffe
	s_delay_alu instid0(VALU_DEP_3)
	v_add_co_u32 v0, vcc_lo, s0, v2
	s_wait_alu 0xfffd
	v_add_co_ci_u32_e64 v20, null, s1, v3, vcc_lo
	s_lshl_b64 s[0:1], s[8:9], 2
	v_cmp_gt_i64_e64 s8, s[28:29], 0
	v_lshlrev_b64_e32 v[2:3], 2, v[6:7]
	s_delay_alu instid0(VALU_DEP_2) | instskip(SKIP_1) | instid1(VALU_DEP_2)
	v_cndmask_b32_e64 v6, 0, 1, s8
	s_wait_alu 0xfffe
	v_add_co_u32 v21, vcc_lo, s0, v2
	s_wait_alu 0xfffd
	s_delay_alu instid0(VALU_DEP_3)
	v_add_co_ci_u32_e64 v22, null, s1, v3, vcc_lo
	v_cmp_ne_u32_e64 s0, 1, v6
	v_lshlrev_b64_e32 v[2:3], 2, v[8:9]
	v_lshlrev_b64_e32 v[6:7], 2, v[10:11]
	s_lshl_b64 s[8:9], s[22:23], 2
	s_lshl_b64 s[22:23], s[36:37], 2
	s_branch .LBB187_3
.LBB187_2:                              ;   in Loop: Header=BB187_3 Depth=1
	s_add_co_i32 s2, s2, 0x10000
	s_delay_alu instid0(SALU_CYCLE_1)
	s_cmp_lt_i32 s2, s31
	s_cbranch_scc0 .LBB187_10
.LBB187_3:                              ; =>This Loop Header: Depth=1
                                        ;     Child Loop BB187_5 Depth 2
	s_lshl_b64 s[24:25], s[2:3], 3
	v_dual_mov_b32 v26, 0 :: v_dual_mov_b32 v25, 0
	s_wait_alu 0xfffe
	s_add_nc_u64 s[26:27], s[12:13], s[24:25]
	s_add_nc_u64 s[36:37], s[18:19], s[24:25]
	s_clause 0x1
	global_load_b64 v[8:9], v1, s[26:27]
	global_load_b64 v[10:11], v1, s[36:37]
	v_dual_mov_b32 v24, 0 :: v_dual_mov_b32 v23, 0
	s_and_b32 vcc_lo, exec_lo, s0
	s_wait_alu 0xfffe
	s_cbranch_vccnz .LBB187_6
; %bb.4:                                ;   in Loop: Header=BB187_3 Depth=1
	s_add_nc_u64 s[26:27], s[10:11], s[24:25]
	s_add_nc_u64 s[24:25], s[4:5], s[24:25]
	s_clause 0x1
	global_load_b64 v[12:13], v1, s[26:27]
	global_load_b64 v[14:15], v1, s[24:25]
	v_dual_mov_b32 v23, 0 :: v_dual_mov_b32 v24, 0
	v_dual_mov_b32 v25, 0 :: v_dual_mov_b32 v26, 0
	s_mov_b64 s[24:25], 0
	s_wait_loadcnt 0x1
	v_add_co_u32 v12, vcc_lo, v12, v0
	s_wait_alu 0xfffd
	v_add_co_ci_u32_e64 v13, null, v13, v20, vcc_lo
	s_wait_loadcnt 0x0
	v_add_co_u32 v14, vcc_lo, v14, v21
	s_wait_alu 0xfffd
	v_add_co_ci_u32_e64 v15, null, v15, v22, vcc_lo
.LBB187_5:                              ;   Parent Loop BB187_3 Depth=1
                                        ; =>  This Inner Loop Header: Depth=2
	flat_load_b32 v27, v[14:15]
	s_wait_alu 0xfffe
	s_add_nc_u64 s[24:25], s[24:25], 8
	v_add_co_u32 v14, vcc_lo, v14, s6
	s_wait_alu 0xfffe
	v_cmp_lt_i64_e64 s1, s[24:25], s[28:29]
	s_wait_alu 0xfffd
	v_add_co_ci_u32_e64 v15, null, s7, v15, vcc_lo
	s_and_b32 vcc_lo, exec_lo, s1
	s_wait_loadcnt_dscnt 0x0
	ds_store_b32 v16, v27
	flat_load_b32 v27, v[12:13]
	v_add_co_u32 v12, s1, v12, s14
	s_wait_alu 0xf1ff
	v_add_co_ci_u32_e64 v13, null, s15, v13, s1
	s_wait_loadcnt_dscnt 0x0
	ds_store_b32 v17, v27
	s_wait_dscnt 0x0
	s_barrier_signal -1
	s_barrier_wait -1
	global_inv scope:SCOPE_SE
	ds_load_b128 v[27:30], v19
	ds_load_2addr_b32 v[43:44], v18 offset1:16
	ds_load_b128 v[31:34], v19 offset:512
	ds_load_2addr_b32 v[45:46], v18 offset0:32 offset1:48
	ds_load_2addr_b32 v[47:48], v18 offset0:64 offset1:80
	ds_load_b128 v[35:38], v19 offset:16
	ds_load_2addr_b32 v[49:50], v18 offset0:96 offset1:112
	ds_load_2addr_b32 v[51:52], v18 offset0:128 offset1:144
	ds_load_b128 v[39:42], v19 offset:528
	ds_load_2addr_b32 v[53:54], v18 offset0:160 offset1:176
	ds_load_2addr_b32 v[55:56], v18 offset0:192 offset1:208
	ds_load_2addr_b32 v[57:58], v18 offset0:224 offset1:240
	s_wait_loadcnt_dscnt 0x0
	s_barrier_signal -1
	s_barrier_wait -1
	global_inv scope:SCOPE_SE
	v_fmac_f32_e32 v25, v44, v27
	v_fmac_f32_e32 v26, v43, v27
	;; [unrolled: 1-line block ×3, first 2 shown]
	s_delay_alu instid0(VALU_DEP_3) | instskip(NEXT) | instid1(VALU_DEP_3)
	v_dual_fmac_f32 v24, v43, v31 :: v_dual_fmac_f32 v25, v46, v28
	v_fmac_f32_e32 v26, v45, v28
	s_delay_alu instid0(VALU_DEP_3) | instskip(NEXT) | instid1(VALU_DEP_3)
	v_fmac_f32_e32 v23, v46, v32
	v_dual_fmac_f32 v24, v45, v32 :: v_dual_fmac_f32 v25, v48, v29
	s_delay_alu instid0(VALU_DEP_3) | instskip(NEXT) | instid1(VALU_DEP_3)
	v_fmac_f32_e32 v26, v47, v29
	v_fmac_f32_e32 v23, v48, v33
	s_delay_alu instid0(VALU_DEP_3) | instskip(NEXT) | instid1(VALU_DEP_3)
	v_dual_fmac_f32 v24, v47, v33 :: v_dual_fmac_f32 v25, v50, v30
	v_fmac_f32_e32 v26, v49, v30
	s_delay_alu instid0(VALU_DEP_3) | instskip(NEXT) | instid1(VALU_DEP_3)
	v_fmac_f32_e32 v23, v50, v34
	v_dual_fmac_f32 v24, v49, v34 :: v_dual_fmac_f32 v25, v52, v35
	s_delay_alu instid0(VALU_DEP_3) | instskip(NEXT) | instid1(VALU_DEP_3)
	v_fmac_f32_e32 v26, v51, v35
	v_fmac_f32_e32 v23, v52, v39
	;; [unrolled: 9-line block ×3, first 2 shown]
	s_delay_alu instid0(VALU_DEP_3) | instskip(NEXT) | instid1(VALU_DEP_3)
	v_dual_fmac_f32 v24, v55, v41 :: v_dual_fmac_f32 v25, v58, v38
	v_fmac_f32_e32 v26, v57, v38
	s_delay_alu instid0(VALU_DEP_3) | instskip(NEXT) | instid1(VALU_DEP_3)
	v_fmac_f32_e32 v23, v58, v42
	v_fmac_f32_e32 v24, v57, v42
	s_wait_alu 0xfffe
	s_cbranch_vccnz .LBB187_5
.LBB187_6:                              ;   in Loop: Header=BB187_3 Depth=1
	s_wait_loadcnt 0x0
	v_add_co_u32 v10, vcc_lo, v10, s8
	s_wait_alu 0xfffd
	v_add_co_ci_u32_e64 v11, null, s9, v11, vcc_lo
	s_and_not1_b32 vcc_lo, exec_lo, s34
	s_wait_alu 0xfffe
	s_cbranch_vccnz .LBB187_8
; %bb.7:                                ;   in Loop: Header=BB187_3 Depth=1
	v_add_co_u32 v14, vcc_lo, v10, v4
	s_wait_alu 0xfffd
	v_add_co_ci_u32_e64 v15, null, v11, v5, vcc_lo
	v_dual_mul_f32 v27, s30, v26 :: v_dual_mul_f32 v28, s30, v25
	s_delay_alu instid0(VALU_DEP_3) | instskip(SKIP_1) | instid1(VALU_DEP_3)
	v_add_co_u32 v12, vcc_lo, v14, v6
	s_wait_alu 0xfffd
	v_add_co_ci_u32_e64 v13, null, v15, v7, vcc_lo
	v_add_co_u32 v14, vcc_lo, v14, s22
	s_wait_alu 0xfffd
	v_add_co_ci_u32_e64 v15, null, s23, v15, vcc_lo
	v_dual_mul_f32 v29, s30, v24 :: v_dual_mul_f32 v30, s30, v23
	s_delay_alu instid0(VALU_DEP_3) | instskip(SKIP_1) | instid1(VALU_DEP_3)
	v_add_co_u32 v14, vcc_lo, v14, v6
	s_wait_alu 0xfffd
	v_add_co_ci_u32_e64 v15, null, v15, v7, vcc_lo
	s_clause 0x3
	flat_store_b32 v[12:13], v27
	flat_store_b32 v[12:13], v28 offset:64
	flat_store_b32 v[14:15], v29
	flat_store_b32 v[14:15], v30 offset:64
	s_cbranch_execnz .LBB187_2
	s_branch .LBB187_9
.LBB187_8:                              ;   in Loop: Header=BB187_3 Depth=1
.LBB187_9:                              ;   in Loop: Header=BB187_3 Depth=1
	v_add_co_u32 v8, vcc_lo, v8, s16
	s_wait_alu 0xfffd
	v_add_co_ci_u32_e64 v9, null, s17, v9, vcc_lo
	s_delay_alu instid0(VALU_DEP_2) | instskip(SKIP_1) | instid1(VALU_DEP_2)
	v_add_co_u32 v12, vcc_lo, v8, v2
	s_wait_alu 0xfffd
	v_add_co_ci_u32_e64 v13, null, v9, v3, vcc_lo
	s_delay_alu instid0(VALU_DEP_2) | instskip(SKIP_1) | instid1(VALU_DEP_2)
	v_add_co_u32 v8, vcc_lo, v12, v6
	s_wait_alu 0xfffd
	v_add_co_ci_u32_e64 v9, null, v13, v7, vcc_lo
	v_add_co_u32 v15, vcc_lo, v10, v4
	s_wait_alu 0xfffd
	v_add_co_ci_u32_e64 v27, null, v11, v5, vcc_lo
	flat_load_b32 v14, v[8:9]
	v_add_co_u32 v10, vcc_lo, v15, v6
	s_wait_alu 0xfffd
	v_add_co_ci_u32_e64 v11, null, v27, v7, vcc_lo
	s_wait_loadcnt_dscnt 0x0
	v_mul_f32_e32 v14, s33, v14
	s_delay_alu instid0(VALU_DEP_1)
	v_fmac_f32_e32 v14, s30, v26
	flat_store_b32 v[10:11], v14
	flat_load_b32 v8, v[8:9] offset:64
	s_wait_loadcnt_dscnt 0x0
	v_mul_f32_e32 v14, s33, v8
	v_add_co_u32 v8, vcc_lo, v12, s20
	s_wait_alu 0xfffd
	v_add_co_ci_u32_e64 v9, null, s21, v13, vcc_lo
	s_delay_alu instid0(VALU_DEP_3) | instskip(NEXT) | instid1(VALU_DEP_3)
	v_fmac_f32_e32 v14, s30, v25
	v_add_co_u32 v8, vcc_lo, v8, v6
	s_wait_alu 0xfffd
	s_delay_alu instid0(VALU_DEP_3)
	v_add_co_ci_u32_e64 v9, null, v9, v7, vcc_lo
	flat_store_b32 v[10:11], v14 offset:64
	flat_load_b32 v10, v[8:9]
	s_wait_loadcnt_dscnt 0x0
	v_mul_f32_e32 v12, s33, v10
	v_add_co_u32 v10, vcc_lo, v15, s22
	s_wait_alu 0xfffd
	v_add_co_ci_u32_e64 v11, null, s23, v27, vcc_lo
	s_delay_alu instid0(VALU_DEP_3) | instskip(NEXT) | instid1(VALU_DEP_3)
	v_fmac_f32_e32 v12, s30, v24
	v_add_co_u32 v10, vcc_lo, v10, v6
	s_wait_alu 0xfffd
	s_delay_alu instid0(VALU_DEP_3) | instskip(SKIP_4) | instid1(VALU_DEP_1)
	v_add_co_ci_u32_e64 v11, null, v11, v7, vcc_lo
	flat_store_b32 v[10:11], v12
	flat_load_b32 v8, v[8:9] offset:64
	s_wait_loadcnt_dscnt 0x0
	v_mul_f32_e32 v8, s33, v8
	v_fmac_f32_e32 v8, s30, v23
	flat_store_b32 v[10:11], v8 offset:64
	s_branch .LBB187_2
.LBB187_10:
	s_endpgm
	.section	.rodata,"a",@progbits
	.p2align	6, 0x0
	.amdhsa_kernel _ZN12_GLOBAL__N_127rocblas_gemm_batched_kernelIfLi16ELi16ELi32ELi32ELi8ELi32ELi8ELi8ELi32ELc78ELc84EKPKfS3_KPfEEvlllT_PT11_llS8_llS6_PT12_llPT13_lli
		.amdhsa_group_segment_fixed_size 2048
		.amdhsa_private_segment_fixed_size 0
		.amdhsa_kernarg_size 140
		.amdhsa_user_sgpr_count 2
		.amdhsa_user_sgpr_dispatch_ptr 0
		.amdhsa_user_sgpr_queue_ptr 0
		.amdhsa_user_sgpr_kernarg_segment_ptr 1
		.amdhsa_user_sgpr_dispatch_id 0
		.amdhsa_user_sgpr_private_segment_size 0
		.amdhsa_wavefront_size32 1
		.amdhsa_uses_dynamic_stack 0
		.amdhsa_enable_private_segment 0
		.amdhsa_system_sgpr_workgroup_id_x 1
		.amdhsa_system_sgpr_workgroup_id_y 1
		.amdhsa_system_sgpr_workgroup_id_z 1
		.amdhsa_system_sgpr_workgroup_info 0
		.amdhsa_system_vgpr_workitem_id 1
		.amdhsa_next_free_vgpr 59
		.amdhsa_next_free_sgpr 39
		.amdhsa_reserve_vcc 1
		.amdhsa_float_round_mode_32 0
		.amdhsa_float_round_mode_16_64 0
		.amdhsa_float_denorm_mode_32 3
		.amdhsa_float_denorm_mode_16_64 3
		.amdhsa_fp16_overflow 0
		.amdhsa_workgroup_processor_mode 1
		.amdhsa_memory_ordered 1
		.amdhsa_forward_progress 1
		.amdhsa_inst_pref_size 14
		.amdhsa_round_robin_scheduling 0
		.amdhsa_exception_fp_ieee_invalid_op 0
		.amdhsa_exception_fp_denorm_src 0
		.amdhsa_exception_fp_ieee_div_zero 0
		.amdhsa_exception_fp_ieee_overflow 0
		.amdhsa_exception_fp_ieee_underflow 0
		.amdhsa_exception_fp_ieee_inexact 0
		.amdhsa_exception_int_div_zero 0
	.end_amdhsa_kernel
	.section	.text._ZN12_GLOBAL__N_127rocblas_gemm_batched_kernelIfLi16ELi16ELi32ELi32ELi8ELi32ELi8ELi8ELi32ELc78ELc84EKPKfS3_KPfEEvlllT_PT11_llS8_llS6_PT12_llPT13_lli,"axG",@progbits,_ZN12_GLOBAL__N_127rocblas_gemm_batched_kernelIfLi16ELi16ELi32ELi32ELi8ELi32ELi8ELi8ELi32ELc78ELc84EKPKfS3_KPfEEvlllT_PT11_llS8_llS6_PT12_llPT13_lli,comdat
.Lfunc_end187:
	.size	_ZN12_GLOBAL__N_127rocblas_gemm_batched_kernelIfLi16ELi16ELi32ELi32ELi8ELi32ELi8ELi8ELi32ELc78ELc84EKPKfS3_KPfEEvlllT_PT11_llS8_llS6_PT12_llPT13_lli, .Lfunc_end187-_ZN12_GLOBAL__N_127rocblas_gemm_batched_kernelIfLi16ELi16ELi32ELi32ELi8ELi32ELi8ELi8ELi32ELc78ELc84EKPKfS3_KPfEEvlllT_PT11_llS8_llS6_PT12_llPT13_lli
                                        ; -- End function
	.set _ZN12_GLOBAL__N_127rocblas_gemm_batched_kernelIfLi16ELi16ELi32ELi32ELi8ELi32ELi8ELi8ELi32ELc78ELc84EKPKfS3_KPfEEvlllT_PT11_llS8_llS6_PT12_llPT13_lli.num_vgpr, 59
	.set _ZN12_GLOBAL__N_127rocblas_gemm_batched_kernelIfLi16ELi16ELi32ELi32ELi8ELi32ELi8ELi8ELi32ELc78ELc84EKPKfS3_KPfEEvlllT_PT11_llS8_llS6_PT12_llPT13_lli.num_agpr, 0
	.set _ZN12_GLOBAL__N_127rocblas_gemm_batched_kernelIfLi16ELi16ELi32ELi32ELi8ELi32ELi8ELi8ELi32ELc78ELc84EKPKfS3_KPfEEvlllT_PT11_llS8_llS6_PT12_llPT13_lli.numbered_sgpr, 39
	.set _ZN12_GLOBAL__N_127rocblas_gemm_batched_kernelIfLi16ELi16ELi32ELi32ELi8ELi32ELi8ELi8ELi32ELc78ELc84EKPKfS3_KPfEEvlllT_PT11_llS8_llS6_PT12_llPT13_lli.num_named_barrier, 0
	.set _ZN12_GLOBAL__N_127rocblas_gemm_batched_kernelIfLi16ELi16ELi32ELi32ELi8ELi32ELi8ELi8ELi32ELc78ELc84EKPKfS3_KPfEEvlllT_PT11_llS8_llS6_PT12_llPT13_lli.private_seg_size, 0
	.set _ZN12_GLOBAL__N_127rocblas_gemm_batched_kernelIfLi16ELi16ELi32ELi32ELi8ELi32ELi8ELi8ELi32ELc78ELc84EKPKfS3_KPfEEvlllT_PT11_llS8_llS6_PT12_llPT13_lli.uses_vcc, 1
	.set _ZN12_GLOBAL__N_127rocblas_gemm_batched_kernelIfLi16ELi16ELi32ELi32ELi8ELi32ELi8ELi8ELi32ELc78ELc84EKPKfS3_KPfEEvlllT_PT11_llS8_llS6_PT12_llPT13_lli.uses_flat_scratch, 1
	.set _ZN12_GLOBAL__N_127rocblas_gemm_batched_kernelIfLi16ELi16ELi32ELi32ELi8ELi32ELi8ELi8ELi32ELc78ELc84EKPKfS3_KPfEEvlllT_PT11_llS8_llS6_PT12_llPT13_lli.has_dyn_sized_stack, 0
	.set _ZN12_GLOBAL__N_127rocblas_gemm_batched_kernelIfLi16ELi16ELi32ELi32ELi8ELi32ELi8ELi8ELi32ELc78ELc84EKPKfS3_KPfEEvlllT_PT11_llS8_llS6_PT12_llPT13_lli.has_recursion, 0
	.set _ZN12_GLOBAL__N_127rocblas_gemm_batched_kernelIfLi16ELi16ELi32ELi32ELi8ELi32ELi8ELi8ELi32ELc78ELc84EKPKfS3_KPfEEvlllT_PT11_llS8_llS6_PT12_llPT13_lli.has_indirect_call, 0
	.section	.AMDGPU.csdata,"",@progbits
; Kernel info:
; codeLenInByte = 1728
; TotalNumSgprs: 41
; NumVgprs: 59
; ScratchSize: 0
; MemoryBound: 0
; FloatMode: 240
; IeeeMode: 1
; LDSByteSize: 2048 bytes/workgroup (compile time only)
; SGPRBlocks: 0
; VGPRBlocks: 7
; NumSGPRsForWavesPerEU: 41
; NumVGPRsForWavesPerEU: 59
; Occupancy: 16
; WaveLimiterHint : 1
; COMPUTE_PGM_RSRC2:SCRATCH_EN: 0
; COMPUTE_PGM_RSRC2:USER_SGPR: 2
; COMPUTE_PGM_RSRC2:TRAP_HANDLER: 0
; COMPUTE_PGM_RSRC2:TGID_X_EN: 1
; COMPUTE_PGM_RSRC2:TGID_Y_EN: 1
; COMPUTE_PGM_RSRC2:TGID_Z_EN: 1
; COMPUTE_PGM_RSRC2:TIDIG_COMP_CNT: 1
	.section	.text._ZN12_GLOBAL__N_127rocblas_gemm_batched_kernelIfLi16ELi16ELi32ELi32ELi8ELi32ELi8ELi8ELi32ELc84ELc84EKPKfS3_KPfEEvlllT_PT11_llS8_llS6_PT12_llPT13_lli,"axG",@progbits,_ZN12_GLOBAL__N_127rocblas_gemm_batched_kernelIfLi16ELi16ELi32ELi32ELi8ELi32ELi8ELi8ELi32ELc84ELc84EKPKfS3_KPfEEvlllT_PT11_llS8_llS6_PT12_llPT13_lli,comdat
	.globl	_ZN12_GLOBAL__N_127rocblas_gemm_batched_kernelIfLi16ELi16ELi32ELi32ELi8ELi32ELi8ELi8ELi32ELc84ELc84EKPKfS3_KPfEEvlllT_PT11_llS8_llS6_PT12_llPT13_lli ; -- Begin function _ZN12_GLOBAL__N_127rocblas_gemm_batched_kernelIfLi16ELi16ELi32ELi32ELi8ELi32ELi8ELi8ELi32ELc84ELc84EKPKfS3_KPfEEvlllT_PT11_llS8_llS6_PT12_llPT13_lli
	.p2align	8
	.type	_ZN12_GLOBAL__N_127rocblas_gemm_batched_kernelIfLi16ELi16ELi32ELi32ELi8ELi32ELi8ELi8ELi32ELc84ELc84EKPKfS3_KPfEEvlllT_PT11_llS8_llS6_PT12_llPT13_lli,@function
_ZN12_GLOBAL__N_127rocblas_gemm_batched_kernelIfLi16ELi16ELi32ELi32ELi8ELi32ELi8ELi8ELi32ELc84ELc84EKPKfS3_KPfEEvlllT_PT11_llS8_llS6_PT12_llPT13_lli: ; @_ZN12_GLOBAL__N_127rocblas_gemm_batched_kernelIfLi16ELi16ELi32ELi32ELi8ELi32ELi8ELi8ELi32ELc84ELc84EKPKfS3_KPfEEvlllT_PT11_llS8_llS6_PT12_llPT13_lli
; %bb.0:
	s_load_b32 s31, s[0:1], 0x88
	s_lshr_b32 s2, ttmp7, 16
	s_wait_kmcnt 0x0
	s_cmp_ge_i32 s2, s31
	s_cbranch_scc1 .LBB188_10
; %bb.1:
	v_dual_mov_b32 v1, 0 :: v_dual_and_b32 v8, 0x3ff, v0
	v_bfe_u32 v2, v0, 10, 10
	s_clause 0x5
	s_load_b96 s[28:30], s[0:1], 0x10
	s_load_b128 s[24:27], s[0:1], 0x40
	s_load_b32 s33, s[0:1], 0x50
	s_load_b128 s[20:23], s[0:1], 0x78
	s_load_b256 s[4:11], s[0:1], 0x20
	s_load_b256 s[12:19], s[0:1], 0x58
	s_lshl_b32 s0, ttmp7, 5
	s_mov_b32 s34, ttmp9
	v_lshl_add_u32 v3, v2, 4, v8
	s_and_b32 s36, s0, 0x1fffe0
	v_lshl_add_u32 v19, v2, 5, 0x400
	v_add_nc_u32_e32 v14, s36, v2
	s_ashr_i32 s35, ttmp9, 31
	v_and_b32_e32 v12, 31, v3
	v_lshrrev_b32_e32 v15, 5, v3
	s_lshl_b64 s[0:1], s[34:35], 5
	v_lshlrev_b32_e32 v18, 2, v8
	v_add_co_u32 v8, s35, s0, v8
	v_lshlrev_b32_e32 v4, 2, v12
	v_add_co_ci_u32_e64 v9, null, s1, 0, s35
	s_mov_b32 s3, 0
	s_wait_kmcnt 0x0
	s_cmp_eq_f32 s33, 0
	v_lshl_or_b32 v16, v15, 7, v4
	v_mad_co_u64_u32 v[4:5], null, v14, s20, 0
	v_and_b32_e32 v13, 7, v0
	v_lshrrev_b32_e32 v0, 3, v3
	v_mad_co_u64_u32 v[6:7], null, v14, s14, 0
	s_cselect_b32 s34, -1, 0
	v_lshlrev_b32_e32 v3, 2, v13
	s_delay_alu instid0(VALU_DEP_1) | instskip(NEXT) | instid1(VALU_DEP_1)
	v_lshl_or_b32 v3, v0, 5, v3
	v_add_nc_u32_e32 v17, 0x400, v3
	v_mad_co_u64_u32 v[2:3], null, s24, v13, v[0:1]
	v_mov_b32_e32 v0, v5
	v_or_b32_e32 v5, s0, v12
	s_mul_i32 s0, s6, s1
	s_delay_alu instid0(VALU_DEP_2) | instskip(SKIP_3) | instid1(VALU_DEP_3)
	v_mad_co_u64_u32 v[10:11], null, v14, s21, v[0:1]
	v_mov_b32_e32 v0, v7
	v_mad_co_u64_u32 v[11:12], null, s25, v13, v[3:4]
	v_add_co_u32 v2, vcc_lo, v2, s36
	v_mad_co_u64_u32 v[12:13], null, v14, s15, v[0:1]
	v_mul_lo_u32 v0, s7, v5
	v_mad_co_u64_u32 v[13:14], null, s6, v5, 0
	v_add_co_ci_u32_e64 v3, null, 0, v11, vcc_lo
	v_mov_b32_e32 v5, v10
	v_mov_b32_e32 v7, v12
	s_lshl_b64 s[20:21], s[20:21], 4
	s_delay_alu instid0(VALU_DEP_3)
	v_lshlrev_b64_e32 v[2:3], 2, v[2:3]
	s_wait_alu 0xfffe
	v_add3_u32 v14, v14, s0, v0
	s_lshl_b64 s[0:1], s[26:27], 2
	v_lshlrev_b64_e32 v[4:5], 2, v[4:5]
	s_lshl_b64 s[36:37], s[14:15], 4
	s_lshl_b64 s[6:7], s[24:25], 5
	v_lshlrev_b64_e32 v[10:11], 2, v[13:14]
	s_wait_alu 0xfffe
	v_add_co_u32 v0, vcc_lo, s0, v2
	s_wait_alu 0xfffd
	v_add_co_ci_u32_e64 v20, null, s1, v3, vcc_lo
	s_lshl_b64 s[0:1], s[8:9], 2
	v_lshlrev_b32_e32 v2, 2, v15
	s_wait_alu 0xfffe
	v_add_co_u32 v3, vcc_lo, v10, s0
	v_cmp_gt_i64_e64 s0, s[28:29], 0
	s_wait_alu 0xfffd
	v_add_co_ci_u32_e64 v10, null, s1, v11, vcc_lo
	s_delay_alu instid0(VALU_DEP_3)
	v_add_co_u32 v21, vcc_lo, v3, v2
	v_lshlrev_b64_e32 v[2:3], 2, v[6:7]
	s_wait_alu 0xf1ff
	v_cndmask_b32_e64 v11, 0, 1, s0
	v_lshlrev_b64_e32 v[6:7], 2, v[8:9]
	s_wait_alu 0xfffd
	v_add_co_ci_u32_e64 v22, null, 0, v10, vcc_lo
	s_lshl_b64 s[8:9], s[22:23], 2
	v_cmp_ne_u32_e64 s0, 1, v11
	s_lshl_b64 s[14:15], s[16:17], 2
	s_lshl_b64 s[16:17], s[36:37], 2
	;; [unrolled: 1-line block ×3, first 2 shown]
	s_branch .LBB188_3
.LBB188_2:                              ;   in Loop: Header=BB188_3 Depth=1
	s_add_co_i32 s2, s2, 0x10000
	s_delay_alu instid0(SALU_CYCLE_1)
	s_cmp_lt_i32 s2, s31
	s_cbranch_scc0 .LBB188_10
.LBB188_3:                              ; =>This Loop Header: Depth=1
                                        ;     Child Loop BB188_5 Depth 2
	s_lshl_b64 s[22:23], s[2:3], 3
	v_dual_mov_b32 v26, 0 :: v_dual_mov_b32 v25, 0
	s_wait_alu 0xfffe
	s_add_nc_u64 s[24:25], s[12:13], s[22:23]
	s_add_nc_u64 s[26:27], s[18:19], s[22:23]
	s_clause 0x1
	global_load_b64 v[8:9], v1, s[24:25]
	global_load_b64 v[10:11], v1, s[26:27]
	v_dual_mov_b32 v24, 0 :: v_dual_mov_b32 v23, 0
	s_and_b32 vcc_lo, exec_lo, s0
	s_wait_alu 0xfffe
	s_cbranch_vccnz .LBB188_6
; %bb.4:                                ;   in Loop: Header=BB188_3 Depth=1
	s_add_nc_u64 s[24:25], s[10:11], s[22:23]
	s_add_nc_u64 s[22:23], s[4:5], s[22:23]
	s_clause 0x1
	global_load_b64 v[12:13], v1, s[24:25]
	global_load_b64 v[14:15], v1, s[22:23]
	v_dual_mov_b32 v23, 0 :: v_dual_mov_b32 v24, 0
	v_dual_mov_b32 v25, 0 :: v_dual_mov_b32 v26, 0
	s_mov_b64 s[22:23], 0
	s_wait_loadcnt 0x1
	v_add_co_u32 v12, vcc_lo, v12, v0
	s_wait_alu 0xfffd
	v_add_co_ci_u32_e64 v13, null, v13, v20, vcc_lo
	s_wait_loadcnt 0x0
	v_add_co_u32 v14, vcc_lo, v14, v21
	s_wait_alu 0xfffd
	v_add_co_ci_u32_e64 v15, null, v15, v22, vcc_lo
.LBB188_5:                              ;   Parent Loop BB188_3 Depth=1
                                        ; =>  This Inner Loop Header: Depth=2
	flat_load_b32 v27, v[14:15]
	s_wait_alu 0xfffe
	s_add_nc_u64 s[22:23], s[22:23], 8
	v_add_co_u32 v14, vcc_lo, v14, 32
	s_wait_alu 0xfffe
	v_cmp_lt_i64_e64 s1, s[22:23], s[28:29]
	s_wait_alu 0xfffd
	v_add_co_ci_u32_e64 v15, null, 0, v15, vcc_lo
	s_and_b32 vcc_lo, exec_lo, s1
	s_wait_loadcnt_dscnt 0x0
	ds_store_b32 v16, v27
	flat_load_b32 v27, v[12:13]
	v_add_co_u32 v12, s1, v12, s6
	s_wait_alu 0xf1ff
	v_add_co_ci_u32_e64 v13, null, s7, v13, s1
	s_wait_loadcnt_dscnt 0x0
	ds_store_b32 v17, v27
	s_wait_dscnt 0x0
	s_barrier_signal -1
	s_barrier_wait -1
	global_inv scope:SCOPE_SE
	ds_load_b128 v[27:30], v19
	ds_load_2addr_b32 v[43:44], v18 offset1:16
	ds_load_b128 v[31:34], v19 offset:512
	ds_load_2addr_b32 v[45:46], v18 offset0:32 offset1:48
	ds_load_2addr_b32 v[47:48], v18 offset0:64 offset1:80
	ds_load_b128 v[35:38], v19 offset:16
	ds_load_2addr_b32 v[49:50], v18 offset0:96 offset1:112
	ds_load_2addr_b32 v[51:52], v18 offset0:128 offset1:144
	ds_load_b128 v[39:42], v19 offset:528
	ds_load_2addr_b32 v[53:54], v18 offset0:160 offset1:176
	ds_load_2addr_b32 v[55:56], v18 offset0:192 offset1:208
	ds_load_2addr_b32 v[57:58], v18 offset0:224 offset1:240
	s_wait_loadcnt_dscnt 0x0
	s_barrier_signal -1
	s_barrier_wait -1
	global_inv scope:SCOPE_SE
	v_fmac_f32_e32 v25, v44, v27
	v_fmac_f32_e32 v26, v43, v27
	;; [unrolled: 1-line block ×3, first 2 shown]
	s_delay_alu instid0(VALU_DEP_3) | instskip(NEXT) | instid1(VALU_DEP_3)
	v_dual_fmac_f32 v24, v43, v31 :: v_dual_fmac_f32 v25, v46, v28
	v_fmac_f32_e32 v26, v45, v28
	s_delay_alu instid0(VALU_DEP_3) | instskip(NEXT) | instid1(VALU_DEP_3)
	v_fmac_f32_e32 v23, v46, v32
	v_dual_fmac_f32 v24, v45, v32 :: v_dual_fmac_f32 v25, v48, v29
	s_delay_alu instid0(VALU_DEP_3) | instskip(NEXT) | instid1(VALU_DEP_3)
	v_fmac_f32_e32 v26, v47, v29
	v_fmac_f32_e32 v23, v48, v33
	s_delay_alu instid0(VALU_DEP_3) | instskip(NEXT) | instid1(VALU_DEP_3)
	v_dual_fmac_f32 v24, v47, v33 :: v_dual_fmac_f32 v25, v50, v30
	v_fmac_f32_e32 v26, v49, v30
	s_delay_alu instid0(VALU_DEP_3) | instskip(NEXT) | instid1(VALU_DEP_3)
	v_fmac_f32_e32 v23, v50, v34
	v_dual_fmac_f32 v24, v49, v34 :: v_dual_fmac_f32 v25, v52, v35
	s_delay_alu instid0(VALU_DEP_3) | instskip(NEXT) | instid1(VALU_DEP_3)
	v_fmac_f32_e32 v26, v51, v35
	v_fmac_f32_e32 v23, v52, v39
	;; [unrolled: 9-line block ×3, first 2 shown]
	s_delay_alu instid0(VALU_DEP_3) | instskip(NEXT) | instid1(VALU_DEP_3)
	v_dual_fmac_f32 v24, v55, v41 :: v_dual_fmac_f32 v25, v58, v38
	v_fmac_f32_e32 v26, v57, v38
	s_delay_alu instid0(VALU_DEP_3) | instskip(NEXT) | instid1(VALU_DEP_3)
	v_fmac_f32_e32 v23, v58, v42
	v_fmac_f32_e32 v24, v57, v42
	s_wait_alu 0xfffe
	s_cbranch_vccnz .LBB188_5
.LBB188_6:                              ;   in Loop: Header=BB188_3 Depth=1
	s_wait_loadcnt 0x0
	v_add_co_u32 v10, vcc_lo, v10, s8
	s_wait_alu 0xfffd
	v_add_co_ci_u32_e64 v11, null, s9, v11, vcc_lo
	s_and_not1_b32 vcc_lo, exec_lo, s34
	s_wait_alu 0xfffe
	s_cbranch_vccnz .LBB188_8
; %bb.7:                                ;   in Loop: Header=BB188_3 Depth=1
	v_add_co_u32 v14, vcc_lo, v10, v4
	s_wait_alu 0xfffd
	v_add_co_ci_u32_e64 v15, null, v11, v5, vcc_lo
	v_dual_mul_f32 v27, s30, v26 :: v_dual_mul_f32 v28, s30, v25
	s_delay_alu instid0(VALU_DEP_3) | instskip(SKIP_1) | instid1(VALU_DEP_3)
	v_add_co_u32 v12, vcc_lo, v14, v6
	s_wait_alu 0xfffd
	v_add_co_ci_u32_e64 v13, null, v15, v7, vcc_lo
	v_add_co_u32 v14, vcc_lo, v14, s20
	s_wait_alu 0xfffd
	v_add_co_ci_u32_e64 v15, null, s21, v15, vcc_lo
	v_dual_mul_f32 v29, s30, v24 :: v_dual_mul_f32 v30, s30, v23
	s_delay_alu instid0(VALU_DEP_3) | instskip(SKIP_1) | instid1(VALU_DEP_3)
	v_add_co_u32 v14, vcc_lo, v14, v6
	s_wait_alu 0xfffd
	v_add_co_ci_u32_e64 v15, null, v15, v7, vcc_lo
	s_clause 0x3
	flat_store_b32 v[12:13], v27
	flat_store_b32 v[12:13], v28 offset:64
	flat_store_b32 v[14:15], v29
	flat_store_b32 v[14:15], v30 offset:64
	s_cbranch_execnz .LBB188_2
	s_branch .LBB188_9
.LBB188_8:                              ;   in Loop: Header=BB188_3 Depth=1
.LBB188_9:                              ;   in Loop: Header=BB188_3 Depth=1
	v_add_co_u32 v8, vcc_lo, v8, s14
	s_wait_alu 0xfffd
	v_add_co_ci_u32_e64 v9, null, s15, v9, vcc_lo
	s_delay_alu instid0(VALU_DEP_2) | instskip(SKIP_1) | instid1(VALU_DEP_2)
	v_add_co_u32 v12, vcc_lo, v8, v2
	s_wait_alu 0xfffd
	v_add_co_ci_u32_e64 v13, null, v9, v3, vcc_lo
	s_delay_alu instid0(VALU_DEP_2) | instskip(SKIP_1) | instid1(VALU_DEP_2)
	v_add_co_u32 v8, vcc_lo, v12, v6
	s_wait_alu 0xfffd
	v_add_co_ci_u32_e64 v9, null, v13, v7, vcc_lo
	v_add_co_u32 v15, vcc_lo, v10, v4
	s_wait_alu 0xfffd
	v_add_co_ci_u32_e64 v27, null, v11, v5, vcc_lo
	flat_load_b32 v14, v[8:9]
	v_add_co_u32 v10, vcc_lo, v15, v6
	s_wait_alu 0xfffd
	v_add_co_ci_u32_e64 v11, null, v27, v7, vcc_lo
	s_wait_loadcnt_dscnt 0x0
	v_mul_f32_e32 v14, s33, v14
	s_delay_alu instid0(VALU_DEP_1)
	v_fmac_f32_e32 v14, s30, v26
	flat_store_b32 v[10:11], v14
	flat_load_b32 v8, v[8:9] offset:64
	s_wait_loadcnt_dscnt 0x0
	v_mul_f32_e32 v14, s33, v8
	v_add_co_u32 v8, vcc_lo, v12, s16
	s_wait_alu 0xfffd
	v_add_co_ci_u32_e64 v9, null, s17, v13, vcc_lo
	s_delay_alu instid0(VALU_DEP_3) | instskip(NEXT) | instid1(VALU_DEP_3)
	v_fmac_f32_e32 v14, s30, v25
	v_add_co_u32 v8, vcc_lo, v8, v6
	s_wait_alu 0xfffd
	s_delay_alu instid0(VALU_DEP_3)
	v_add_co_ci_u32_e64 v9, null, v9, v7, vcc_lo
	flat_store_b32 v[10:11], v14 offset:64
	flat_load_b32 v10, v[8:9]
	s_wait_loadcnt_dscnt 0x0
	v_mul_f32_e32 v12, s33, v10
	v_add_co_u32 v10, vcc_lo, v15, s20
	s_wait_alu 0xfffd
	v_add_co_ci_u32_e64 v11, null, s21, v27, vcc_lo
	s_delay_alu instid0(VALU_DEP_3) | instskip(NEXT) | instid1(VALU_DEP_3)
	v_fmac_f32_e32 v12, s30, v24
	v_add_co_u32 v10, vcc_lo, v10, v6
	s_wait_alu 0xfffd
	s_delay_alu instid0(VALU_DEP_3) | instskip(SKIP_4) | instid1(VALU_DEP_1)
	v_add_co_ci_u32_e64 v11, null, v11, v7, vcc_lo
	flat_store_b32 v[10:11], v12
	flat_load_b32 v8, v[8:9] offset:64
	s_wait_loadcnt_dscnt 0x0
	v_mul_f32_e32 v8, s33, v8
	v_fmac_f32_e32 v8, s30, v23
	flat_store_b32 v[10:11], v8 offset:64
	s_branch .LBB188_2
.LBB188_10:
	s_endpgm
	.section	.rodata,"a",@progbits
	.p2align	6, 0x0
	.amdhsa_kernel _ZN12_GLOBAL__N_127rocblas_gemm_batched_kernelIfLi16ELi16ELi32ELi32ELi8ELi32ELi8ELi8ELi32ELc84ELc84EKPKfS3_KPfEEvlllT_PT11_llS8_llS6_PT12_llPT13_lli
		.amdhsa_group_segment_fixed_size 2048
		.amdhsa_private_segment_fixed_size 0
		.amdhsa_kernarg_size 140
		.amdhsa_user_sgpr_count 2
		.amdhsa_user_sgpr_dispatch_ptr 0
		.amdhsa_user_sgpr_queue_ptr 0
		.amdhsa_user_sgpr_kernarg_segment_ptr 1
		.amdhsa_user_sgpr_dispatch_id 0
		.amdhsa_user_sgpr_private_segment_size 0
		.amdhsa_wavefront_size32 1
		.amdhsa_uses_dynamic_stack 0
		.amdhsa_enable_private_segment 0
		.amdhsa_system_sgpr_workgroup_id_x 1
		.amdhsa_system_sgpr_workgroup_id_y 1
		.amdhsa_system_sgpr_workgroup_id_z 1
		.amdhsa_system_sgpr_workgroup_info 0
		.amdhsa_system_vgpr_workitem_id 1
		.amdhsa_next_free_vgpr 59
		.amdhsa_next_free_sgpr 38
		.amdhsa_reserve_vcc 1
		.amdhsa_float_round_mode_32 0
		.amdhsa_float_round_mode_16_64 0
		.amdhsa_float_denorm_mode_32 3
		.amdhsa_float_denorm_mode_16_64 3
		.amdhsa_fp16_overflow 0
		.amdhsa_workgroup_processor_mode 1
		.amdhsa_memory_ordered 1
		.amdhsa_forward_progress 1
		.amdhsa_inst_pref_size 14
		.amdhsa_round_robin_scheduling 0
		.amdhsa_exception_fp_ieee_invalid_op 0
		.amdhsa_exception_fp_denorm_src 0
		.amdhsa_exception_fp_ieee_div_zero 0
		.amdhsa_exception_fp_ieee_overflow 0
		.amdhsa_exception_fp_ieee_underflow 0
		.amdhsa_exception_fp_ieee_inexact 0
		.amdhsa_exception_int_div_zero 0
	.end_amdhsa_kernel
	.section	.text._ZN12_GLOBAL__N_127rocblas_gemm_batched_kernelIfLi16ELi16ELi32ELi32ELi8ELi32ELi8ELi8ELi32ELc84ELc84EKPKfS3_KPfEEvlllT_PT11_llS8_llS6_PT12_llPT13_lli,"axG",@progbits,_ZN12_GLOBAL__N_127rocblas_gemm_batched_kernelIfLi16ELi16ELi32ELi32ELi8ELi32ELi8ELi8ELi32ELc84ELc84EKPKfS3_KPfEEvlllT_PT11_llS8_llS6_PT12_llPT13_lli,comdat
.Lfunc_end188:
	.size	_ZN12_GLOBAL__N_127rocblas_gemm_batched_kernelIfLi16ELi16ELi32ELi32ELi8ELi32ELi8ELi8ELi32ELc84ELc84EKPKfS3_KPfEEvlllT_PT11_llS8_llS6_PT12_llPT13_lli, .Lfunc_end188-_ZN12_GLOBAL__N_127rocblas_gemm_batched_kernelIfLi16ELi16ELi32ELi32ELi8ELi32ELi8ELi8ELi32ELc84ELc84EKPKfS3_KPfEEvlllT_PT11_llS8_llS6_PT12_llPT13_lli
                                        ; -- End function
	.set _ZN12_GLOBAL__N_127rocblas_gemm_batched_kernelIfLi16ELi16ELi32ELi32ELi8ELi32ELi8ELi8ELi32ELc84ELc84EKPKfS3_KPfEEvlllT_PT11_llS8_llS6_PT12_llPT13_lli.num_vgpr, 59
	.set _ZN12_GLOBAL__N_127rocblas_gemm_batched_kernelIfLi16ELi16ELi32ELi32ELi8ELi32ELi8ELi8ELi32ELc84ELc84EKPKfS3_KPfEEvlllT_PT11_llS8_llS6_PT12_llPT13_lli.num_agpr, 0
	.set _ZN12_GLOBAL__N_127rocblas_gemm_batched_kernelIfLi16ELi16ELi32ELi32ELi8ELi32ELi8ELi8ELi32ELc84ELc84EKPKfS3_KPfEEvlllT_PT11_llS8_llS6_PT12_llPT13_lli.numbered_sgpr, 38
	.set _ZN12_GLOBAL__N_127rocblas_gemm_batched_kernelIfLi16ELi16ELi32ELi32ELi8ELi32ELi8ELi8ELi32ELc84ELc84EKPKfS3_KPfEEvlllT_PT11_llS8_llS6_PT12_llPT13_lli.num_named_barrier, 0
	.set _ZN12_GLOBAL__N_127rocblas_gemm_batched_kernelIfLi16ELi16ELi32ELi32ELi8ELi32ELi8ELi8ELi32ELc84ELc84EKPKfS3_KPfEEvlllT_PT11_llS8_llS6_PT12_llPT13_lli.private_seg_size, 0
	.set _ZN12_GLOBAL__N_127rocblas_gemm_batched_kernelIfLi16ELi16ELi32ELi32ELi8ELi32ELi8ELi8ELi32ELc84ELc84EKPKfS3_KPfEEvlllT_PT11_llS8_llS6_PT12_llPT13_lli.uses_vcc, 1
	.set _ZN12_GLOBAL__N_127rocblas_gemm_batched_kernelIfLi16ELi16ELi32ELi32ELi8ELi32ELi8ELi8ELi32ELc84ELc84EKPKfS3_KPfEEvlllT_PT11_llS8_llS6_PT12_llPT13_lli.uses_flat_scratch, 1
	.set _ZN12_GLOBAL__N_127rocblas_gemm_batched_kernelIfLi16ELi16ELi32ELi32ELi8ELi32ELi8ELi8ELi32ELc84ELc84EKPKfS3_KPfEEvlllT_PT11_llS8_llS6_PT12_llPT13_lli.has_dyn_sized_stack, 0
	.set _ZN12_GLOBAL__N_127rocblas_gemm_batched_kernelIfLi16ELi16ELi32ELi32ELi8ELi32ELi8ELi8ELi32ELc84ELc84EKPKfS3_KPfEEvlllT_PT11_llS8_llS6_PT12_llPT13_lli.has_recursion, 0
	.set _ZN12_GLOBAL__N_127rocblas_gemm_batched_kernelIfLi16ELi16ELi32ELi32ELi8ELi32ELi8ELi8ELi32ELc84ELc84EKPKfS3_KPfEEvlllT_PT11_llS8_llS6_PT12_llPT13_lli.has_indirect_call, 0
	.section	.AMDGPU.csdata,"",@progbits
; Kernel info:
; codeLenInByte = 1712
; TotalNumSgprs: 40
; NumVgprs: 59
; ScratchSize: 0
; MemoryBound: 0
; FloatMode: 240
; IeeeMode: 1
; LDSByteSize: 2048 bytes/workgroup (compile time only)
; SGPRBlocks: 0
; VGPRBlocks: 7
; NumSGPRsForWavesPerEU: 40
; NumVGPRsForWavesPerEU: 59
; Occupancy: 16
; WaveLimiterHint : 1
; COMPUTE_PGM_RSRC2:SCRATCH_EN: 0
; COMPUTE_PGM_RSRC2:USER_SGPR: 2
; COMPUTE_PGM_RSRC2:TRAP_HANDLER: 0
; COMPUTE_PGM_RSRC2:TGID_X_EN: 1
; COMPUTE_PGM_RSRC2:TGID_Y_EN: 1
; COMPUTE_PGM_RSRC2:TGID_Z_EN: 1
; COMPUTE_PGM_RSRC2:TIDIG_COMP_CNT: 1
	.section	.text._ZN12_GLOBAL__N_127rocblas_gemm_batched_kernelIfLi16ELi16ELi32ELi32ELi8ELi32ELi8ELi8ELi32ELc67ELc67EKPKfS3_KPfEEvlllT_PT11_llS8_llS6_PT12_llPT13_lli,"axG",@progbits,_ZN12_GLOBAL__N_127rocblas_gemm_batched_kernelIfLi16ELi16ELi32ELi32ELi8ELi32ELi8ELi8ELi32ELc67ELc67EKPKfS3_KPfEEvlllT_PT11_llS8_llS6_PT12_llPT13_lli,comdat
	.globl	_ZN12_GLOBAL__N_127rocblas_gemm_batched_kernelIfLi16ELi16ELi32ELi32ELi8ELi32ELi8ELi8ELi32ELc67ELc67EKPKfS3_KPfEEvlllT_PT11_llS8_llS6_PT12_llPT13_lli ; -- Begin function _ZN12_GLOBAL__N_127rocblas_gemm_batched_kernelIfLi16ELi16ELi32ELi32ELi8ELi32ELi8ELi8ELi32ELc67ELc67EKPKfS3_KPfEEvlllT_PT11_llS8_llS6_PT12_llPT13_lli
	.p2align	8
	.type	_ZN12_GLOBAL__N_127rocblas_gemm_batched_kernelIfLi16ELi16ELi32ELi32ELi8ELi32ELi8ELi8ELi32ELc67ELc67EKPKfS3_KPfEEvlllT_PT11_llS8_llS6_PT12_llPT13_lli,@function
_ZN12_GLOBAL__N_127rocblas_gemm_batched_kernelIfLi16ELi16ELi32ELi32ELi8ELi32ELi8ELi8ELi32ELc67ELc67EKPKfS3_KPfEEvlllT_PT11_llS8_llS6_PT12_llPT13_lli: ; @_ZN12_GLOBAL__N_127rocblas_gemm_batched_kernelIfLi16ELi16ELi32ELi32ELi8ELi32ELi8ELi8ELi32ELc67ELc67EKPKfS3_KPfEEvlllT_PT11_llS8_llS6_PT12_llPT13_lli
; %bb.0:
	s_load_b32 s31, s[0:1], 0x88
	s_lshr_b32 s2, ttmp7, 16
	s_wait_kmcnt 0x0
	s_cmp_ge_i32 s2, s31
	s_cbranch_scc1 .LBB189_10
; %bb.1:
	v_dual_mov_b32 v1, 0 :: v_dual_and_b32 v8, 0x3ff, v0
	v_bfe_u32 v2, v0, 10, 10
	s_clause 0x5
	s_load_b96 s[28:30], s[0:1], 0x10
	s_load_b128 s[24:27], s[0:1], 0x40
	s_load_b32 s33, s[0:1], 0x50
	s_load_b128 s[20:23], s[0:1], 0x78
	s_load_b256 s[4:11], s[0:1], 0x20
	s_load_b256 s[12:19], s[0:1], 0x58
	s_lshl_b32 s0, ttmp7, 5
	s_mov_b32 s34, ttmp9
	v_lshl_add_u32 v3, v2, 4, v8
	s_and_b32 s36, s0, 0x1fffe0
	v_lshl_add_u32 v19, v2, 5, 0x400
	v_add_nc_u32_e32 v14, s36, v2
	s_ashr_i32 s35, ttmp9, 31
	v_and_b32_e32 v12, 31, v3
	v_lshrrev_b32_e32 v15, 5, v3
	s_lshl_b64 s[0:1], s[34:35], 5
	v_lshlrev_b32_e32 v18, 2, v8
	v_add_co_u32 v8, s35, s0, v8
	v_lshlrev_b32_e32 v4, 2, v12
	v_add_co_ci_u32_e64 v9, null, s1, 0, s35
	s_mov_b32 s3, 0
	s_wait_kmcnt 0x0
	s_cmp_eq_f32 s33, 0
	v_lshl_or_b32 v16, v15, 7, v4
	v_mad_co_u64_u32 v[4:5], null, v14, s20, 0
	v_and_b32_e32 v13, 7, v0
	v_lshrrev_b32_e32 v0, 3, v3
	v_mad_co_u64_u32 v[6:7], null, v14, s14, 0
	s_cselect_b32 s34, -1, 0
	v_lshlrev_b32_e32 v3, 2, v13
	s_delay_alu instid0(VALU_DEP_1) | instskip(NEXT) | instid1(VALU_DEP_1)
	v_lshl_or_b32 v3, v0, 5, v3
	v_add_nc_u32_e32 v17, 0x400, v3
	v_mad_co_u64_u32 v[2:3], null, s24, v13, v[0:1]
	v_mov_b32_e32 v0, v5
	v_or_b32_e32 v5, s0, v12
	s_mul_i32 s0, s6, s1
	s_delay_alu instid0(VALU_DEP_2) | instskip(SKIP_3) | instid1(VALU_DEP_3)
	v_mad_co_u64_u32 v[10:11], null, v14, s21, v[0:1]
	v_mov_b32_e32 v0, v7
	v_mad_co_u64_u32 v[11:12], null, s25, v13, v[3:4]
	v_add_co_u32 v2, vcc_lo, v2, s36
	v_mad_co_u64_u32 v[12:13], null, v14, s15, v[0:1]
	v_mul_lo_u32 v0, s7, v5
	v_mad_co_u64_u32 v[13:14], null, s6, v5, 0
	v_add_co_ci_u32_e64 v3, null, 0, v11, vcc_lo
	v_mov_b32_e32 v5, v10
	v_mov_b32_e32 v7, v12
	s_lshl_b64 s[20:21], s[20:21], 4
	s_delay_alu instid0(VALU_DEP_3)
	v_lshlrev_b64_e32 v[2:3], 2, v[2:3]
	s_wait_alu 0xfffe
	v_add3_u32 v14, v14, s0, v0
	s_lshl_b64 s[0:1], s[26:27], 2
	v_lshlrev_b64_e32 v[4:5], 2, v[4:5]
	s_lshl_b64 s[36:37], s[14:15], 4
	s_lshl_b64 s[6:7], s[24:25], 5
	v_lshlrev_b64_e32 v[10:11], 2, v[13:14]
	s_wait_alu 0xfffe
	v_add_co_u32 v0, vcc_lo, s0, v2
	s_wait_alu 0xfffd
	v_add_co_ci_u32_e64 v20, null, s1, v3, vcc_lo
	s_lshl_b64 s[0:1], s[8:9], 2
	v_lshlrev_b32_e32 v2, 2, v15
	s_wait_alu 0xfffe
	v_add_co_u32 v3, vcc_lo, v10, s0
	v_cmp_gt_i64_e64 s0, s[28:29], 0
	s_wait_alu 0xfffd
	v_add_co_ci_u32_e64 v10, null, s1, v11, vcc_lo
	s_delay_alu instid0(VALU_DEP_3)
	v_add_co_u32 v21, vcc_lo, v3, v2
	v_lshlrev_b64_e32 v[2:3], 2, v[6:7]
	s_wait_alu 0xf1ff
	v_cndmask_b32_e64 v11, 0, 1, s0
	v_lshlrev_b64_e32 v[6:7], 2, v[8:9]
	s_wait_alu 0xfffd
	v_add_co_ci_u32_e64 v22, null, 0, v10, vcc_lo
	s_lshl_b64 s[8:9], s[22:23], 2
	v_cmp_ne_u32_e64 s0, 1, v11
	s_lshl_b64 s[14:15], s[16:17], 2
	s_lshl_b64 s[16:17], s[36:37], 2
	;; [unrolled: 1-line block ×3, first 2 shown]
	s_branch .LBB189_3
.LBB189_2:                              ;   in Loop: Header=BB189_3 Depth=1
	s_add_co_i32 s2, s2, 0x10000
	s_delay_alu instid0(SALU_CYCLE_1)
	s_cmp_lt_i32 s2, s31
	s_cbranch_scc0 .LBB189_10
.LBB189_3:                              ; =>This Loop Header: Depth=1
                                        ;     Child Loop BB189_5 Depth 2
	s_lshl_b64 s[22:23], s[2:3], 3
	v_dual_mov_b32 v26, 0 :: v_dual_mov_b32 v25, 0
	s_wait_alu 0xfffe
	s_add_nc_u64 s[24:25], s[12:13], s[22:23]
	s_add_nc_u64 s[26:27], s[18:19], s[22:23]
	s_clause 0x1
	global_load_b64 v[8:9], v1, s[24:25]
	global_load_b64 v[10:11], v1, s[26:27]
	v_dual_mov_b32 v24, 0 :: v_dual_mov_b32 v23, 0
	s_and_b32 vcc_lo, exec_lo, s0
	s_wait_alu 0xfffe
	s_cbranch_vccnz .LBB189_6
; %bb.4:                                ;   in Loop: Header=BB189_3 Depth=1
	s_add_nc_u64 s[24:25], s[10:11], s[22:23]
	s_add_nc_u64 s[22:23], s[4:5], s[22:23]
	s_clause 0x1
	global_load_b64 v[12:13], v1, s[24:25]
	global_load_b64 v[14:15], v1, s[22:23]
	v_dual_mov_b32 v23, 0 :: v_dual_mov_b32 v24, 0
	v_dual_mov_b32 v25, 0 :: v_dual_mov_b32 v26, 0
	s_mov_b64 s[22:23], 0
	s_wait_loadcnt 0x1
	v_add_co_u32 v12, vcc_lo, v12, v0
	s_wait_alu 0xfffd
	v_add_co_ci_u32_e64 v13, null, v13, v20, vcc_lo
	s_wait_loadcnt 0x0
	v_add_co_u32 v14, vcc_lo, v14, v21
	s_wait_alu 0xfffd
	v_add_co_ci_u32_e64 v15, null, v15, v22, vcc_lo
.LBB189_5:                              ;   Parent Loop BB189_3 Depth=1
                                        ; =>  This Inner Loop Header: Depth=2
	flat_load_b32 v27, v[14:15]
	s_wait_alu 0xfffe
	s_add_nc_u64 s[22:23], s[22:23], 8
	v_add_co_u32 v14, vcc_lo, v14, 32
	s_wait_alu 0xfffe
	v_cmp_lt_i64_e64 s1, s[22:23], s[28:29]
	s_wait_alu 0xfffd
	v_add_co_ci_u32_e64 v15, null, 0, v15, vcc_lo
	s_and_b32 vcc_lo, exec_lo, s1
	s_wait_loadcnt_dscnt 0x0
	ds_store_b32 v16, v27
	flat_load_b32 v27, v[12:13]
	v_add_co_u32 v12, s1, v12, s6
	s_wait_alu 0xf1ff
	v_add_co_ci_u32_e64 v13, null, s7, v13, s1
	s_wait_loadcnt_dscnt 0x0
	ds_store_b32 v17, v27
	s_wait_dscnt 0x0
	s_barrier_signal -1
	s_barrier_wait -1
	global_inv scope:SCOPE_SE
	ds_load_b128 v[27:30], v19
	ds_load_2addr_b32 v[43:44], v18 offset1:16
	ds_load_b128 v[31:34], v19 offset:512
	ds_load_2addr_b32 v[45:46], v18 offset0:32 offset1:48
	ds_load_2addr_b32 v[47:48], v18 offset0:64 offset1:80
	ds_load_b128 v[35:38], v19 offset:16
	ds_load_2addr_b32 v[49:50], v18 offset0:96 offset1:112
	ds_load_2addr_b32 v[51:52], v18 offset0:128 offset1:144
	;; [unrolled: 3-line block ×3, first 2 shown]
	ds_load_2addr_b32 v[57:58], v18 offset0:224 offset1:240
	s_wait_loadcnt_dscnt 0x0
	s_barrier_signal -1
	s_barrier_wait -1
	global_inv scope:SCOPE_SE
	v_fmac_f32_e32 v25, v44, v27
	v_fmac_f32_e32 v26, v43, v27
	;; [unrolled: 1-line block ×3, first 2 shown]
	s_delay_alu instid0(VALU_DEP_3) | instskip(NEXT) | instid1(VALU_DEP_3)
	v_dual_fmac_f32 v24, v43, v31 :: v_dual_fmac_f32 v25, v46, v28
	v_fmac_f32_e32 v26, v45, v28
	s_delay_alu instid0(VALU_DEP_3) | instskip(NEXT) | instid1(VALU_DEP_3)
	v_fmac_f32_e32 v23, v46, v32
	v_dual_fmac_f32 v24, v45, v32 :: v_dual_fmac_f32 v25, v48, v29
	s_delay_alu instid0(VALU_DEP_3) | instskip(NEXT) | instid1(VALU_DEP_3)
	v_fmac_f32_e32 v26, v47, v29
	v_fmac_f32_e32 v23, v48, v33
	s_delay_alu instid0(VALU_DEP_3) | instskip(NEXT) | instid1(VALU_DEP_3)
	v_dual_fmac_f32 v24, v47, v33 :: v_dual_fmac_f32 v25, v50, v30
	v_fmac_f32_e32 v26, v49, v30
	s_delay_alu instid0(VALU_DEP_3) | instskip(NEXT) | instid1(VALU_DEP_3)
	v_fmac_f32_e32 v23, v50, v34
	v_dual_fmac_f32 v24, v49, v34 :: v_dual_fmac_f32 v25, v52, v35
	s_delay_alu instid0(VALU_DEP_3) | instskip(NEXT) | instid1(VALU_DEP_3)
	v_fmac_f32_e32 v26, v51, v35
	v_fmac_f32_e32 v23, v52, v39
	;; [unrolled: 9-line block ×3, first 2 shown]
	s_delay_alu instid0(VALU_DEP_3) | instskip(NEXT) | instid1(VALU_DEP_3)
	v_dual_fmac_f32 v24, v55, v41 :: v_dual_fmac_f32 v25, v58, v38
	v_fmac_f32_e32 v26, v57, v38
	s_delay_alu instid0(VALU_DEP_3) | instskip(NEXT) | instid1(VALU_DEP_3)
	v_fmac_f32_e32 v23, v58, v42
	v_fmac_f32_e32 v24, v57, v42
	s_wait_alu 0xfffe
	s_cbranch_vccnz .LBB189_5
.LBB189_6:                              ;   in Loop: Header=BB189_3 Depth=1
	s_wait_loadcnt 0x0
	v_add_co_u32 v10, vcc_lo, v10, s8
	s_wait_alu 0xfffd
	v_add_co_ci_u32_e64 v11, null, s9, v11, vcc_lo
	s_and_not1_b32 vcc_lo, exec_lo, s34
	s_wait_alu 0xfffe
	s_cbranch_vccnz .LBB189_8
; %bb.7:                                ;   in Loop: Header=BB189_3 Depth=1
	v_add_co_u32 v14, vcc_lo, v10, v4
	s_wait_alu 0xfffd
	v_add_co_ci_u32_e64 v15, null, v11, v5, vcc_lo
	v_dual_mul_f32 v27, s30, v26 :: v_dual_mul_f32 v28, s30, v25
	s_delay_alu instid0(VALU_DEP_3) | instskip(SKIP_1) | instid1(VALU_DEP_3)
	v_add_co_u32 v12, vcc_lo, v14, v6
	s_wait_alu 0xfffd
	v_add_co_ci_u32_e64 v13, null, v15, v7, vcc_lo
	v_add_co_u32 v14, vcc_lo, v14, s20
	s_wait_alu 0xfffd
	v_add_co_ci_u32_e64 v15, null, s21, v15, vcc_lo
	v_dual_mul_f32 v29, s30, v24 :: v_dual_mul_f32 v30, s30, v23
	s_delay_alu instid0(VALU_DEP_3) | instskip(SKIP_1) | instid1(VALU_DEP_3)
	v_add_co_u32 v14, vcc_lo, v14, v6
	s_wait_alu 0xfffd
	v_add_co_ci_u32_e64 v15, null, v15, v7, vcc_lo
	s_clause 0x3
	flat_store_b32 v[12:13], v27
	flat_store_b32 v[12:13], v28 offset:64
	flat_store_b32 v[14:15], v29
	flat_store_b32 v[14:15], v30 offset:64
	s_cbranch_execnz .LBB189_2
	s_branch .LBB189_9
.LBB189_8:                              ;   in Loop: Header=BB189_3 Depth=1
.LBB189_9:                              ;   in Loop: Header=BB189_3 Depth=1
	v_add_co_u32 v8, vcc_lo, v8, s14
	s_wait_alu 0xfffd
	v_add_co_ci_u32_e64 v9, null, s15, v9, vcc_lo
	s_delay_alu instid0(VALU_DEP_2) | instskip(SKIP_1) | instid1(VALU_DEP_2)
	v_add_co_u32 v12, vcc_lo, v8, v2
	s_wait_alu 0xfffd
	v_add_co_ci_u32_e64 v13, null, v9, v3, vcc_lo
	s_delay_alu instid0(VALU_DEP_2) | instskip(SKIP_1) | instid1(VALU_DEP_2)
	v_add_co_u32 v8, vcc_lo, v12, v6
	s_wait_alu 0xfffd
	v_add_co_ci_u32_e64 v9, null, v13, v7, vcc_lo
	v_add_co_u32 v15, vcc_lo, v10, v4
	s_wait_alu 0xfffd
	v_add_co_ci_u32_e64 v27, null, v11, v5, vcc_lo
	flat_load_b32 v14, v[8:9]
	v_add_co_u32 v10, vcc_lo, v15, v6
	s_wait_alu 0xfffd
	v_add_co_ci_u32_e64 v11, null, v27, v7, vcc_lo
	s_wait_loadcnt_dscnt 0x0
	v_mul_f32_e32 v14, s33, v14
	s_delay_alu instid0(VALU_DEP_1)
	v_fmac_f32_e32 v14, s30, v26
	flat_store_b32 v[10:11], v14
	flat_load_b32 v8, v[8:9] offset:64
	s_wait_loadcnt_dscnt 0x0
	v_mul_f32_e32 v14, s33, v8
	v_add_co_u32 v8, vcc_lo, v12, s16
	s_wait_alu 0xfffd
	v_add_co_ci_u32_e64 v9, null, s17, v13, vcc_lo
	s_delay_alu instid0(VALU_DEP_3) | instskip(NEXT) | instid1(VALU_DEP_3)
	v_fmac_f32_e32 v14, s30, v25
	v_add_co_u32 v8, vcc_lo, v8, v6
	s_wait_alu 0xfffd
	s_delay_alu instid0(VALU_DEP_3)
	v_add_co_ci_u32_e64 v9, null, v9, v7, vcc_lo
	flat_store_b32 v[10:11], v14 offset:64
	flat_load_b32 v10, v[8:9]
	s_wait_loadcnt_dscnt 0x0
	v_mul_f32_e32 v12, s33, v10
	v_add_co_u32 v10, vcc_lo, v15, s20
	s_wait_alu 0xfffd
	v_add_co_ci_u32_e64 v11, null, s21, v27, vcc_lo
	s_delay_alu instid0(VALU_DEP_3) | instskip(NEXT) | instid1(VALU_DEP_3)
	v_fmac_f32_e32 v12, s30, v24
	v_add_co_u32 v10, vcc_lo, v10, v6
	s_wait_alu 0xfffd
	s_delay_alu instid0(VALU_DEP_3) | instskip(SKIP_4) | instid1(VALU_DEP_1)
	v_add_co_ci_u32_e64 v11, null, v11, v7, vcc_lo
	flat_store_b32 v[10:11], v12
	flat_load_b32 v8, v[8:9] offset:64
	s_wait_loadcnt_dscnt 0x0
	v_mul_f32_e32 v8, s33, v8
	v_fmac_f32_e32 v8, s30, v23
	flat_store_b32 v[10:11], v8 offset:64
	s_branch .LBB189_2
.LBB189_10:
	s_endpgm
	.section	.rodata,"a",@progbits
	.p2align	6, 0x0
	.amdhsa_kernel _ZN12_GLOBAL__N_127rocblas_gemm_batched_kernelIfLi16ELi16ELi32ELi32ELi8ELi32ELi8ELi8ELi32ELc67ELc67EKPKfS3_KPfEEvlllT_PT11_llS8_llS6_PT12_llPT13_lli
		.amdhsa_group_segment_fixed_size 2048
		.amdhsa_private_segment_fixed_size 0
		.amdhsa_kernarg_size 140
		.amdhsa_user_sgpr_count 2
		.amdhsa_user_sgpr_dispatch_ptr 0
		.amdhsa_user_sgpr_queue_ptr 0
		.amdhsa_user_sgpr_kernarg_segment_ptr 1
		.amdhsa_user_sgpr_dispatch_id 0
		.amdhsa_user_sgpr_private_segment_size 0
		.amdhsa_wavefront_size32 1
		.amdhsa_uses_dynamic_stack 0
		.amdhsa_enable_private_segment 0
		.amdhsa_system_sgpr_workgroup_id_x 1
		.amdhsa_system_sgpr_workgroup_id_y 1
		.amdhsa_system_sgpr_workgroup_id_z 1
		.amdhsa_system_sgpr_workgroup_info 0
		.amdhsa_system_vgpr_workitem_id 1
		.amdhsa_next_free_vgpr 59
		.amdhsa_next_free_sgpr 38
		.amdhsa_reserve_vcc 1
		.amdhsa_float_round_mode_32 0
		.amdhsa_float_round_mode_16_64 0
		.amdhsa_float_denorm_mode_32 3
		.amdhsa_float_denorm_mode_16_64 3
		.amdhsa_fp16_overflow 0
		.amdhsa_workgroup_processor_mode 1
		.amdhsa_memory_ordered 1
		.amdhsa_forward_progress 1
		.amdhsa_inst_pref_size 14
		.amdhsa_round_robin_scheduling 0
		.amdhsa_exception_fp_ieee_invalid_op 0
		.amdhsa_exception_fp_denorm_src 0
		.amdhsa_exception_fp_ieee_div_zero 0
		.amdhsa_exception_fp_ieee_overflow 0
		.amdhsa_exception_fp_ieee_underflow 0
		.amdhsa_exception_fp_ieee_inexact 0
		.amdhsa_exception_int_div_zero 0
	.end_amdhsa_kernel
	.section	.text._ZN12_GLOBAL__N_127rocblas_gemm_batched_kernelIfLi16ELi16ELi32ELi32ELi8ELi32ELi8ELi8ELi32ELc67ELc67EKPKfS3_KPfEEvlllT_PT11_llS8_llS6_PT12_llPT13_lli,"axG",@progbits,_ZN12_GLOBAL__N_127rocblas_gemm_batched_kernelIfLi16ELi16ELi32ELi32ELi8ELi32ELi8ELi8ELi32ELc67ELc67EKPKfS3_KPfEEvlllT_PT11_llS8_llS6_PT12_llPT13_lli,comdat
.Lfunc_end189:
	.size	_ZN12_GLOBAL__N_127rocblas_gemm_batched_kernelIfLi16ELi16ELi32ELi32ELi8ELi32ELi8ELi8ELi32ELc67ELc67EKPKfS3_KPfEEvlllT_PT11_llS8_llS6_PT12_llPT13_lli, .Lfunc_end189-_ZN12_GLOBAL__N_127rocblas_gemm_batched_kernelIfLi16ELi16ELi32ELi32ELi8ELi32ELi8ELi8ELi32ELc67ELc67EKPKfS3_KPfEEvlllT_PT11_llS8_llS6_PT12_llPT13_lli
                                        ; -- End function
	.set _ZN12_GLOBAL__N_127rocblas_gemm_batched_kernelIfLi16ELi16ELi32ELi32ELi8ELi32ELi8ELi8ELi32ELc67ELc67EKPKfS3_KPfEEvlllT_PT11_llS8_llS6_PT12_llPT13_lli.num_vgpr, 59
	.set _ZN12_GLOBAL__N_127rocblas_gemm_batched_kernelIfLi16ELi16ELi32ELi32ELi8ELi32ELi8ELi8ELi32ELc67ELc67EKPKfS3_KPfEEvlllT_PT11_llS8_llS6_PT12_llPT13_lli.num_agpr, 0
	.set _ZN12_GLOBAL__N_127rocblas_gemm_batched_kernelIfLi16ELi16ELi32ELi32ELi8ELi32ELi8ELi8ELi32ELc67ELc67EKPKfS3_KPfEEvlllT_PT11_llS8_llS6_PT12_llPT13_lli.numbered_sgpr, 38
	.set _ZN12_GLOBAL__N_127rocblas_gemm_batched_kernelIfLi16ELi16ELi32ELi32ELi8ELi32ELi8ELi8ELi32ELc67ELc67EKPKfS3_KPfEEvlllT_PT11_llS8_llS6_PT12_llPT13_lli.num_named_barrier, 0
	.set _ZN12_GLOBAL__N_127rocblas_gemm_batched_kernelIfLi16ELi16ELi32ELi32ELi8ELi32ELi8ELi8ELi32ELc67ELc67EKPKfS3_KPfEEvlllT_PT11_llS8_llS6_PT12_llPT13_lli.private_seg_size, 0
	.set _ZN12_GLOBAL__N_127rocblas_gemm_batched_kernelIfLi16ELi16ELi32ELi32ELi8ELi32ELi8ELi8ELi32ELc67ELc67EKPKfS3_KPfEEvlllT_PT11_llS8_llS6_PT12_llPT13_lli.uses_vcc, 1
	.set _ZN12_GLOBAL__N_127rocblas_gemm_batched_kernelIfLi16ELi16ELi32ELi32ELi8ELi32ELi8ELi8ELi32ELc67ELc67EKPKfS3_KPfEEvlllT_PT11_llS8_llS6_PT12_llPT13_lli.uses_flat_scratch, 1
	.set _ZN12_GLOBAL__N_127rocblas_gemm_batched_kernelIfLi16ELi16ELi32ELi32ELi8ELi32ELi8ELi8ELi32ELc67ELc67EKPKfS3_KPfEEvlllT_PT11_llS8_llS6_PT12_llPT13_lli.has_dyn_sized_stack, 0
	.set _ZN12_GLOBAL__N_127rocblas_gemm_batched_kernelIfLi16ELi16ELi32ELi32ELi8ELi32ELi8ELi8ELi32ELc67ELc67EKPKfS3_KPfEEvlllT_PT11_llS8_llS6_PT12_llPT13_lli.has_recursion, 0
	.set _ZN12_GLOBAL__N_127rocblas_gemm_batched_kernelIfLi16ELi16ELi32ELi32ELi8ELi32ELi8ELi8ELi32ELc67ELc67EKPKfS3_KPfEEvlllT_PT11_llS8_llS6_PT12_llPT13_lli.has_indirect_call, 0
	.section	.AMDGPU.csdata,"",@progbits
; Kernel info:
; codeLenInByte = 1712
; TotalNumSgprs: 40
; NumVgprs: 59
; ScratchSize: 0
; MemoryBound: 0
; FloatMode: 240
; IeeeMode: 1
; LDSByteSize: 2048 bytes/workgroup (compile time only)
; SGPRBlocks: 0
; VGPRBlocks: 7
; NumSGPRsForWavesPerEU: 40
; NumVGPRsForWavesPerEU: 59
; Occupancy: 16
; WaveLimiterHint : 1
; COMPUTE_PGM_RSRC2:SCRATCH_EN: 0
; COMPUTE_PGM_RSRC2:USER_SGPR: 2
; COMPUTE_PGM_RSRC2:TRAP_HANDLER: 0
; COMPUTE_PGM_RSRC2:TGID_X_EN: 1
; COMPUTE_PGM_RSRC2:TGID_Y_EN: 1
; COMPUTE_PGM_RSRC2:TGID_Z_EN: 1
; COMPUTE_PGM_RSRC2:TIDIG_COMP_CNT: 1
	.section	.text._ZN12_GLOBAL__N_127rocblas_gemm_batched_kernelIfLi16ELi16ELi32ELi32ELi8ELi32ELi8ELi8ELi32ELc67ELc78EKPKfS3_KPfEEvlllT_PT11_llS8_llS6_PT12_llPT13_lli,"axG",@progbits,_ZN12_GLOBAL__N_127rocblas_gemm_batched_kernelIfLi16ELi16ELi32ELi32ELi8ELi32ELi8ELi8ELi32ELc67ELc78EKPKfS3_KPfEEvlllT_PT11_llS8_llS6_PT12_llPT13_lli,comdat
	.globl	_ZN12_GLOBAL__N_127rocblas_gemm_batched_kernelIfLi16ELi16ELi32ELi32ELi8ELi32ELi8ELi8ELi32ELc67ELc78EKPKfS3_KPfEEvlllT_PT11_llS8_llS6_PT12_llPT13_lli ; -- Begin function _ZN12_GLOBAL__N_127rocblas_gemm_batched_kernelIfLi16ELi16ELi32ELi32ELi8ELi32ELi8ELi8ELi32ELc67ELc78EKPKfS3_KPfEEvlllT_PT11_llS8_llS6_PT12_llPT13_lli
	.p2align	8
	.type	_ZN12_GLOBAL__N_127rocblas_gemm_batched_kernelIfLi16ELi16ELi32ELi32ELi8ELi32ELi8ELi8ELi32ELc67ELc78EKPKfS3_KPfEEvlllT_PT11_llS8_llS6_PT12_llPT13_lli,@function
_ZN12_GLOBAL__N_127rocblas_gemm_batched_kernelIfLi16ELi16ELi32ELi32ELi8ELi32ELi8ELi8ELi32ELc67ELc78EKPKfS3_KPfEEvlllT_PT11_llS8_llS6_PT12_llPT13_lli: ; @_ZN12_GLOBAL__N_127rocblas_gemm_batched_kernelIfLi16ELi16ELi32ELi32ELi8ELi32ELi8ELi8ELi32ELc67ELc78EKPKfS3_KPfEEvlllT_PT11_llS8_llS6_PT12_llPT13_lli
; %bb.0:
	s_load_b32 s31, s[0:1], 0x88
	s_lshr_b32 s2, ttmp7, 16
	s_wait_kmcnt 0x0
	s_cmp_ge_i32 s2, s31
	s_cbranch_scc1 .LBB190_10
; %bb.1:
	v_and_b32_e32 v10, 0x3ff, v0
	v_bfe_u32 v6, v0, 10, 10
	s_clause 0x5
	s_load_b96 s[28:30], s[0:1], 0x10
	s_load_b256 s[4:11], s[0:1], 0x20
	s_load_b128 s[20:23], s[0:1], 0x78
	s_load_b128 s[24:27], s[0:1], 0x40
	s_load_b32 s33, s[0:1], 0x50
	s_load_b256 s[12:19], s[0:1], 0x58
	v_lshlrev_b32_e32 v0, 2, v0
	s_lshl_b32 s0, ttmp7, 5
	v_lshl_add_u32 v1, v6, 4, v10
	v_mov_b32_e32 v14, 0
	s_and_b32 s3, s0, 0x1fffe0
	v_and_b32_e32 v19, 28, v0
	v_add_nc_u32_e32 v9, s3, v6
	v_and_b32_e32 v11, 31, v1
	v_lshrrev_b32_e32 v13, 5, v1
	v_lshrrev_b32_e32 v1, 3, v1
	s_mov_b32 s34, ttmp9
	s_ashr_i32 s35, ttmp9, 31
	v_lshlrev_b32_e32 v0, 2, v11
	v_lshl_add_u32 v18, v6, 5, 0x400
	v_lshl_or_b32 v2, v1, 5, v19
	v_add_nc_u32_e32 v8, s3, v1
	s_lshl_b64 s[0:1], s[34:35], 5
	v_lshl_or_b32 v15, v13, 7, v0
	s_wait_kmcnt 0x0
	s_cmp_eq_f32 s33, 0
	v_add_nc_u32_e32 v16, 0x400, v2
	v_mad_co_u64_u32 v[2:3], null, v9, s20, 0
	v_mad_co_u64_u32 v[4:5], null, v9, s14, 0
	;; [unrolled: 1-line block ×3, first 2 shown]
	s_cselect_b32 s24, -1, 0
	s_lshl_b64 s[34:35], s[14:15], 4
	s_mov_b32 s3, 0
	v_mad_co_u64_u32 v[6:7], null, v9, s21, v[3:4]
	v_mad_co_u64_u32 v[7:8], null, s25, v8, v[1:2]
	v_or_b32_e32 v3, s0, v11
	s_lshl_b64 s[20:21], s[20:21], 4
	s_delay_alu instid0(VALU_DEP_3) | instskip(NEXT) | instid1(VALU_DEP_3)
	v_mad_co_u64_u32 v[8:9], null, v9, s15, v[5:6]
	v_mov_b32_e32 v1, v7
	s_delay_alu instid0(VALU_DEP_3)
	v_mul_lo_u32 v7, s7, v3
	v_mad_co_u64_u32 v[11:12], null, s6, v3, 0
	s_mul_i32 s6, s6, s1
	v_lshlrev_b64_e32 v[0:1], 2, v[0:1]
	v_add_co_u32 v9, s0, s0, v10
	v_lshlrev_b32_e32 v17, 2, v10
	s_wait_alu 0xf1ff
	v_add_co_ci_u32_e64 v10, null, s1, 0, s0
	s_wait_alu 0xfffe
	v_add3_u32 v12, v12, s6, v7
	s_lshl_b64 s[0:1], s[26:27], 2
	v_mov_b32_e32 v3, v6
	s_wait_alu 0xfffe
	v_add_co_u32 v6, vcc_lo, v0, s0
	s_delay_alu instid0(VALU_DEP_1) | instskip(SKIP_1) | instid1(VALU_DEP_3)
	v_add_co_ci_u32_e64 v7, null, s1, v1, vcc_lo
	v_lshlrev_b64_e32 v[0:1], 2, v[11:12]
	v_add_co_u32 v19, vcc_lo, v6, v19
	s_lshl_b64 s[0:1], s[8:9], 2
	s_wait_alu 0xfffd
	v_add_co_ci_u32_e64 v20, null, 0, v7, vcc_lo
	s_wait_alu 0xfffe
	v_add_co_u32 v0, vcc_lo, v0, s0
	v_cmp_gt_i64_e64 s0, s[28:29], 0
	v_dual_mov_b32 v5, v8 :: v_dual_lshlrev_b32 v6, 2, v13
	s_wait_alu 0xfffd
	v_add_co_ci_u32_e64 v1, null, s1, v1, vcc_lo
	v_lshlrev_b64_e32 v[2:3], 2, v[2:3]
	s_wait_alu 0xf1ff
	v_cndmask_b32_e64 v7, 0, 1, s0
	v_add_co_u32 v21, vcc_lo, v0, v6
	s_wait_alu 0xfffd
	v_add_co_ci_u32_e64 v22, null, 0, v1, vcc_lo
	v_lshlrev_b64_e32 v[0:1], 2, v[4:5]
	v_lshlrev_b64_e32 v[4:5], 2, v[9:10]
	v_cmp_ne_u32_e64 s0, 1, v7
	s_lshl_b64 s[6:7], s[22:23], 2
	s_lshl_b64 s[8:9], s[20:21], 2
	;; [unrolled: 1-line block ×4, first 2 shown]
	s_branch .LBB190_3
.LBB190_2:                              ;   in Loop: Header=BB190_3 Depth=1
	s_add_co_i32 s2, s2, 0x10000
	s_wait_alu 0xfffe
	s_cmp_lt_i32 s2, s31
	s_cbranch_scc0 .LBB190_10
.LBB190_3:                              ; =>This Loop Header: Depth=1
                                        ;     Child Loop BB190_5 Depth 2
	s_lshl_b64 s[20:21], s[2:3], 3
	v_dual_mov_b32 v26, 0 :: v_dual_mov_b32 v25, 0
	s_wait_alu 0xfffe
	s_add_nc_u64 s[22:23], s[12:13], s[20:21]
	s_add_nc_u64 s[26:27], s[18:19], s[20:21]
	s_clause 0x1
	global_load_b64 v[6:7], v14, s[22:23]
	global_load_b64 v[8:9], v14, s[26:27]
	v_dual_mov_b32 v24, 0 :: v_dual_mov_b32 v23, 0
	s_and_b32 vcc_lo, exec_lo, s0
	s_wait_alu 0xfffe
	s_cbranch_vccnz .LBB190_6
; %bb.4:                                ;   in Loop: Header=BB190_3 Depth=1
	s_add_nc_u64 s[22:23], s[10:11], s[20:21]
	s_add_nc_u64 s[20:21], s[4:5], s[20:21]
	s_clause 0x1
	global_load_b64 v[10:11], v14, s[22:23]
	global_load_b64 v[12:13], v14, s[20:21]
	v_dual_mov_b32 v23, 0 :: v_dual_mov_b32 v24, 0
	v_dual_mov_b32 v25, 0 :: v_dual_mov_b32 v26, 0
	s_mov_b64 s[20:21], 0
	s_wait_loadcnt 0x1
	v_add_co_u32 v10, vcc_lo, v10, v19
	s_wait_alu 0xfffd
	v_add_co_ci_u32_e64 v11, null, v11, v20, vcc_lo
	s_wait_loadcnt 0x0
	v_add_co_u32 v12, vcc_lo, v12, v21
	s_wait_alu 0xfffd
	v_add_co_ci_u32_e64 v13, null, v13, v22, vcc_lo
.LBB190_5:                              ;   Parent Loop BB190_3 Depth=1
                                        ; =>  This Inner Loop Header: Depth=2
	flat_load_b32 v27, v[12:13]
	s_wait_alu 0xfffe
	s_add_nc_u64 s[20:21], s[20:21], 8
	v_add_co_u32 v12, vcc_lo, v12, 32
	s_wait_alu 0xfffe
	v_cmp_lt_i64_e64 s1, s[20:21], s[28:29]
	s_wait_alu 0xfffd
	v_add_co_ci_u32_e64 v13, null, 0, v13, vcc_lo
	s_and_b32 vcc_lo, exec_lo, s1
	s_wait_loadcnt_dscnt 0x0
	ds_store_b32 v15, v27
	flat_load_b32 v27, v[10:11]
	v_add_co_u32 v10, s1, v10, 32
	s_wait_alu 0xf1ff
	v_add_co_ci_u32_e64 v11, null, 0, v11, s1
	s_wait_loadcnt_dscnt 0x0
	ds_store_b32 v16, v27
	s_wait_dscnt 0x0
	s_barrier_signal -1
	s_barrier_wait -1
	global_inv scope:SCOPE_SE
	ds_load_b128 v[27:30], v18
	ds_load_2addr_b32 v[43:44], v17 offset1:16
	ds_load_b128 v[31:34], v18 offset:512
	ds_load_2addr_b32 v[45:46], v17 offset0:32 offset1:48
	ds_load_2addr_b32 v[47:48], v17 offset0:64 offset1:80
	ds_load_b128 v[35:38], v18 offset:16
	ds_load_2addr_b32 v[49:50], v17 offset0:96 offset1:112
	ds_load_2addr_b32 v[51:52], v17 offset0:128 offset1:144
	;; [unrolled: 3-line block ×3, first 2 shown]
	ds_load_2addr_b32 v[57:58], v17 offset0:224 offset1:240
	s_wait_loadcnt_dscnt 0x0
	s_barrier_signal -1
	s_barrier_wait -1
	global_inv scope:SCOPE_SE
	v_fmac_f32_e32 v25, v44, v27
	v_fmac_f32_e32 v26, v43, v27
	;; [unrolled: 1-line block ×3, first 2 shown]
	s_delay_alu instid0(VALU_DEP_3) | instskip(NEXT) | instid1(VALU_DEP_3)
	v_dual_fmac_f32 v24, v43, v31 :: v_dual_fmac_f32 v25, v46, v28
	v_fmac_f32_e32 v26, v45, v28
	s_delay_alu instid0(VALU_DEP_3) | instskip(NEXT) | instid1(VALU_DEP_3)
	v_fmac_f32_e32 v23, v46, v32
	v_dual_fmac_f32 v24, v45, v32 :: v_dual_fmac_f32 v25, v48, v29
	s_delay_alu instid0(VALU_DEP_3) | instskip(NEXT) | instid1(VALU_DEP_3)
	v_fmac_f32_e32 v26, v47, v29
	v_fmac_f32_e32 v23, v48, v33
	s_delay_alu instid0(VALU_DEP_3) | instskip(NEXT) | instid1(VALU_DEP_3)
	v_dual_fmac_f32 v24, v47, v33 :: v_dual_fmac_f32 v25, v50, v30
	v_fmac_f32_e32 v26, v49, v30
	s_delay_alu instid0(VALU_DEP_3) | instskip(NEXT) | instid1(VALU_DEP_3)
	v_fmac_f32_e32 v23, v50, v34
	v_dual_fmac_f32 v24, v49, v34 :: v_dual_fmac_f32 v25, v52, v35
	s_delay_alu instid0(VALU_DEP_3) | instskip(NEXT) | instid1(VALU_DEP_3)
	v_fmac_f32_e32 v26, v51, v35
	v_fmac_f32_e32 v23, v52, v39
	;; [unrolled: 9-line block ×3, first 2 shown]
	s_delay_alu instid0(VALU_DEP_3) | instskip(NEXT) | instid1(VALU_DEP_3)
	v_dual_fmac_f32 v24, v55, v41 :: v_dual_fmac_f32 v25, v58, v38
	v_fmac_f32_e32 v26, v57, v38
	s_delay_alu instid0(VALU_DEP_3) | instskip(NEXT) | instid1(VALU_DEP_3)
	v_fmac_f32_e32 v23, v58, v42
	v_fmac_f32_e32 v24, v57, v42
	s_wait_alu 0xfffe
	s_cbranch_vccnz .LBB190_5
.LBB190_6:                              ;   in Loop: Header=BB190_3 Depth=1
	s_wait_loadcnt 0x0
	v_add_co_u32 v8, vcc_lo, v8, s6
	s_wait_alu 0xfffd
	v_add_co_ci_u32_e64 v9, null, s7, v9, vcc_lo
	s_and_not1_b32 vcc_lo, exec_lo, s24
	s_wait_alu 0xfffe
	s_cbranch_vccnz .LBB190_8
; %bb.7:                                ;   in Loop: Header=BB190_3 Depth=1
	v_add_co_u32 v12, vcc_lo, v8, v2
	s_wait_alu 0xfffd
	v_add_co_ci_u32_e64 v13, null, v9, v3, vcc_lo
	v_dual_mul_f32 v27, s30, v26 :: v_dual_mul_f32 v28, s30, v25
	s_delay_alu instid0(VALU_DEP_3) | instskip(SKIP_1) | instid1(VALU_DEP_3)
	v_add_co_u32 v10, vcc_lo, v12, v4
	s_wait_alu 0xfffd
	v_add_co_ci_u32_e64 v11, null, v13, v5, vcc_lo
	v_add_co_u32 v12, vcc_lo, v12, s8
	s_wait_alu 0xfffd
	v_add_co_ci_u32_e64 v13, null, s9, v13, vcc_lo
	v_dual_mul_f32 v29, s30, v24 :: v_dual_mul_f32 v30, s30, v23
	s_delay_alu instid0(VALU_DEP_3) | instskip(SKIP_1) | instid1(VALU_DEP_3)
	v_add_co_u32 v12, vcc_lo, v12, v4
	s_wait_alu 0xfffd
	v_add_co_ci_u32_e64 v13, null, v13, v5, vcc_lo
	s_clause 0x3
	flat_store_b32 v[10:11], v27
	flat_store_b32 v[10:11], v28 offset:64
	flat_store_b32 v[12:13], v29
	flat_store_b32 v[12:13], v30 offset:64
	s_cbranch_execnz .LBB190_2
	s_branch .LBB190_9
.LBB190_8:                              ;   in Loop: Header=BB190_3 Depth=1
.LBB190_9:                              ;   in Loop: Header=BB190_3 Depth=1
	v_add_co_u32 v6, vcc_lo, v6, s14
	s_wait_alu 0xfffd
	v_add_co_ci_u32_e64 v7, null, s15, v7, vcc_lo
	s_delay_alu instid0(VALU_DEP_2) | instskip(SKIP_1) | instid1(VALU_DEP_2)
	v_add_co_u32 v10, vcc_lo, v6, v0
	s_wait_alu 0xfffd
	v_add_co_ci_u32_e64 v11, null, v7, v1, vcc_lo
	s_delay_alu instid0(VALU_DEP_2) | instskip(SKIP_1) | instid1(VALU_DEP_2)
	v_add_co_u32 v6, vcc_lo, v10, v4
	s_wait_alu 0xfffd
	v_add_co_ci_u32_e64 v7, null, v11, v5, vcc_lo
	v_add_co_u32 v13, vcc_lo, v8, v2
	s_wait_alu 0xfffd
	v_add_co_ci_u32_e64 v27, null, v9, v3, vcc_lo
	flat_load_b32 v12, v[6:7]
	v_add_co_u32 v8, vcc_lo, v13, v4
	s_wait_alu 0xfffd
	v_add_co_ci_u32_e64 v9, null, v27, v5, vcc_lo
	s_wait_loadcnt_dscnt 0x0
	v_mul_f32_e32 v12, s33, v12
	s_delay_alu instid0(VALU_DEP_1)
	v_fmac_f32_e32 v12, s30, v26
	flat_store_b32 v[8:9], v12
	flat_load_b32 v6, v[6:7] offset:64
	s_wait_loadcnt_dscnt 0x0
	v_mul_f32_e32 v12, s33, v6
	v_add_co_u32 v6, vcc_lo, v10, s16
	s_wait_alu 0xfffd
	v_add_co_ci_u32_e64 v7, null, s17, v11, vcc_lo
	s_delay_alu instid0(VALU_DEP_3) | instskip(NEXT) | instid1(VALU_DEP_3)
	v_fmac_f32_e32 v12, s30, v25
	v_add_co_u32 v6, vcc_lo, v6, v4
	s_wait_alu 0xfffd
	s_delay_alu instid0(VALU_DEP_3)
	v_add_co_ci_u32_e64 v7, null, v7, v5, vcc_lo
	flat_store_b32 v[8:9], v12 offset:64
	flat_load_b32 v8, v[6:7]
	s_wait_loadcnt_dscnt 0x0
	v_mul_f32_e32 v10, s33, v8
	v_add_co_u32 v8, vcc_lo, v13, s8
	s_wait_alu 0xfffd
	v_add_co_ci_u32_e64 v9, null, s9, v27, vcc_lo
	s_delay_alu instid0(VALU_DEP_3) | instskip(NEXT) | instid1(VALU_DEP_3)
	v_fmac_f32_e32 v10, s30, v24
	v_add_co_u32 v8, vcc_lo, v8, v4
	s_wait_alu 0xfffd
	s_delay_alu instid0(VALU_DEP_3) | instskip(SKIP_4) | instid1(VALU_DEP_1)
	v_add_co_ci_u32_e64 v9, null, v9, v5, vcc_lo
	flat_store_b32 v[8:9], v10
	flat_load_b32 v6, v[6:7] offset:64
	s_wait_loadcnt_dscnt 0x0
	v_mul_f32_e32 v6, s33, v6
	v_fmac_f32_e32 v6, s30, v23
	flat_store_b32 v[8:9], v6 offset:64
	s_branch .LBB190_2
.LBB190_10:
	s_endpgm
	.section	.rodata,"a",@progbits
	.p2align	6, 0x0
	.amdhsa_kernel _ZN12_GLOBAL__N_127rocblas_gemm_batched_kernelIfLi16ELi16ELi32ELi32ELi8ELi32ELi8ELi8ELi32ELc67ELc78EKPKfS3_KPfEEvlllT_PT11_llS8_llS6_PT12_llPT13_lli
		.amdhsa_group_segment_fixed_size 2048
		.amdhsa_private_segment_fixed_size 0
		.amdhsa_kernarg_size 140
		.amdhsa_user_sgpr_count 2
		.amdhsa_user_sgpr_dispatch_ptr 0
		.amdhsa_user_sgpr_queue_ptr 0
		.amdhsa_user_sgpr_kernarg_segment_ptr 1
		.amdhsa_user_sgpr_dispatch_id 0
		.amdhsa_user_sgpr_private_segment_size 0
		.amdhsa_wavefront_size32 1
		.amdhsa_uses_dynamic_stack 0
		.amdhsa_enable_private_segment 0
		.amdhsa_system_sgpr_workgroup_id_x 1
		.amdhsa_system_sgpr_workgroup_id_y 1
		.amdhsa_system_sgpr_workgroup_id_z 1
		.amdhsa_system_sgpr_workgroup_info 0
		.amdhsa_system_vgpr_workitem_id 1
		.amdhsa_next_free_vgpr 59
		.amdhsa_next_free_sgpr 36
		.amdhsa_reserve_vcc 1
		.amdhsa_float_round_mode_32 0
		.amdhsa_float_round_mode_16_64 0
		.amdhsa_float_denorm_mode_32 3
		.amdhsa_float_denorm_mode_16_64 3
		.amdhsa_fp16_overflow 0
		.amdhsa_workgroup_processor_mode 1
		.amdhsa_memory_ordered 1
		.amdhsa_forward_progress 1
		.amdhsa_inst_pref_size 14
		.amdhsa_round_robin_scheduling 0
		.amdhsa_exception_fp_ieee_invalid_op 0
		.amdhsa_exception_fp_denorm_src 0
		.amdhsa_exception_fp_ieee_div_zero 0
		.amdhsa_exception_fp_ieee_overflow 0
		.amdhsa_exception_fp_ieee_underflow 0
		.amdhsa_exception_fp_ieee_inexact 0
		.amdhsa_exception_int_div_zero 0
	.end_amdhsa_kernel
	.section	.text._ZN12_GLOBAL__N_127rocblas_gemm_batched_kernelIfLi16ELi16ELi32ELi32ELi8ELi32ELi8ELi8ELi32ELc67ELc78EKPKfS3_KPfEEvlllT_PT11_llS8_llS6_PT12_llPT13_lli,"axG",@progbits,_ZN12_GLOBAL__N_127rocblas_gemm_batched_kernelIfLi16ELi16ELi32ELi32ELi8ELi32ELi8ELi8ELi32ELc67ELc78EKPKfS3_KPfEEvlllT_PT11_llS8_llS6_PT12_llPT13_lli,comdat
.Lfunc_end190:
	.size	_ZN12_GLOBAL__N_127rocblas_gemm_batched_kernelIfLi16ELi16ELi32ELi32ELi8ELi32ELi8ELi8ELi32ELc67ELc78EKPKfS3_KPfEEvlllT_PT11_llS8_llS6_PT12_llPT13_lli, .Lfunc_end190-_ZN12_GLOBAL__N_127rocblas_gemm_batched_kernelIfLi16ELi16ELi32ELi32ELi8ELi32ELi8ELi8ELi32ELc67ELc78EKPKfS3_KPfEEvlllT_PT11_llS8_llS6_PT12_llPT13_lli
                                        ; -- End function
	.set _ZN12_GLOBAL__N_127rocblas_gemm_batched_kernelIfLi16ELi16ELi32ELi32ELi8ELi32ELi8ELi8ELi32ELc67ELc78EKPKfS3_KPfEEvlllT_PT11_llS8_llS6_PT12_llPT13_lli.num_vgpr, 59
	.set _ZN12_GLOBAL__N_127rocblas_gemm_batched_kernelIfLi16ELi16ELi32ELi32ELi8ELi32ELi8ELi8ELi32ELc67ELc78EKPKfS3_KPfEEvlllT_PT11_llS8_llS6_PT12_llPT13_lli.num_agpr, 0
	.set _ZN12_GLOBAL__N_127rocblas_gemm_batched_kernelIfLi16ELi16ELi32ELi32ELi8ELi32ELi8ELi8ELi32ELc67ELc78EKPKfS3_KPfEEvlllT_PT11_llS8_llS6_PT12_llPT13_lli.numbered_sgpr, 36
	.set _ZN12_GLOBAL__N_127rocblas_gemm_batched_kernelIfLi16ELi16ELi32ELi32ELi8ELi32ELi8ELi8ELi32ELc67ELc78EKPKfS3_KPfEEvlllT_PT11_llS8_llS6_PT12_llPT13_lli.num_named_barrier, 0
	.set _ZN12_GLOBAL__N_127rocblas_gemm_batched_kernelIfLi16ELi16ELi32ELi32ELi8ELi32ELi8ELi8ELi32ELc67ELc78EKPKfS3_KPfEEvlllT_PT11_llS8_llS6_PT12_llPT13_lli.private_seg_size, 0
	.set _ZN12_GLOBAL__N_127rocblas_gemm_batched_kernelIfLi16ELi16ELi32ELi32ELi8ELi32ELi8ELi8ELi32ELc67ELc78EKPKfS3_KPfEEvlllT_PT11_llS8_llS6_PT12_llPT13_lli.uses_vcc, 1
	.set _ZN12_GLOBAL__N_127rocblas_gemm_batched_kernelIfLi16ELi16ELi32ELi32ELi8ELi32ELi8ELi8ELi32ELc67ELc78EKPKfS3_KPfEEvlllT_PT11_llS8_llS6_PT12_llPT13_lli.uses_flat_scratch, 1
	.set _ZN12_GLOBAL__N_127rocblas_gemm_batched_kernelIfLi16ELi16ELi32ELi32ELi8ELi32ELi8ELi8ELi32ELc67ELc78EKPKfS3_KPfEEvlllT_PT11_llS8_llS6_PT12_llPT13_lli.has_dyn_sized_stack, 0
	.set _ZN12_GLOBAL__N_127rocblas_gemm_batched_kernelIfLi16ELi16ELi32ELi32ELi8ELi32ELi8ELi8ELi32ELc67ELc78EKPKfS3_KPfEEvlllT_PT11_llS8_llS6_PT12_llPT13_lli.has_recursion, 0
	.set _ZN12_GLOBAL__N_127rocblas_gemm_batched_kernelIfLi16ELi16ELi32ELi32ELi8ELi32ELi8ELi8ELi32ELc67ELc78EKPKfS3_KPfEEvlllT_PT11_llS8_llS6_PT12_llPT13_lli.has_indirect_call, 0
	.section	.AMDGPU.csdata,"",@progbits
; Kernel info:
; codeLenInByte = 1708
; TotalNumSgprs: 38
; NumVgprs: 59
; ScratchSize: 0
; MemoryBound: 0
; FloatMode: 240
; IeeeMode: 1
; LDSByteSize: 2048 bytes/workgroup (compile time only)
; SGPRBlocks: 0
; VGPRBlocks: 7
; NumSGPRsForWavesPerEU: 38
; NumVGPRsForWavesPerEU: 59
; Occupancy: 16
; WaveLimiterHint : 1
; COMPUTE_PGM_RSRC2:SCRATCH_EN: 0
; COMPUTE_PGM_RSRC2:USER_SGPR: 2
; COMPUTE_PGM_RSRC2:TRAP_HANDLER: 0
; COMPUTE_PGM_RSRC2:TGID_X_EN: 1
; COMPUTE_PGM_RSRC2:TGID_Y_EN: 1
; COMPUTE_PGM_RSRC2:TGID_Z_EN: 1
; COMPUTE_PGM_RSRC2:TIDIG_COMP_CNT: 1
	.section	.text._ZN12_GLOBAL__N_127rocblas_gemm_batched_kernelIfLi16ELi16ELi32ELi32ELi8ELi32ELi8ELi8ELi32ELc67ELc84EKPKfS3_KPfEEvlllT_PT11_llS8_llS6_PT12_llPT13_lli,"axG",@progbits,_ZN12_GLOBAL__N_127rocblas_gemm_batched_kernelIfLi16ELi16ELi32ELi32ELi8ELi32ELi8ELi8ELi32ELc67ELc84EKPKfS3_KPfEEvlllT_PT11_llS8_llS6_PT12_llPT13_lli,comdat
	.globl	_ZN12_GLOBAL__N_127rocblas_gemm_batched_kernelIfLi16ELi16ELi32ELi32ELi8ELi32ELi8ELi8ELi32ELc67ELc84EKPKfS3_KPfEEvlllT_PT11_llS8_llS6_PT12_llPT13_lli ; -- Begin function _ZN12_GLOBAL__N_127rocblas_gemm_batched_kernelIfLi16ELi16ELi32ELi32ELi8ELi32ELi8ELi8ELi32ELc67ELc84EKPKfS3_KPfEEvlllT_PT11_llS8_llS6_PT12_llPT13_lli
	.p2align	8
	.type	_ZN12_GLOBAL__N_127rocblas_gemm_batched_kernelIfLi16ELi16ELi32ELi32ELi8ELi32ELi8ELi8ELi32ELc67ELc84EKPKfS3_KPfEEvlllT_PT11_llS8_llS6_PT12_llPT13_lli,@function
_ZN12_GLOBAL__N_127rocblas_gemm_batched_kernelIfLi16ELi16ELi32ELi32ELi8ELi32ELi8ELi8ELi32ELc67ELc84EKPKfS3_KPfEEvlllT_PT11_llS8_llS6_PT12_llPT13_lli: ; @_ZN12_GLOBAL__N_127rocblas_gemm_batched_kernelIfLi16ELi16ELi32ELi32ELi8ELi32ELi8ELi8ELi32ELc67ELc84EKPKfS3_KPfEEvlllT_PT11_llS8_llS6_PT12_llPT13_lli
; %bb.0:
	s_load_b32 s31, s[0:1], 0x88
	s_lshr_b32 s2, ttmp7, 16
	s_wait_kmcnt 0x0
	s_cmp_ge_i32 s2, s31
	s_cbranch_scc1 .LBB191_10
; %bb.1:
	v_dual_mov_b32 v1, 0 :: v_dual_and_b32 v8, 0x3ff, v0
	v_bfe_u32 v2, v0, 10, 10
	s_clause 0x5
	s_load_b96 s[28:30], s[0:1], 0x10
	s_load_b128 s[24:27], s[0:1], 0x40
	s_load_b32 s33, s[0:1], 0x50
	s_load_b128 s[20:23], s[0:1], 0x78
	s_load_b256 s[4:11], s[0:1], 0x20
	s_load_b256 s[12:19], s[0:1], 0x58
	s_lshl_b32 s0, ttmp7, 5
	s_mov_b32 s34, ttmp9
	v_lshl_add_u32 v3, v2, 4, v8
	s_and_b32 s36, s0, 0x1fffe0
	v_lshl_add_u32 v19, v2, 5, 0x400
	v_add_nc_u32_e32 v14, s36, v2
	s_ashr_i32 s35, ttmp9, 31
	v_and_b32_e32 v12, 31, v3
	v_lshrrev_b32_e32 v15, 5, v3
	s_lshl_b64 s[0:1], s[34:35], 5
	v_lshlrev_b32_e32 v18, 2, v8
	v_add_co_u32 v8, s35, s0, v8
	v_lshlrev_b32_e32 v4, 2, v12
	v_add_co_ci_u32_e64 v9, null, s1, 0, s35
	s_mov_b32 s3, 0
	s_wait_kmcnt 0x0
	s_cmp_eq_f32 s33, 0
	v_lshl_or_b32 v16, v15, 7, v4
	v_mad_co_u64_u32 v[4:5], null, v14, s20, 0
	v_and_b32_e32 v13, 7, v0
	v_lshrrev_b32_e32 v0, 3, v3
	v_mad_co_u64_u32 v[6:7], null, v14, s14, 0
	s_cselect_b32 s34, -1, 0
	v_lshlrev_b32_e32 v3, 2, v13
	s_delay_alu instid0(VALU_DEP_1) | instskip(NEXT) | instid1(VALU_DEP_1)
	v_lshl_or_b32 v3, v0, 5, v3
	v_add_nc_u32_e32 v17, 0x400, v3
	v_mad_co_u64_u32 v[2:3], null, s24, v13, v[0:1]
	v_mov_b32_e32 v0, v5
	v_or_b32_e32 v5, s0, v12
	s_mul_i32 s0, s6, s1
	s_delay_alu instid0(VALU_DEP_2) | instskip(SKIP_3) | instid1(VALU_DEP_3)
	v_mad_co_u64_u32 v[10:11], null, v14, s21, v[0:1]
	v_mov_b32_e32 v0, v7
	v_mad_co_u64_u32 v[11:12], null, s25, v13, v[3:4]
	v_add_co_u32 v2, vcc_lo, v2, s36
	v_mad_co_u64_u32 v[12:13], null, v14, s15, v[0:1]
	v_mul_lo_u32 v0, s7, v5
	v_mad_co_u64_u32 v[13:14], null, s6, v5, 0
	v_add_co_ci_u32_e64 v3, null, 0, v11, vcc_lo
	v_mov_b32_e32 v5, v10
	v_mov_b32_e32 v7, v12
	s_lshl_b64 s[20:21], s[20:21], 4
	s_delay_alu instid0(VALU_DEP_3)
	v_lshlrev_b64_e32 v[2:3], 2, v[2:3]
	s_wait_alu 0xfffe
	v_add3_u32 v14, v14, s0, v0
	s_lshl_b64 s[0:1], s[26:27], 2
	v_lshlrev_b64_e32 v[4:5], 2, v[4:5]
	s_lshl_b64 s[36:37], s[14:15], 4
	s_lshl_b64 s[6:7], s[24:25], 5
	v_lshlrev_b64_e32 v[10:11], 2, v[13:14]
	s_wait_alu 0xfffe
	v_add_co_u32 v0, vcc_lo, s0, v2
	s_wait_alu 0xfffd
	v_add_co_ci_u32_e64 v20, null, s1, v3, vcc_lo
	s_lshl_b64 s[0:1], s[8:9], 2
	v_lshlrev_b32_e32 v2, 2, v15
	s_wait_alu 0xfffe
	v_add_co_u32 v3, vcc_lo, v10, s0
	v_cmp_gt_i64_e64 s0, s[28:29], 0
	s_wait_alu 0xfffd
	v_add_co_ci_u32_e64 v10, null, s1, v11, vcc_lo
	s_delay_alu instid0(VALU_DEP_3)
	v_add_co_u32 v21, vcc_lo, v3, v2
	v_lshlrev_b64_e32 v[2:3], 2, v[6:7]
	s_wait_alu 0xf1ff
	v_cndmask_b32_e64 v11, 0, 1, s0
	v_lshlrev_b64_e32 v[6:7], 2, v[8:9]
	s_wait_alu 0xfffd
	v_add_co_ci_u32_e64 v22, null, 0, v10, vcc_lo
	s_lshl_b64 s[8:9], s[22:23], 2
	v_cmp_ne_u32_e64 s0, 1, v11
	s_lshl_b64 s[14:15], s[16:17], 2
	s_lshl_b64 s[16:17], s[36:37], 2
	s_lshl_b64 s[20:21], s[20:21], 2
	s_branch .LBB191_3
.LBB191_2:                              ;   in Loop: Header=BB191_3 Depth=1
	s_add_co_i32 s2, s2, 0x10000
	s_delay_alu instid0(SALU_CYCLE_1)
	s_cmp_lt_i32 s2, s31
	s_cbranch_scc0 .LBB191_10
.LBB191_3:                              ; =>This Loop Header: Depth=1
                                        ;     Child Loop BB191_5 Depth 2
	s_lshl_b64 s[22:23], s[2:3], 3
	v_dual_mov_b32 v26, 0 :: v_dual_mov_b32 v25, 0
	s_wait_alu 0xfffe
	s_add_nc_u64 s[24:25], s[12:13], s[22:23]
	s_add_nc_u64 s[26:27], s[18:19], s[22:23]
	s_clause 0x1
	global_load_b64 v[8:9], v1, s[24:25]
	global_load_b64 v[10:11], v1, s[26:27]
	v_dual_mov_b32 v24, 0 :: v_dual_mov_b32 v23, 0
	s_and_b32 vcc_lo, exec_lo, s0
	s_wait_alu 0xfffe
	s_cbranch_vccnz .LBB191_6
; %bb.4:                                ;   in Loop: Header=BB191_3 Depth=1
	s_add_nc_u64 s[24:25], s[10:11], s[22:23]
	s_add_nc_u64 s[22:23], s[4:5], s[22:23]
	s_clause 0x1
	global_load_b64 v[12:13], v1, s[24:25]
	global_load_b64 v[14:15], v1, s[22:23]
	v_dual_mov_b32 v23, 0 :: v_dual_mov_b32 v24, 0
	v_dual_mov_b32 v25, 0 :: v_dual_mov_b32 v26, 0
	s_mov_b64 s[22:23], 0
	s_wait_loadcnt 0x1
	v_add_co_u32 v12, vcc_lo, v12, v0
	s_wait_alu 0xfffd
	v_add_co_ci_u32_e64 v13, null, v13, v20, vcc_lo
	s_wait_loadcnt 0x0
	v_add_co_u32 v14, vcc_lo, v14, v21
	s_wait_alu 0xfffd
	v_add_co_ci_u32_e64 v15, null, v15, v22, vcc_lo
.LBB191_5:                              ;   Parent Loop BB191_3 Depth=1
                                        ; =>  This Inner Loop Header: Depth=2
	flat_load_b32 v27, v[14:15]
	s_wait_alu 0xfffe
	s_add_nc_u64 s[22:23], s[22:23], 8
	v_add_co_u32 v14, vcc_lo, v14, 32
	s_wait_alu 0xfffe
	v_cmp_lt_i64_e64 s1, s[22:23], s[28:29]
	s_wait_alu 0xfffd
	v_add_co_ci_u32_e64 v15, null, 0, v15, vcc_lo
	s_and_b32 vcc_lo, exec_lo, s1
	s_wait_loadcnt_dscnt 0x0
	ds_store_b32 v16, v27
	flat_load_b32 v27, v[12:13]
	v_add_co_u32 v12, s1, v12, s6
	s_wait_alu 0xf1ff
	v_add_co_ci_u32_e64 v13, null, s7, v13, s1
	s_wait_loadcnt_dscnt 0x0
	ds_store_b32 v17, v27
	s_wait_dscnt 0x0
	s_barrier_signal -1
	s_barrier_wait -1
	global_inv scope:SCOPE_SE
	ds_load_b128 v[27:30], v19
	ds_load_2addr_b32 v[43:44], v18 offset1:16
	ds_load_b128 v[31:34], v19 offset:512
	ds_load_2addr_b32 v[45:46], v18 offset0:32 offset1:48
	ds_load_2addr_b32 v[47:48], v18 offset0:64 offset1:80
	ds_load_b128 v[35:38], v19 offset:16
	ds_load_2addr_b32 v[49:50], v18 offset0:96 offset1:112
	ds_load_2addr_b32 v[51:52], v18 offset0:128 offset1:144
	ds_load_b128 v[39:42], v19 offset:528
	ds_load_2addr_b32 v[53:54], v18 offset0:160 offset1:176
	ds_load_2addr_b32 v[55:56], v18 offset0:192 offset1:208
	ds_load_2addr_b32 v[57:58], v18 offset0:224 offset1:240
	s_wait_loadcnt_dscnt 0x0
	s_barrier_signal -1
	s_barrier_wait -1
	global_inv scope:SCOPE_SE
	v_fmac_f32_e32 v25, v44, v27
	v_fmac_f32_e32 v26, v43, v27
	;; [unrolled: 1-line block ×3, first 2 shown]
	s_delay_alu instid0(VALU_DEP_3) | instskip(NEXT) | instid1(VALU_DEP_3)
	v_dual_fmac_f32 v24, v43, v31 :: v_dual_fmac_f32 v25, v46, v28
	v_fmac_f32_e32 v26, v45, v28
	s_delay_alu instid0(VALU_DEP_3) | instskip(NEXT) | instid1(VALU_DEP_3)
	v_fmac_f32_e32 v23, v46, v32
	v_dual_fmac_f32 v24, v45, v32 :: v_dual_fmac_f32 v25, v48, v29
	s_delay_alu instid0(VALU_DEP_3) | instskip(NEXT) | instid1(VALU_DEP_3)
	v_fmac_f32_e32 v26, v47, v29
	v_fmac_f32_e32 v23, v48, v33
	s_delay_alu instid0(VALU_DEP_3) | instskip(NEXT) | instid1(VALU_DEP_3)
	v_dual_fmac_f32 v24, v47, v33 :: v_dual_fmac_f32 v25, v50, v30
	v_fmac_f32_e32 v26, v49, v30
	s_delay_alu instid0(VALU_DEP_3) | instskip(NEXT) | instid1(VALU_DEP_3)
	v_fmac_f32_e32 v23, v50, v34
	v_dual_fmac_f32 v24, v49, v34 :: v_dual_fmac_f32 v25, v52, v35
	s_delay_alu instid0(VALU_DEP_3) | instskip(NEXT) | instid1(VALU_DEP_3)
	v_fmac_f32_e32 v26, v51, v35
	v_fmac_f32_e32 v23, v52, v39
	s_delay_alu instid0(VALU_DEP_3) | instskip(NEXT) | instid1(VALU_DEP_3)
	v_dual_fmac_f32 v24, v51, v39 :: v_dual_fmac_f32 v25, v54, v36
	v_fmac_f32_e32 v26, v53, v36
	s_delay_alu instid0(VALU_DEP_3) | instskip(NEXT) | instid1(VALU_DEP_3)
	v_fmac_f32_e32 v23, v54, v40
	v_dual_fmac_f32 v24, v53, v40 :: v_dual_fmac_f32 v25, v56, v37
	s_delay_alu instid0(VALU_DEP_3) | instskip(NEXT) | instid1(VALU_DEP_3)
	v_fmac_f32_e32 v26, v55, v37
	v_fmac_f32_e32 v23, v56, v41
	s_delay_alu instid0(VALU_DEP_3) | instskip(NEXT) | instid1(VALU_DEP_3)
	v_dual_fmac_f32 v24, v55, v41 :: v_dual_fmac_f32 v25, v58, v38
	v_fmac_f32_e32 v26, v57, v38
	s_delay_alu instid0(VALU_DEP_3) | instskip(NEXT) | instid1(VALU_DEP_3)
	v_fmac_f32_e32 v23, v58, v42
	v_fmac_f32_e32 v24, v57, v42
	s_wait_alu 0xfffe
	s_cbranch_vccnz .LBB191_5
.LBB191_6:                              ;   in Loop: Header=BB191_3 Depth=1
	s_wait_loadcnt 0x0
	v_add_co_u32 v10, vcc_lo, v10, s8
	s_wait_alu 0xfffd
	v_add_co_ci_u32_e64 v11, null, s9, v11, vcc_lo
	s_and_not1_b32 vcc_lo, exec_lo, s34
	s_wait_alu 0xfffe
	s_cbranch_vccnz .LBB191_8
; %bb.7:                                ;   in Loop: Header=BB191_3 Depth=1
	v_add_co_u32 v14, vcc_lo, v10, v4
	s_wait_alu 0xfffd
	v_add_co_ci_u32_e64 v15, null, v11, v5, vcc_lo
	v_dual_mul_f32 v27, s30, v26 :: v_dual_mul_f32 v28, s30, v25
	s_delay_alu instid0(VALU_DEP_3) | instskip(SKIP_1) | instid1(VALU_DEP_3)
	v_add_co_u32 v12, vcc_lo, v14, v6
	s_wait_alu 0xfffd
	v_add_co_ci_u32_e64 v13, null, v15, v7, vcc_lo
	v_add_co_u32 v14, vcc_lo, v14, s20
	s_wait_alu 0xfffd
	v_add_co_ci_u32_e64 v15, null, s21, v15, vcc_lo
	v_dual_mul_f32 v29, s30, v24 :: v_dual_mul_f32 v30, s30, v23
	s_delay_alu instid0(VALU_DEP_3) | instskip(SKIP_1) | instid1(VALU_DEP_3)
	v_add_co_u32 v14, vcc_lo, v14, v6
	s_wait_alu 0xfffd
	v_add_co_ci_u32_e64 v15, null, v15, v7, vcc_lo
	s_clause 0x3
	flat_store_b32 v[12:13], v27
	flat_store_b32 v[12:13], v28 offset:64
	flat_store_b32 v[14:15], v29
	flat_store_b32 v[14:15], v30 offset:64
	s_cbranch_execnz .LBB191_2
	s_branch .LBB191_9
.LBB191_8:                              ;   in Loop: Header=BB191_3 Depth=1
.LBB191_9:                              ;   in Loop: Header=BB191_3 Depth=1
	v_add_co_u32 v8, vcc_lo, v8, s14
	s_wait_alu 0xfffd
	v_add_co_ci_u32_e64 v9, null, s15, v9, vcc_lo
	s_delay_alu instid0(VALU_DEP_2) | instskip(SKIP_1) | instid1(VALU_DEP_2)
	v_add_co_u32 v12, vcc_lo, v8, v2
	s_wait_alu 0xfffd
	v_add_co_ci_u32_e64 v13, null, v9, v3, vcc_lo
	s_delay_alu instid0(VALU_DEP_2) | instskip(SKIP_1) | instid1(VALU_DEP_2)
	v_add_co_u32 v8, vcc_lo, v12, v6
	s_wait_alu 0xfffd
	v_add_co_ci_u32_e64 v9, null, v13, v7, vcc_lo
	v_add_co_u32 v15, vcc_lo, v10, v4
	s_wait_alu 0xfffd
	v_add_co_ci_u32_e64 v27, null, v11, v5, vcc_lo
	flat_load_b32 v14, v[8:9]
	v_add_co_u32 v10, vcc_lo, v15, v6
	s_wait_alu 0xfffd
	v_add_co_ci_u32_e64 v11, null, v27, v7, vcc_lo
	s_wait_loadcnt_dscnt 0x0
	v_mul_f32_e32 v14, s33, v14
	s_delay_alu instid0(VALU_DEP_1)
	v_fmac_f32_e32 v14, s30, v26
	flat_store_b32 v[10:11], v14
	flat_load_b32 v8, v[8:9] offset:64
	s_wait_loadcnt_dscnt 0x0
	v_mul_f32_e32 v14, s33, v8
	v_add_co_u32 v8, vcc_lo, v12, s16
	s_wait_alu 0xfffd
	v_add_co_ci_u32_e64 v9, null, s17, v13, vcc_lo
	s_delay_alu instid0(VALU_DEP_3) | instskip(NEXT) | instid1(VALU_DEP_3)
	v_fmac_f32_e32 v14, s30, v25
	v_add_co_u32 v8, vcc_lo, v8, v6
	s_wait_alu 0xfffd
	s_delay_alu instid0(VALU_DEP_3)
	v_add_co_ci_u32_e64 v9, null, v9, v7, vcc_lo
	flat_store_b32 v[10:11], v14 offset:64
	flat_load_b32 v10, v[8:9]
	s_wait_loadcnt_dscnt 0x0
	v_mul_f32_e32 v12, s33, v10
	v_add_co_u32 v10, vcc_lo, v15, s20
	s_wait_alu 0xfffd
	v_add_co_ci_u32_e64 v11, null, s21, v27, vcc_lo
	s_delay_alu instid0(VALU_DEP_3) | instskip(NEXT) | instid1(VALU_DEP_3)
	v_fmac_f32_e32 v12, s30, v24
	v_add_co_u32 v10, vcc_lo, v10, v6
	s_wait_alu 0xfffd
	s_delay_alu instid0(VALU_DEP_3) | instskip(SKIP_4) | instid1(VALU_DEP_1)
	v_add_co_ci_u32_e64 v11, null, v11, v7, vcc_lo
	flat_store_b32 v[10:11], v12
	flat_load_b32 v8, v[8:9] offset:64
	s_wait_loadcnt_dscnt 0x0
	v_mul_f32_e32 v8, s33, v8
	v_fmac_f32_e32 v8, s30, v23
	flat_store_b32 v[10:11], v8 offset:64
	s_branch .LBB191_2
.LBB191_10:
	s_endpgm
	.section	.rodata,"a",@progbits
	.p2align	6, 0x0
	.amdhsa_kernel _ZN12_GLOBAL__N_127rocblas_gemm_batched_kernelIfLi16ELi16ELi32ELi32ELi8ELi32ELi8ELi8ELi32ELc67ELc84EKPKfS3_KPfEEvlllT_PT11_llS8_llS6_PT12_llPT13_lli
		.amdhsa_group_segment_fixed_size 2048
		.amdhsa_private_segment_fixed_size 0
		.amdhsa_kernarg_size 140
		.amdhsa_user_sgpr_count 2
		.amdhsa_user_sgpr_dispatch_ptr 0
		.amdhsa_user_sgpr_queue_ptr 0
		.amdhsa_user_sgpr_kernarg_segment_ptr 1
		.amdhsa_user_sgpr_dispatch_id 0
		.amdhsa_user_sgpr_private_segment_size 0
		.amdhsa_wavefront_size32 1
		.amdhsa_uses_dynamic_stack 0
		.amdhsa_enable_private_segment 0
		.amdhsa_system_sgpr_workgroup_id_x 1
		.amdhsa_system_sgpr_workgroup_id_y 1
		.amdhsa_system_sgpr_workgroup_id_z 1
		.amdhsa_system_sgpr_workgroup_info 0
		.amdhsa_system_vgpr_workitem_id 1
		.amdhsa_next_free_vgpr 59
		.amdhsa_next_free_sgpr 38
		.amdhsa_reserve_vcc 1
		.amdhsa_float_round_mode_32 0
		.amdhsa_float_round_mode_16_64 0
		.amdhsa_float_denorm_mode_32 3
		.amdhsa_float_denorm_mode_16_64 3
		.amdhsa_fp16_overflow 0
		.amdhsa_workgroup_processor_mode 1
		.amdhsa_memory_ordered 1
		.amdhsa_forward_progress 1
		.amdhsa_inst_pref_size 14
		.amdhsa_round_robin_scheduling 0
		.amdhsa_exception_fp_ieee_invalid_op 0
		.amdhsa_exception_fp_denorm_src 0
		.amdhsa_exception_fp_ieee_div_zero 0
		.amdhsa_exception_fp_ieee_overflow 0
		.amdhsa_exception_fp_ieee_underflow 0
		.amdhsa_exception_fp_ieee_inexact 0
		.amdhsa_exception_int_div_zero 0
	.end_amdhsa_kernel
	.section	.text._ZN12_GLOBAL__N_127rocblas_gemm_batched_kernelIfLi16ELi16ELi32ELi32ELi8ELi32ELi8ELi8ELi32ELc67ELc84EKPKfS3_KPfEEvlllT_PT11_llS8_llS6_PT12_llPT13_lli,"axG",@progbits,_ZN12_GLOBAL__N_127rocblas_gemm_batched_kernelIfLi16ELi16ELi32ELi32ELi8ELi32ELi8ELi8ELi32ELc67ELc84EKPKfS3_KPfEEvlllT_PT11_llS8_llS6_PT12_llPT13_lli,comdat
.Lfunc_end191:
	.size	_ZN12_GLOBAL__N_127rocblas_gemm_batched_kernelIfLi16ELi16ELi32ELi32ELi8ELi32ELi8ELi8ELi32ELc67ELc84EKPKfS3_KPfEEvlllT_PT11_llS8_llS6_PT12_llPT13_lli, .Lfunc_end191-_ZN12_GLOBAL__N_127rocblas_gemm_batched_kernelIfLi16ELi16ELi32ELi32ELi8ELi32ELi8ELi8ELi32ELc67ELc84EKPKfS3_KPfEEvlllT_PT11_llS8_llS6_PT12_llPT13_lli
                                        ; -- End function
	.set _ZN12_GLOBAL__N_127rocblas_gemm_batched_kernelIfLi16ELi16ELi32ELi32ELi8ELi32ELi8ELi8ELi32ELc67ELc84EKPKfS3_KPfEEvlllT_PT11_llS8_llS6_PT12_llPT13_lli.num_vgpr, 59
	.set _ZN12_GLOBAL__N_127rocblas_gemm_batched_kernelIfLi16ELi16ELi32ELi32ELi8ELi32ELi8ELi8ELi32ELc67ELc84EKPKfS3_KPfEEvlllT_PT11_llS8_llS6_PT12_llPT13_lli.num_agpr, 0
	.set _ZN12_GLOBAL__N_127rocblas_gemm_batched_kernelIfLi16ELi16ELi32ELi32ELi8ELi32ELi8ELi8ELi32ELc67ELc84EKPKfS3_KPfEEvlllT_PT11_llS8_llS6_PT12_llPT13_lli.numbered_sgpr, 38
	.set _ZN12_GLOBAL__N_127rocblas_gemm_batched_kernelIfLi16ELi16ELi32ELi32ELi8ELi32ELi8ELi8ELi32ELc67ELc84EKPKfS3_KPfEEvlllT_PT11_llS8_llS6_PT12_llPT13_lli.num_named_barrier, 0
	.set _ZN12_GLOBAL__N_127rocblas_gemm_batched_kernelIfLi16ELi16ELi32ELi32ELi8ELi32ELi8ELi8ELi32ELc67ELc84EKPKfS3_KPfEEvlllT_PT11_llS8_llS6_PT12_llPT13_lli.private_seg_size, 0
	.set _ZN12_GLOBAL__N_127rocblas_gemm_batched_kernelIfLi16ELi16ELi32ELi32ELi8ELi32ELi8ELi8ELi32ELc67ELc84EKPKfS3_KPfEEvlllT_PT11_llS8_llS6_PT12_llPT13_lli.uses_vcc, 1
	.set _ZN12_GLOBAL__N_127rocblas_gemm_batched_kernelIfLi16ELi16ELi32ELi32ELi8ELi32ELi8ELi8ELi32ELc67ELc84EKPKfS3_KPfEEvlllT_PT11_llS8_llS6_PT12_llPT13_lli.uses_flat_scratch, 1
	.set _ZN12_GLOBAL__N_127rocblas_gemm_batched_kernelIfLi16ELi16ELi32ELi32ELi8ELi32ELi8ELi8ELi32ELc67ELc84EKPKfS3_KPfEEvlllT_PT11_llS8_llS6_PT12_llPT13_lli.has_dyn_sized_stack, 0
	.set _ZN12_GLOBAL__N_127rocblas_gemm_batched_kernelIfLi16ELi16ELi32ELi32ELi8ELi32ELi8ELi8ELi32ELc67ELc84EKPKfS3_KPfEEvlllT_PT11_llS8_llS6_PT12_llPT13_lli.has_recursion, 0
	.set _ZN12_GLOBAL__N_127rocblas_gemm_batched_kernelIfLi16ELi16ELi32ELi32ELi8ELi32ELi8ELi8ELi32ELc67ELc84EKPKfS3_KPfEEvlllT_PT11_llS8_llS6_PT12_llPT13_lli.has_indirect_call, 0
	.section	.AMDGPU.csdata,"",@progbits
; Kernel info:
; codeLenInByte = 1712
; TotalNumSgprs: 40
; NumVgprs: 59
; ScratchSize: 0
; MemoryBound: 0
; FloatMode: 240
; IeeeMode: 1
; LDSByteSize: 2048 bytes/workgroup (compile time only)
; SGPRBlocks: 0
; VGPRBlocks: 7
; NumSGPRsForWavesPerEU: 40
; NumVGPRsForWavesPerEU: 59
; Occupancy: 16
; WaveLimiterHint : 1
; COMPUTE_PGM_RSRC2:SCRATCH_EN: 0
; COMPUTE_PGM_RSRC2:USER_SGPR: 2
; COMPUTE_PGM_RSRC2:TRAP_HANDLER: 0
; COMPUTE_PGM_RSRC2:TGID_X_EN: 1
; COMPUTE_PGM_RSRC2:TGID_Y_EN: 1
; COMPUTE_PGM_RSRC2:TGID_Z_EN: 1
; COMPUTE_PGM_RSRC2:TIDIG_COMP_CNT: 1
	.section	.text._ZN12_GLOBAL__N_127rocblas_gemm_batched_kernelIfLi16ELi16ELi32ELi32ELi8ELi32ELi8ELi8ELi32ELc78ELc67EKPKfS3_KPfEEvlllT_PT11_llS8_llS6_PT12_llPT13_lli,"axG",@progbits,_ZN12_GLOBAL__N_127rocblas_gemm_batched_kernelIfLi16ELi16ELi32ELi32ELi8ELi32ELi8ELi8ELi32ELc78ELc67EKPKfS3_KPfEEvlllT_PT11_llS8_llS6_PT12_llPT13_lli,comdat
	.globl	_ZN12_GLOBAL__N_127rocblas_gemm_batched_kernelIfLi16ELi16ELi32ELi32ELi8ELi32ELi8ELi8ELi32ELc78ELc67EKPKfS3_KPfEEvlllT_PT11_llS8_llS6_PT12_llPT13_lli ; -- Begin function _ZN12_GLOBAL__N_127rocblas_gemm_batched_kernelIfLi16ELi16ELi32ELi32ELi8ELi32ELi8ELi8ELi32ELc78ELc67EKPKfS3_KPfEEvlllT_PT11_llS8_llS6_PT12_llPT13_lli
	.p2align	8
	.type	_ZN12_GLOBAL__N_127rocblas_gemm_batched_kernelIfLi16ELi16ELi32ELi32ELi8ELi32ELi8ELi8ELi32ELc78ELc67EKPKfS3_KPfEEvlllT_PT11_llS8_llS6_PT12_llPT13_lli,@function
_ZN12_GLOBAL__N_127rocblas_gemm_batched_kernelIfLi16ELi16ELi32ELi32ELi8ELi32ELi8ELi8ELi32ELc78ELc67EKPKfS3_KPfEEvlllT_PT11_llS8_llS6_PT12_llPT13_lli: ; @_ZN12_GLOBAL__N_127rocblas_gemm_batched_kernelIfLi16ELi16ELi32ELi32ELi8ELi32ELi8ELi8ELi32ELc78ELc67EKPKfS3_KPfEEvlllT_PT11_llS8_llS6_PT12_llPT13_lli
; %bb.0:
	s_load_b32 s31, s[0:1], 0x88
	s_lshr_b32 s2, ttmp7, 16
	s_wait_kmcnt 0x0
	s_cmp_ge_i32 s2, s31
	s_cbranch_scc1 .LBB192_10
; %bb.1:
	s_clause 0x2
	s_load_b128 s[20:23], s[0:1], 0x78
	s_load_b96 s[28:30], s[0:1], 0x10
	s_load_b256 s[4:11], s[0:1], 0x20
	v_bfe_u32 v2, v0, 10, 10
	s_clause 0x2
	s_load_b128 s[24:27], s[0:1], 0x40
	s_load_b32 s33, s[0:1], 0x50
	s_load_b256 s[12:19], s[0:1], 0x58
	s_lshl_b32 s0, ttmp7, 5
	v_and_b32_e32 v10, 0x3ff, v0
	s_and_b32 s38, s0, 0x1fffe0
	v_and_b32_e32 v14, 7, v0
	v_add_nc_u32_e32 v22, s38, v2
	v_lshl_add_u32 v19, v2, 5, 0x400
	v_lshl_add_u32 v1, v2, 4, v10
	s_mov_b32 s34, ttmp9
	s_ashr_i32 s35, ttmp9, 31
	s_mov_b32 s3, 0
	s_lshl_b64 s[0:1], s[34:35], 5
	v_lshrrev_b32_e32 v0, 3, v1
	v_lshrrev_b32_e32 v21, 5, v1
	s_wait_kmcnt 0x0
	v_mad_co_u64_u32 v[4:5], null, v22, s20, 0
	v_lshlrev_b32_e32 v3, 2, v14
	s_delay_alu instid0(VALU_DEP_3)
	v_mad_co_u64_u32 v[12:13], null, s6, v21, s[0:1]
	v_mad_co_u64_u32 v[8:9], null, v22, s14, 0
	s_cmp_eq_f32 s33, 0
	v_mov_b32_e32 v2, v5
	v_lshl_or_b32 v3, v0, 5, v3
	s_cselect_b32 s34, -1, 0
	s_lshl_b64 s[36:37], s[20:21], 4
	s_lshl_b64 s[16:17], s[16:17], 2
	s_delay_alu instid0(VALU_DEP_1)
	v_add_nc_u32_e32 v17, 0x400, v3
	v_mad_co_u64_u32 v[2:3], null, v22, s21, v[2:3]
	s_lshl_b64 s[20:21], s[14:15], 4
	s_wait_alu 0xfffe
	s_lshl_b64 s[20:21], s[20:21], 2
	v_dual_mov_b32 v5, v2 :: v_dual_mov_b32 v2, v9
	s_delay_alu instid0(VALU_DEP_1) | instskip(NEXT) | instid1(VALU_DEP_2)
	v_lshlrev_b64_e32 v[4:5], 2, v[4:5]
	v_mad_co_u64_u32 v[2:3], null, v22, s15, v[2:3]
	v_dual_mov_b32 v1, 0 :: v_dual_and_b32 v20, 31, v1
	v_lshlrev_b32_e32 v18, 2, v10
	v_add_co_u32 v10, s35, s0, v10
	s_delay_alu instid0(VALU_DEP_1) | instskip(NEXT) | instid1(VALU_DEP_4)
	v_add_co_ci_u32_e64 v11, null, s1, 0, s35
	v_dual_mov_b32 v9, v2 :: v_dual_lshlrev_b32 v6, 2, v20
	s_lshl_b64 s[0:1], s[26:27], 2
	s_lshl_b64 s[14:15], s[24:25], 5
	s_delay_alu instid0(VALU_DEP_1) | instskip(SKIP_1) | instid1(VALU_DEP_1)
	v_lshl_or_b32 v16, v21, 7, v6
	v_mad_co_u64_u32 v[6:7], null, s24, v14, v[0:1]
	v_mov_b32_e32 v0, v7
	s_delay_alu instid0(VALU_DEP_2) | instskip(NEXT) | instid1(VALU_DEP_2)
	v_add_co_u32 v6, vcc_lo, v6, s38
	v_mad_co_u64_u32 v[14:15], null, s25, v14, v[0:1]
	v_mov_b32_e32 v0, v13
	s_delay_alu instid0(VALU_DEP_2) | instskip(NEXT) | instid1(VALU_DEP_2)
	v_add_co_ci_u32_e64 v7, null, 0, v14, vcc_lo
	v_mad_co_u64_u32 v[13:14], null, s7, v21, v[0:1]
	s_lshl_b64 s[6:7], s[6:7], 5
	v_lshlrev_b64_e32 v[2:3], 2, v[6:7]
	v_add_co_u32 v6, vcc_lo, v12, v20
	s_wait_alu 0xfffd
	v_add_co_ci_u32_e64 v7, null, 0, v13, vcc_lo
	s_wait_alu 0xfffe
	s_delay_alu instid0(VALU_DEP_3)
	v_add_co_u32 v0, vcc_lo, s0, v2
	s_wait_alu 0xfffd
	v_add_co_ci_u32_e64 v20, null, s1, v3, vcc_lo
	s_lshl_b64 s[0:1], s[8:9], 2
	v_cmp_gt_i64_e64 s8, s[28:29], 0
	v_lshlrev_b64_e32 v[2:3], 2, v[6:7]
	s_delay_alu instid0(VALU_DEP_2) | instskip(SKIP_1) | instid1(VALU_DEP_2)
	v_cndmask_b32_e64 v6, 0, 1, s8
	s_wait_alu 0xfffe
	v_add_co_u32 v21, vcc_lo, s0, v2
	s_wait_alu 0xfffd
	s_delay_alu instid0(VALU_DEP_3)
	v_add_co_ci_u32_e64 v22, null, s1, v3, vcc_lo
	v_cmp_ne_u32_e64 s0, 1, v6
	v_lshlrev_b64_e32 v[2:3], 2, v[8:9]
	v_lshlrev_b64_e32 v[6:7], 2, v[10:11]
	s_lshl_b64 s[8:9], s[22:23], 2
	s_lshl_b64 s[22:23], s[36:37], 2
	s_branch .LBB192_3
.LBB192_2:                              ;   in Loop: Header=BB192_3 Depth=1
	s_add_co_i32 s2, s2, 0x10000
	s_delay_alu instid0(SALU_CYCLE_1)
	s_cmp_lt_i32 s2, s31
	s_cbranch_scc0 .LBB192_10
.LBB192_3:                              ; =>This Loop Header: Depth=1
                                        ;     Child Loop BB192_5 Depth 2
	s_lshl_b64 s[24:25], s[2:3], 3
	v_dual_mov_b32 v26, 0 :: v_dual_mov_b32 v25, 0
	s_wait_alu 0xfffe
	s_add_nc_u64 s[26:27], s[12:13], s[24:25]
	s_add_nc_u64 s[36:37], s[18:19], s[24:25]
	s_clause 0x1
	global_load_b64 v[8:9], v1, s[26:27]
	global_load_b64 v[10:11], v1, s[36:37]
	v_dual_mov_b32 v24, 0 :: v_dual_mov_b32 v23, 0
	s_and_b32 vcc_lo, exec_lo, s0
	s_wait_alu 0xfffe
	s_cbranch_vccnz .LBB192_6
; %bb.4:                                ;   in Loop: Header=BB192_3 Depth=1
	s_add_nc_u64 s[26:27], s[10:11], s[24:25]
	s_add_nc_u64 s[24:25], s[4:5], s[24:25]
	s_clause 0x1
	global_load_b64 v[12:13], v1, s[26:27]
	global_load_b64 v[14:15], v1, s[24:25]
	v_dual_mov_b32 v23, 0 :: v_dual_mov_b32 v24, 0
	v_dual_mov_b32 v25, 0 :: v_dual_mov_b32 v26, 0
	s_mov_b64 s[24:25], 0
	s_wait_loadcnt 0x1
	v_add_co_u32 v12, vcc_lo, v12, v0
	s_wait_alu 0xfffd
	v_add_co_ci_u32_e64 v13, null, v13, v20, vcc_lo
	s_wait_loadcnt 0x0
	v_add_co_u32 v14, vcc_lo, v14, v21
	s_wait_alu 0xfffd
	v_add_co_ci_u32_e64 v15, null, v15, v22, vcc_lo
.LBB192_5:                              ;   Parent Loop BB192_3 Depth=1
                                        ; =>  This Inner Loop Header: Depth=2
	flat_load_b32 v27, v[14:15]
	s_wait_alu 0xfffe
	s_add_nc_u64 s[24:25], s[24:25], 8
	v_add_co_u32 v14, vcc_lo, v14, s6
	s_wait_alu 0xfffe
	v_cmp_lt_i64_e64 s1, s[24:25], s[28:29]
	s_wait_alu 0xfffd
	v_add_co_ci_u32_e64 v15, null, s7, v15, vcc_lo
	s_and_b32 vcc_lo, exec_lo, s1
	s_wait_loadcnt_dscnt 0x0
	ds_store_b32 v16, v27
	flat_load_b32 v27, v[12:13]
	v_add_co_u32 v12, s1, v12, s14
	s_wait_alu 0xf1ff
	v_add_co_ci_u32_e64 v13, null, s15, v13, s1
	s_wait_loadcnt_dscnt 0x0
	ds_store_b32 v17, v27
	s_wait_dscnt 0x0
	s_barrier_signal -1
	s_barrier_wait -1
	global_inv scope:SCOPE_SE
	ds_load_b128 v[27:30], v19
	ds_load_2addr_b32 v[43:44], v18 offset1:16
	ds_load_b128 v[31:34], v19 offset:512
	ds_load_2addr_b32 v[45:46], v18 offset0:32 offset1:48
	ds_load_2addr_b32 v[47:48], v18 offset0:64 offset1:80
	ds_load_b128 v[35:38], v19 offset:16
	ds_load_2addr_b32 v[49:50], v18 offset0:96 offset1:112
	ds_load_2addr_b32 v[51:52], v18 offset0:128 offset1:144
	;; [unrolled: 3-line block ×3, first 2 shown]
	ds_load_2addr_b32 v[57:58], v18 offset0:224 offset1:240
	s_wait_loadcnt_dscnt 0x0
	s_barrier_signal -1
	s_barrier_wait -1
	global_inv scope:SCOPE_SE
	v_fmac_f32_e32 v25, v44, v27
	v_fmac_f32_e32 v26, v43, v27
	;; [unrolled: 1-line block ×3, first 2 shown]
	s_delay_alu instid0(VALU_DEP_3) | instskip(NEXT) | instid1(VALU_DEP_3)
	v_dual_fmac_f32 v24, v43, v31 :: v_dual_fmac_f32 v25, v46, v28
	v_fmac_f32_e32 v26, v45, v28
	s_delay_alu instid0(VALU_DEP_3) | instskip(NEXT) | instid1(VALU_DEP_3)
	v_fmac_f32_e32 v23, v46, v32
	v_dual_fmac_f32 v24, v45, v32 :: v_dual_fmac_f32 v25, v48, v29
	s_delay_alu instid0(VALU_DEP_3) | instskip(NEXT) | instid1(VALU_DEP_3)
	v_fmac_f32_e32 v26, v47, v29
	v_fmac_f32_e32 v23, v48, v33
	s_delay_alu instid0(VALU_DEP_3) | instskip(NEXT) | instid1(VALU_DEP_3)
	v_dual_fmac_f32 v24, v47, v33 :: v_dual_fmac_f32 v25, v50, v30
	v_fmac_f32_e32 v26, v49, v30
	s_delay_alu instid0(VALU_DEP_3) | instskip(NEXT) | instid1(VALU_DEP_3)
	v_fmac_f32_e32 v23, v50, v34
	v_dual_fmac_f32 v24, v49, v34 :: v_dual_fmac_f32 v25, v52, v35
	s_delay_alu instid0(VALU_DEP_3) | instskip(NEXT) | instid1(VALU_DEP_3)
	v_fmac_f32_e32 v26, v51, v35
	v_fmac_f32_e32 v23, v52, v39
	;; [unrolled: 9-line block ×3, first 2 shown]
	s_delay_alu instid0(VALU_DEP_3) | instskip(NEXT) | instid1(VALU_DEP_3)
	v_dual_fmac_f32 v24, v55, v41 :: v_dual_fmac_f32 v25, v58, v38
	v_fmac_f32_e32 v26, v57, v38
	s_delay_alu instid0(VALU_DEP_3) | instskip(NEXT) | instid1(VALU_DEP_3)
	v_fmac_f32_e32 v23, v58, v42
	v_fmac_f32_e32 v24, v57, v42
	s_wait_alu 0xfffe
	s_cbranch_vccnz .LBB192_5
.LBB192_6:                              ;   in Loop: Header=BB192_3 Depth=1
	s_wait_loadcnt 0x0
	v_add_co_u32 v10, vcc_lo, v10, s8
	s_wait_alu 0xfffd
	v_add_co_ci_u32_e64 v11, null, s9, v11, vcc_lo
	s_and_not1_b32 vcc_lo, exec_lo, s34
	s_wait_alu 0xfffe
	s_cbranch_vccnz .LBB192_8
; %bb.7:                                ;   in Loop: Header=BB192_3 Depth=1
	v_add_co_u32 v14, vcc_lo, v10, v4
	s_wait_alu 0xfffd
	v_add_co_ci_u32_e64 v15, null, v11, v5, vcc_lo
	v_dual_mul_f32 v27, s30, v26 :: v_dual_mul_f32 v28, s30, v25
	s_delay_alu instid0(VALU_DEP_3) | instskip(SKIP_1) | instid1(VALU_DEP_3)
	v_add_co_u32 v12, vcc_lo, v14, v6
	s_wait_alu 0xfffd
	v_add_co_ci_u32_e64 v13, null, v15, v7, vcc_lo
	v_add_co_u32 v14, vcc_lo, v14, s22
	s_wait_alu 0xfffd
	v_add_co_ci_u32_e64 v15, null, s23, v15, vcc_lo
	v_dual_mul_f32 v29, s30, v24 :: v_dual_mul_f32 v30, s30, v23
	s_delay_alu instid0(VALU_DEP_3) | instskip(SKIP_1) | instid1(VALU_DEP_3)
	v_add_co_u32 v14, vcc_lo, v14, v6
	s_wait_alu 0xfffd
	v_add_co_ci_u32_e64 v15, null, v15, v7, vcc_lo
	s_clause 0x3
	flat_store_b32 v[12:13], v27
	flat_store_b32 v[12:13], v28 offset:64
	flat_store_b32 v[14:15], v29
	flat_store_b32 v[14:15], v30 offset:64
	s_cbranch_execnz .LBB192_2
	s_branch .LBB192_9
.LBB192_8:                              ;   in Loop: Header=BB192_3 Depth=1
.LBB192_9:                              ;   in Loop: Header=BB192_3 Depth=1
	v_add_co_u32 v8, vcc_lo, v8, s16
	s_wait_alu 0xfffd
	v_add_co_ci_u32_e64 v9, null, s17, v9, vcc_lo
	s_delay_alu instid0(VALU_DEP_2) | instskip(SKIP_1) | instid1(VALU_DEP_2)
	v_add_co_u32 v12, vcc_lo, v8, v2
	s_wait_alu 0xfffd
	v_add_co_ci_u32_e64 v13, null, v9, v3, vcc_lo
	s_delay_alu instid0(VALU_DEP_2) | instskip(SKIP_1) | instid1(VALU_DEP_2)
	v_add_co_u32 v8, vcc_lo, v12, v6
	s_wait_alu 0xfffd
	v_add_co_ci_u32_e64 v9, null, v13, v7, vcc_lo
	v_add_co_u32 v15, vcc_lo, v10, v4
	s_wait_alu 0xfffd
	v_add_co_ci_u32_e64 v27, null, v11, v5, vcc_lo
	flat_load_b32 v14, v[8:9]
	v_add_co_u32 v10, vcc_lo, v15, v6
	s_wait_alu 0xfffd
	v_add_co_ci_u32_e64 v11, null, v27, v7, vcc_lo
	s_wait_loadcnt_dscnt 0x0
	v_mul_f32_e32 v14, s33, v14
	s_delay_alu instid0(VALU_DEP_1)
	v_fmac_f32_e32 v14, s30, v26
	flat_store_b32 v[10:11], v14
	flat_load_b32 v8, v[8:9] offset:64
	s_wait_loadcnt_dscnt 0x0
	v_mul_f32_e32 v14, s33, v8
	v_add_co_u32 v8, vcc_lo, v12, s20
	s_wait_alu 0xfffd
	v_add_co_ci_u32_e64 v9, null, s21, v13, vcc_lo
	s_delay_alu instid0(VALU_DEP_3) | instskip(NEXT) | instid1(VALU_DEP_3)
	v_fmac_f32_e32 v14, s30, v25
	v_add_co_u32 v8, vcc_lo, v8, v6
	s_wait_alu 0xfffd
	s_delay_alu instid0(VALU_DEP_3)
	v_add_co_ci_u32_e64 v9, null, v9, v7, vcc_lo
	flat_store_b32 v[10:11], v14 offset:64
	flat_load_b32 v10, v[8:9]
	s_wait_loadcnt_dscnt 0x0
	v_mul_f32_e32 v12, s33, v10
	v_add_co_u32 v10, vcc_lo, v15, s22
	s_wait_alu 0xfffd
	v_add_co_ci_u32_e64 v11, null, s23, v27, vcc_lo
	s_delay_alu instid0(VALU_DEP_3) | instskip(NEXT) | instid1(VALU_DEP_3)
	v_fmac_f32_e32 v12, s30, v24
	v_add_co_u32 v10, vcc_lo, v10, v6
	s_wait_alu 0xfffd
	s_delay_alu instid0(VALU_DEP_3) | instskip(SKIP_4) | instid1(VALU_DEP_1)
	v_add_co_ci_u32_e64 v11, null, v11, v7, vcc_lo
	flat_store_b32 v[10:11], v12
	flat_load_b32 v8, v[8:9] offset:64
	s_wait_loadcnt_dscnt 0x0
	v_mul_f32_e32 v8, s33, v8
	v_fmac_f32_e32 v8, s30, v23
	flat_store_b32 v[10:11], v8 offset:64
	s_branch .LBB192_2
.LBB192_10:
	s_endpgm
	.section	.rodata,"a",@progbits
	.p2align	6, 0x0
	.amdhsa_kernel _ZN12_GLOBAL__N_127rocblas_gemm_batched_kernelIfLi16ELi16ELi32ELi32ELi8ELi32ELi8ELi8ELi32ELc78ELc67EKPKfS3_KPfEEvlllT_PT11_llS8_llS6_PT12_llPT13_lli
		.amdhsa_group_segment_fixed_size 2048
		.amdhsa_private_segment_fixed_size 0
		.amdhsa_kernarg_size 140
		.amdhsa_user_sgpr_count 2
		.amdhsa_user_sgpr_dispatch_ptr 0
		.amdhsa_user_sgpr_queue_ptr 0
		.amdhsa_user_sgpr_kernarg_segment_ptr 1
		.amdhsa_user_sgpr_dispatch_id 0
		.amdhsa_user_sgpr_private_segment_size 0
		.amdhsa_wavefront_size32 1
		.amdhsa_uses_dynamic_stack 0
		.amdhsa_enable_private_segment 0
		.amdhsa_system_sgpr_workgroup_id_x 1
		.amdhsa_system_sgpr_workgroup_id_y 1
		.amdhsa_system_sgpr_workgroup_id_z 1
		.amdhsa_system_sgpr_workgroup_info 0
		.amdhsa_system_vgpr_workitem_id 1
		.amdhsa_next_free_vgpr 59
		.amdhsa_next_free_sgpr 39
		.amdhsa_reserve_vcc 1
		.amdhsa_float_round_mode_32 0
		.amdhsa_float_round_mode_16_64 0
		.amdhsa_float_denorm_mode_32 3
		.amdhsa_float_denorm_mode_16_64 3
		.amdhsa_fp16_overflow 0
		.amdhsa_workgroup_processor_mode 1
		.amdhsa_memory_ordered 1
		.amdhsa_forward_progress 1
		.amdhsa_inst_pref_size 14
		.amdhsa_round_robin_scheduling 0
		.amdhsa_exception_fp_ieee_invalid_op 0
		.amdhsa_exception_fp_denorm_src 0
		.amdhsa_exception_fp_ieee_div_zero 0
		.amdhsa_exception_fp_ieee_overflow 0
		.amdhsa_exception_fp_ieee_underflow 0
		.amdhsa_exception_fp_ieee_inexact 0
		.amdhsa_exception_int_div_zero 0
	.end_amdhsa_kernel
	.section	.text._ZN12_GLOBAL__N_127rocblas_gemm_batched_kernelIfLi16ELi16ELi32ELi32ELi8ELi32ELi8ELi8ELi32ELc78ELc67EKPKfS3_KPfEEvlllT_PT11_llS8_llS6_PT12_llPT13_lli,"axG",@progbits,_ZN12_GLOBAL__N_127rocblas_gemm_batched_kernelIfLi16ELi16ELi32ELi32ELi8ELi32ELi8ELi8ELi32ELc78ELc67EKPKfS3_KPfEEvlllT_PT11_llS8_llS6_PT12_llPT13_lli,comdat
.Lfunc_end192:
	.size	_ZN12_GLOBAL__N_127rocblas_gemm_batched_kernelIfLi16ELi16ELi32ELi32ELi8ELi32ELi8ELi8ELi32ELc78ELc67EKPKfS3_KPfEEvlllT_PT11_llS8_llS6_PT12_llPT13_lli, .Lfunc_end192-_ZN12_GLOBAL__N_127rocblas_gemm_batched_kernelIfLi16ELi16ELi32ELi32ELi8ELi32ELi8ELi8ELi32ELc78ELc67EKPKfS3_KPfEEvlllT_PT11_llS8_llS6_PT12_llPT13_lli
                                        ; -- End function
	.set _ZN12_GLOBAL__N_127rocblas_gemm_batched_kernelIfLi16ELi16ELi32ELi32ELi8ELi32ELi8ELi8ELi32ELc78ELc67EKPKfS3_KPfEEvlllT_PT11_llS8_llS6_PT12_llPT13_lli.num_vgpr, 59
	.set _ZN12_GLOBAL__N_127rocblas_gemm_batched_kernelIfLi16ELi16ELi32ELi32ELi8ELi32ELi8ELi8ELi32ELc78ELc67EKPKfS3_KPfEEvlllT_PT11_llS8_llS6_PT12_llPT13_lli.num_agpr, 0
	.set _ZN12_GLOBAL__N_127rocblas_gemm_batched_kernelIfLi16ELi16ELi32ELi32ELi8ELi32ELi8ELi8ELi32ELc78ELc67EKPKfS3_KPfEEvlllT_PT11_llS8_llS6_PT12_llPT13_lli.numbered_sgpr, 39
	.set _ZN12_GLOBAL__N_127rocblas_gemm_batched_kernelIfLi16ELi16ELi32ELi32ELi8ELi32ELi8ELi8ELi32ELc78ELc67EKPKfS3_KPfEEvlllT_PT11_llS8_llS6_PT12_llPT13_lli.num_named_barrier, 0
	.set _ZN12_GLOBAL__N_127rocblas_gemm_batched_kernelIfLi16ELi16ELi32ELi32ELi8ELi32ELi8ELi8ELi32ELc78ELc67EKPKfS3_KPfEEvlllT_PT11_llS8_llS6_PT12_llPT13_lli.private_seg_size, 0
	.set _ZN12_GLOBAL__N_127rocblas_gemm_batched_kernelIfLi16ELi16ELi32ELi32ELi8ELi32ELi8ELi8ELi32ELc78ELc67EKPKfS3_KPfEEvlllT_PT11_llS8_llS6_PT12_llPT13_lli.uses_vcc, 1
	.set _ZN12_GLOBAL__N_127rocblas_gemm_batched_kernelIfLi16ELi16ELi32ELi32ELi8ELi32ELi8ELi8ELi32ELc78ELc67EKPKfS3_KPfEEvlllT_PT11_llS8_llS6_PT12_llPT13_lli.uses_flat_scratch, 1
	.set _ZN12_GLOBAL__N_127rocblas_gemm_batched_kernelIfLi16ELi16ELi32ELi32ELi8ELi32ELi8ELi8ELi32ELc78ELc67EKPKfS3_KPfEEvlllT_PT11_llS8_llS6_PT12_llPT13_lli.has_dyn_sized_stack, 0
	.set _ZN12_GLOBAL__N_127rocblas_gemm_batched_kernelIfLi16ELi16ELi32ELi32ELi8ELi32ELi8ELi8ELi32ELc78ELc67EKPKfS3_KPfEEvlllT_PT11_llS8_llS6_PT12_llPT13_lli.has_recursion, 0
	.set _ZN12_GLOBAL__N_127rocblas_gemm_batched_kernelIfLi16ELi16ELi32ELi32ELi8ELi32ELi8ELi8ELi32ELc78ELc67EKPKfS3_KPfEEvlllT_PT11_llS8_llS6_PT12_llPT13_lli.has_indirect_call, 0
	.section	.AMDGPU.csdata,"",@progbits
; Kernel info:
; codeLenInByte = 1728
; TotalNumSgprs: 41
; NumVgprs: 59
; ScratchSize: 0
; MemoryBound: 0
; FloatMode: 240
; IeeeMode: 1
; LDSByteSize: 2048 bytes/workgroup (compile time only)
; SGPRBlocks: 0
; VGPRBlocks: 7
; NumSGPRsForWavesPerEU: 41
; NumVGPRsForWavesPerEU: 59
; Occupancy: 16
; WaveLimiterHint : 1
; COMPUTE_PGM_RSRC2:SCRATCH_EN: 0
; COMPUTE_PGM_RSRC2:USER_SGPR: 2
; COMPUTE_PGM_RSRC2:TRAP_HANDLER: 0
; COMPUTE_PGM_RSRC2:TGID_X_EN: 1
; COMPUTE_PGM_RSRC2:TGID_Y_EN: 1
; COMPUTE_PGM_RSRC2:TGID_Z_EN: 1
; COMPUTE_PGM_RSRC2:TIDIG_COMP_CNT: 1
	.section	.text._ZN12_GLOBAL__N_127rocblas_gemm_batched_kernelIfLi16ELi16ELi32ELi32ELi8ELi32ELi8ELi8ELi32ELc84ELc67EKPKfS3_KPfEEvlllT_PT11_llS8_llS6_PT12_llPT13_lli,"axG",@progbits,_ZN12_GLOBAL__N_127rocblas_gemm_batched_kernelIfLi16ELi16ELi32ELi32ELi8ELi32ELi8ELi8ELi32ELc84ELc67EKPKfS3_KPfEEvlllT_PT11_llS8_llS6_PT12_llPT13_lli,comdat
	.globl	_ZN12_GLOBAL__N_127rocblas_gemm_batched_kernelIfLi16ELi16ELi32ELi32ELi8ELi32ELi8ELi8ELi32ELc84ELc67EKPKfS3_KPfEEvlllT_PT11_llS8_llS6_PT12_llPT13_lli ; -- Begin function _ZN12_GLOBAL__N_127rocblas_gemm_batched_kernelIfLi16ELi16ELi32ELi32ELi8ELi32ELi8ELi8ELi32ELc84ELc67EKPKfS3_KPfEEvlllT_PT11_llS8_llS6_PT12_llPT13_lli
	.p2align	8
	.type	_ZN12_GLOBAL__N_127rocblas_gemm_batched_kernelIfLi16ELi16ELi32ELi32ELi8ELi32ELi8ELi8ELi32ELc84ELc67EKPKfS3_KPfEEvlllT_PT11_llS8_llS6_PT12_llPT13_lli,@function
_ZN12_GLOBAL__N_127rocblas_gemm_batched_kernelIfLi16ELi16ELi32ELi32ELi8ELi32ELi8ELi8ELi32ELc84ELc67EKPKfS3_KPfEEvlllT_PT11_llS8_llS6_PT12_llPT13_lli: ; @_ZN12_GLOBAL__N_127rocblas_gemm_batched_kernelIfLi16ELi16ELi32ELi32ELi8ELi32ELi8ELi8ELi32ELc84ELc67EKPKfS3_KPfEEvlllT_PT11_llS8_llS6_PT12_llPT13_lli
; %bb.0:
	s_load_b32 s31, s[0:1], 0x88
	s_lshr_b32 s2, ttmp7, 16
	s_wait_kmcnt 0x0
	s_cmp_ge_i32 s2, s31
	s_cbranch_scc1 .LBB193_10
; %bb.1:
	v_dual_mov_b32 v1, 0 :: v_dual_and_b32 v8, 0x3ff, v0
	v_bfe_u32 v2, v0, 10, 10
	s_clause 0x5
	s_load_b96 s[28:30], s[0:1], 0x10
	s_load_b128 s[24:27], s[0:1], 0x40
	s_load_b32 s33, s[0:1], 0x50
	s_load_b128 s[20:23], s[0:1], 0x78
	s_load_b256 s[4:11], s[0:1], 0x20
	s_load_b256 s[12:19], s[0:1], 0x58
	s_lshl_b32 s0, ttmp7, 5
	s_mov_b32 s34, ttmp9
	v_lshl_add_u32 v3, v2, 4, v8
	s_and_b32 s36, s0, 0x1fffe0
	v_lshl_add_u32 v19, v2, 5, 0x400
	v_add_nc_u32_e32 v14, s36, v2
	s_ashr_i32 s35, ttmp9, 31
	v_and_b32_e32 v12, 31, v3
	v_lshrrev_b32_e32 v15, 5, v3
	s_lshl_b64 s[0:1], s[34:35], 5
	v_lshlrev_b32_e32 v18, 2, v8
	v_add_co_u32 v8, s35, s0, v8
	v_lshlrev_b32_e32 v4, 2, v12
	v_add_co_ci_u32_e64 v9, null, s1, 0, s35
	s_mov_b32 s3, 0
	s_wait_kmcnt 0x0
	s_cmp_eq_f32 s33, 0
	v_lshl_or_b32 v16, v15, 7, v4
	v_mad_co_u64_u32 v[4:5], null, v14, s20, 0
	v_and_b32_e32 v13, 7, v0
	v_lshrrev_b32_e32 v0, 3, v3
	v_mad_co_u64_u32 v[6:7], null, v14, s14, 0
	s_cselect_b32 s34, -1, 0
	v_lshlrev_b32_e32 v3, 2, v13
	s_delay_alu instid0(VALU_DEP_1) | instskip(NEXT) | instid1(VALU_DEP_1)
	v_lshl_or_b32 v3, v0, 5, v3
	v_add_nc_u32_e32 v17, 0x400, v3
	v_mad_co_u64_u32 v[2:3], null, s24, v13, v[0:1]
	v_mov_b32_e32 v0, v5
	v_or_b32_e32 v5, s0, v12
	s_mul_i32 s0, s6, s1
	s_delay_alu instid0(VALU_DEP_2) | instskip(SKIP_3) | instid1(VALU_DEP_3)
	v_mad_co_u64_u32 v[10:11], null, v14, s21, v[0:1]
	v_mov_b32_e32 v0, v7
	v_mad_co_u64_u32 v[11:12], null, s25, v13, v[3:4]
	v_add_co_u32 v2, vcc_lo, v2, s36
	v_mad_co_u64_u32 v[12:13], null, v14, s15, v[0:1]
	v_mul_lo_u32 v0, s7, v5
	v_mad_co_u64_u32 v[13:14], null, s6, v5, 0
	v_add_co_ci_u32_e64 v3, null, 0, v11, vcc_lo
	v_mov_b32_e32 v5, v10
	v_mov_b32_e32 v7, v12
	s_lshl_b64 s[20:21], s[20:21], 4
	s_delay_alu instid0(VALU_DEP_3)
	v_lshlrev_b64_e32 v[2:3], 2, v[2:3]
	s_wait_alu 0xfffe
	v_add3_u32 v14, v14, s0, v0
	s_lshl_b64 s[0:1], s[26:27], 2
	v_lshlrev_b64_e32 v[4:5], 2, v[4:5]
	s_lshl_b64 s[36:37], s[14:15], 4
	s_lshl_b64 s[6:7], s[24:25], 5
	v_lshlrev_b64_e32 v[10:11], 2, v[13:14]
	s_wait_alu 0xfffe
	v_add_co_u32 v0, vcc_lo, s0, v2
	s_wait_alu 0xfffd
	v_add_co_ci_u32_e64 v20, null, s1, v3, vcc_lo
	s_lshl_b64 s[0:1], s[8:9], 2
	v_lshlrev_b32_e32 v2, 2, v15
	s_wait_alu 0xfffe
	v_add_co_u32 v3, vcc_lo, v10, s0
	v_cmp_gt_i64_e64 s0, s[28:29], 0
	s_wait_alu 0xfffd
	v_add_co_ci_u32_e64 v10, null, s1, v11, vcc_lo
	s_delay_alu instid0(VALU_DEP_3)
	v_add_co_u32 v21, vcc_lo, v3, v2
	v_lshlrev_b64_e32 v[2:3], 2, v[6:7]
	s_wait_alu 0xf1ff
	v_cndmask_b32_e64 v11, 0, 1, s0
	v_lshlrev_b64_e32 v[6:7], 2, v[8:9]
	s_wait_alu 0xfffd
	v_add_co_ci_u32_e64 v22, null, 0, v10, vcc_lo
	s_lshl_b64 s[8:9], s[22:23], 2
	v_cmp_ne_u32_e64 s0, 1, v11
	s_lshl_b64 s[14:15], s[16:17], 2
	s_lshl_b64 s[16:17], s[36:37], 2
	s_lshl_b64 s[20:21], s[20:21], 2
	s_branch .LBB193_3
.LBB193_2:                              ;   in Loop: Header=BB193_3 Depth=1
	s_add_co_i32 s2, s2, 0x10000
	s_delay_alu instid0(SALU_CYCLE_1)
	s_cmp_lt_i32 s2, s31
	s_cbranch_scc0 .LBB193_10
.LBB193_3:                              ; =>This Loop Header: Depth=1
                                        ;     Child Loop BB193_5 Depth 2
	s_lshl_b64 s[22:23], s[2:3], 3
	v_dual_mov_b32 v26, 0 :: v_dual_mov_b32 v25, 0
	s_wait_alu 0xfffe
	s_add_nc_u64 s[24:25], s[12:13], s[22:23]
	s_add_nc_u64 s[26:27], s[18:19], s[22:23]
	s_clause 0x1
	global_load_b64 v[8:9], v1, s[24:25]
	global_load_b64 v[10:11], v1, s[26:27]
	v_dual_mov_b32 v24, 0 :: v_dual_mov_b32 v23, 0
	s_and_b32 vcc_lo, exec_lo, s0
	s_wait_alu 0xfffe
	s_cbranch_vccnz .LBB193_6
; %bb.4:                                ;   in Loop: Header=BB193_3 Depth=1
	s_add_nc_u64 s[24:25], s[10:11], s[22:23]
	s_add_nc_u64 s[22:23], s[4:5], s[22:23]
	s_clause 0x1
	global_load_b64 v[12:13], v1, s[24:25]
	global_load_b64 v[14:15], v1, s[22:23]
	v_dual_mov_b32 v23, 0 :: v_dual_mov_b32 v24, 0
	v_dual_mov_b32 v25, 0 :: v_dual_mov_b32 v26, 0
	s_mov_b64 s[22:23], 0
	s_wait_loadcnt 0x1
	v_add_co_u32 v12, vcc_lo, v12, v0
	s_wait_alu 0xfffd
	v_add_co_ci_u32_e64 v13, null, v13, v20, vcc_lo
	s_wait_loadcnt 0x0
	v_add_co_u32 v14, vcc_lo, v14, v21
	s_wait_alu 0xfffd
	v_add_co_ci_u32_e64 v15, null, v15, v22, vcc_lo
.LBB193_5:                              ;   Parent Loop BB193_3 Depth=1
                                        ; =>  This Inner Loop Header: Depth=2
	flat_load_b32 v27, v[14:15]
	s_wait_alu 0xfffe
	s_add_nc_u64 s[22:23], s[22:23], 8
	v_add_co_u32 v14, vcc_lo, v14, 32
	s_wait_alu 0xfffe
	v_cmp_lt_i64_e64 s1, s[22:23], s[28:29]
	s_wait_alu 0xfffd
	v_add_co_ci_u32_e64 v15, null, 0, v15, vcc_lo
	s_and_b32 vcc_lo, exec_lo, s1
	s_wait_loadcnt_dscnt 0x0
	ds_store_b32 v16, v27
	flat_load_b32 v27, v[12:13]
	v_add_co_u32 v12, s1, v12, s6
	s_wait_alu 0xf1ff
	v_add_co_ci_u32_e64 v13, null, s7, v13, s1
	s_wait_loadcnt_dscnt 0x0
	ds_store_b32 v17, v27
	s_wait_dscnt 0x0
	s_barrier_signal -1
	s_barrier_wait -1
	global_inv scope:SCOPE_SE
	ds_load_b128 v[27:30], v19
	ds_load_2addr_b32 v[43:44], v18 offset1:16
	ds_load_b128 v[31:34], v19 offset:512
	ds_load_2addr_b32 v[45:46], v18 offset0:32 offset1:48
	ds_load_2addr_b32 v[47:48], v18 offset0:64 offset1:80
	ds_load_b128 v[35:38], v19 offset:16
	ds_load_2addr_b32 v[49:50], v18 offset0:96 offset1:112
	ds_load_2addr_b32 v[51:52], v18 offset0:128 offset1:144
	;; [unrolled: 3-line block ×3, first 2 shown]
	ds_load_2addr_b32 v[57:58], v18 offset0:224 offset1:240
	s_wait_loadcnt_dscnt 0x0
	s_barrier_signal -1
	s_barrier_wait -1
	global_inv scope:SCOPE_SE
	v_fmac_f32_e32 v25, v44, v27
	v_fmac_f32_e32 v26, v43, v27
	;; [unrolled: 1-line block ×3, first 2 shown]
	s_delay_alu instid0(VALU_DEP_3) | instskip(NEXT) | instid1(VALU_DEP_3)
	v_dual_fmac_f32 v24, v43, v31 :: v_dual_fmac_f32 v25, v46, v28
	v_fmac_f32_e32 v26, v45, v28
	s_delay_alu instid0(VALU_DEP_3) | instskip(NEXT) | instid1(VALU_DEP_3)
	v_fmac_f32_e32 v23, v46, v32
	v_dual_fmac_f32 v24, v45, v32 :: v_dual_fmac_f32 v25, v48, v29
	s_delay_alu instid0(VALU_DEP_3) | instskip(NEXT) | instid1(VALU_DEP_3)
	v_fmac_f32_e32 v26, v47, v29
	v_fmac_f32_e32 v23, v48, v33
	s_delay_alu instid0(VALU_DEP_3) | instskip(NEXT) | instid1(VALU_DEP_3)
	v_dual_fmac_f32 v24, v47, v33 :: v_dual_fmac_f32 v25, v50, v30
	v_fmac_f32_e32 v26, v49, v30
	s_delay_alu instid0(VALU_DEP_3) | instskip(NEXT) | instid1(VALU_DEP_3)
	v_fmac_f32_e32 v23, v50, v34
	v_dual_fmac_f32 v24, v49, v34 :: v_dual_fmac_f32 v25, v52, v35
	s_delay_alu instid0(VALU_DEP_3) | instskip(NEXT) | instid1(VALU_DEP_3)
	v_fmac_f32_e32 v26, v51, v35
	v_fmac_f32_e32 v23, v52, v39
	;; [unrolled: 9-line block ×3, first 2 shown]
	s_delay_alu instid0(VALU_DEP_3) | instskip(NEXT) | instid1(VALU_DEP_3)
	v_dual_fmac_f32 v24, v55, v41 :: v_dual_fmac_f32 v25, v58, v38
	v_fmac_f32_e32 v26, v57, v38
	s_delay_alu instid0(VALU_DEP_3) | instskip(NEXT) | instid1(VALU_DEP_3)
	v_fmac_f32_e32 v23, v58, v42
	v_fmac_f32_e32 v24, v57, v42
	s_wait_alu 0xfffe
	s_cbranch_vccnz .LBB193_5
.LBB193_6:                              ;   in Loop: Header=BB193_3 Depth=1
	s_wait_loadcnt 0x0
	v_add_co_u32 v10, vcc_lo, v10, s8
	s_wait_alu 0xfffd
	v_add_co_ci_u32_e64 v11, null, s9, v11, vcc_lo
	s_and_not1_b32 vcc_lo, exec_lo, s34
	s_wait_alu 0xfffe
	s_cbranch_vccnz .LBB193_8
; %bb.7:                                ;   in Loop: Header=BB193_3 Depth=1
	v_add_co_u32 v14, vcc_lo, v10, v4
	s_wait_alu 0xfffd
	v_add_co_ci_u32_e64 v15, null, v11, v5, vcc_lo
	v_dual_mul_f32 v27, s30, v26 :: v_dual_mul_f32 v28, s30, v25
	s_delay_alu instid0(VALU_DEP_3) | instskip(SKIP_1) | instid1(VALU_DEP_3)
	v_add_co_u32 v12, vcc_lo, v14, v6
	s_wait_alu 0xfffd
	v_add_co_ci_u32_e64 v13, null, v15, v7, vcc_lo
	v_add_co_u32 v14, vcc_lo, v14, s20
	s_wait_alu 0xfffd
	v_add_co_ci_u32_e64 v15, null, s21, v15, vcc_lo
	v_dual_mul_f32 v29, s30, v24 :: v_dual_mul_f32 v30, s30, v23
	s_delay_alu instid0(VALU_DEP_3) | instskip(SKIP_1) | instid1(VALU_DEP_3)
	v_add_co_u32 v14, vcc_lo, v14, v6
	s_wait_alu 0xfffd
	v_add_co_ci_u32_e64 v15, null, v15, v7, vcc_lo
	s_clause 0x3
	flat_store_b32 v[12:13], v27
	flat_store_b32 v[12:13], v28 offset:64
	flat_store_b32 v[14:15], v29
	flat_store_b32 v[14:15], v30 offset:64
	s_cbranch_execnz .LBB193_2
	s_branch .LBB193_9
.LBB193_8:                              ;   in Loop: Header=BB193_3 Depth=1
.LBB193_9:                              ;   in Loop: Header=BB193_3 Depth=1
	v_add_co_u32 v8, vcc_lo, v8, s14
	s_wait_alu 0xfffd
	v_add_co_ci_u32_e64 v9, null, s15, v9, vcc_lo
	s_delay_alu instid0(VALU_DEP_2) | instskip(SKIP_1) | instid1(VALU_DEP_2)
	v_add_co_u32 v12, vcc_lo, v8, v2
	s_wait_alu 0xfffd
	v_add_co_ci_u32_e64 v13, null, v9, v3, vcc_lo
	s_delay_alu instid0(VALU_DEP_2) | instskip(SKIP_1) | instid1(VALU_DEP_2)
	v_add_co_u32 v8, vcc_lo, v12, v6
	s_wait_alu 0xfffd
	v_add_co_ci_u32_e64 v9, null, v13, v7, vcc_lo
	v_add_co_u32 v15, vcc_lo, v10, v4
	s_wait_alu 0xfffd
	v_add_co_ci_u32_e64 v27, null, v11, v5, vcc_lo
	flat_load_b32 v14, v[8:9]
	v_add_co_u32 v10, vcc_lo, v15, v6
	s_wait_alu 0xfffd
	v_add_co_ci_u32_e64 v11, null, v27, v7, vcc_lo
	s_wait_loadcnt_dscnt 0x0
	v_mul_f32_e32 v14, s33, v14
	s_delay_alu instid0(VALU_DEP_1)
	v_fmac_f32_e32 v14, s30, v26
	flat_store_b32 v[10:11], v14
	flat_load_b32 v8, v[8:9] offset:64
	s_wait_loadcnt_dscnt 0x0
	v_mul_f32_e32 v14, s33, v8
	v_add_co_u32 v8, vcc_lo, v12, s16
	s_wait_alu 0xfffd
	v_add_co_ci_u32_e64 v9, null, s17, v13, vcc_lo
	s_delay_alu instid0(VALU_DEP_3) | instskip(NEXT) | instid1(VALU_DEP_3)
	v_fmac_f32_e32 v14, s30, v25
	v_add_co_u32 v8, vcc_lo, v8, v6
	s_wait_alu 0xfffd
	s_delay_alu instid0(VALU_DEP_3)
	v_add_co_ci_u32_e64 v9, null, v9, v7, vcc_lo
	flat_store_b32 v[10:11], v14 offset:64
	flat_load_b32 v10, v[8:9]
	s_wait_loadcnt_dscnt 0x0
	v_mul_f32_e32 v12, s33, v10
	v_add_co_u32 v10, vcc_lo, v15, s20
	s_wait_alu 0xfffd
	v_add_co_ci_u32_e64 v11, null, s21, v27, vcc_lo
	s_delay_alu instid0(VALU_DEP_3) | instskip(NEXT) | instid1(VALU_DEP_3)
	v_fmac_f32_e32 v12, s30, v24
	v_add_co_u32 v10, vcc_lo, v10, v6
	s_wait_alu 0xfffd
	s_delay_alu instid0(VALU_DEP_3) | instskip(SKIP_4) | instid1(VALU_DEP_1)
	v_add_co_ci_u32_e64 v11, null, v11, v7, vcc_lo
	flat_store_b32 v[10:11], v12
	flat_load_b32 v8, v[8:9] offset:64
	s_wait_loadcnt_dscnt 0x0
	v_mul_f32_e32 v8, s33, v8
	v_fmac_f32_e32 v8, s30, v23
	flat_store_b32 v[10:11], v8 offset:64
	s_branch .LBB193_2
.LBB193_10:
	s_endpgm
	.section	.rodata,"a",@progbits
	.p2align	6, 0x0
	.amdhsa_kernel _ZN12_GLOBAL__N_127rocblas_gemm_batched_kernelIfLi16ELi16ELi32ELi32ELi8ELi32ELi8ELi8ELi32ELc84ELc67EKPKfS3_KPfEEvlllT_PT11_llS8_llS6_PT12_llPT13_lli
		.amdhsa_group_segment_fixed_size 2048
		.amdhsa_private_segment_fixed_size 0
		.amdhsa_kernarg_size 140
		.amdhsa_user_sgpr_count 2
		.amdhsa_user_sgpr_dispatch_ptr 0
		.amdhsa_user_sgpr_queue_ptr 0
		.amdhsa_user_sgpr_kernarg_segment_ptr 1
		.amdhsa_user_sgpr_dispatch_id 0
		.amdhsa_user_sgpr_private_segment_size 0
		.amdhsa_wavefront_size32 1
		.amdhsa_uses_dynamic_stack 0
		.amdhsa_enable_private_segment 0
		.amdhsa_system_sgpr_workgroup_id_x 1
		.amdhsa_system_sgpr_workgroup_id_y 1
		.amdhsa_system_sgpr_workgroup_id_z 1
		.amdhsa_system_sgpr_workgroup_info 0
		.amdhsa_system_vgpr_workitem_id 1
		.amdhsa_next_free_vgpr 59
		.amdhsa_next_free_sgpr 38
		.amdhsa_reserve_vcc 1
		.amdhsa_float_round_mode_32 0
		.amdhsa_float_round_mode_16_64 0
		.amdhsa_float_denorm_mode_32 3
		.amdhsa_float_denorm_mode_16_64 3
		.amdhsa_fp16_overflow 0
		.amdhsa_workgroup_processor_mode 1
		.amdhsa_memory_ordered 1
		.amdhsa_forward_progress 1
		.amdhsa_inst_pref_size 14
		.amdhsa_round_robin_scheduling 0
		.amdhsa_exception_fp_ieee_invalid_op 0
		.amdhsa_exception_fp_denorm_src 0
		.amdhsa_exception_fp_ieee_div_zero 0
		.amdhsa_exception_fp_ieee_overflow 0
		.amdhsa_exception_fp_ieee_underflow 0
		.amdhsa_exception_fp_ieee_inexact 0
		.amdhsa_exception_int_div_zero 0
	.end_amdhsa_kernel
	.section	.text._ZN12_GLOBAL__N_127rocblas_gemm_batched_kernelIfLi16ELi16ELi32ELi32ELi8ELi32ELi8ELi8ELi32ELc84ELc67EKPKfS3_KPfEEvlllT_PT11_llS8_llS6_PT12_llPT13_lli,"axG",@progbits,_ZN12_GLOBAL__N_127rocblas_gemm_batched_kernelIfLi16ELi16ELi32ELi32ELi8ELi32ELi8ELi8ELi32ELc84ELc67EKPKfS3_KPfEEvlllT_PT11_llS8_llS6_PT12_llPT13_lli,comdat
.Lfunc_end193:
	.size	_ZN12_GLOBAL__N_127rocblas_gemm_batched_kernelIfLi16ELi16ELi32ELi32ELi8ELi32ELi8ELi8ELi32ELc84ELc67EKPKfS3_KPfEEvlllT_PT11_llS8_llS6_PT12_llPT13_lli, .Lfunc_end193-_ZN12_GLOBAL__N_127rocblas_gemm_batched_kernelIfLi16ELi16ELi32ELi32ELi8ELi32ELi8ELi8ELi32ELc84ELc67EKPKfS3_KPfEEvlllT_PT11_llS8_llS6_PT12_llPT13_lli
                                        ; -- End function
	.set _ZN12_GLOBAL__N_127rocblas_gemm_batched_kernelIfLi16ELi16ELi32ELi32ELi8ELi32ELi8ELi8ELi32ELc84ELc67EKPKfS3_KPfEEvlllT_PT11_llS8_llS6_PT12_llPT13_lli.num_vgpr, 59
	.set _ZN12_GLOBAL__N_127rocblas_gemm_batched_kernelIfLi16ELi16ELi32ELi32ELi8ELi32ELi8ELi8ELi32ELc84ELc67EKPKfS3_KPfEEvlllT_PT11_llS8_llS6_PT12_llPT13_lli.num_agpr, 0
	.set _ZN12_GLOBAL__N_127rocblas_gemm_batched_kernelIfLi16ELi16ELi32ELi32ELi8ELi32ELi8ELi8ELi32ELc84ELc67EKPKfS3_KPfEEvlllT_PT11_llS8_llS6_PT12_llPT13_lli.numbered_sgpr, 38
	.set _ZN12_GLOBAL__N_127rocblas_gemm_batched_kernelIfLi16ELi16ELi32ELi32ELi8ELi32ELi8ELi8ELi32ELc84ELc67EKPKfS3_KPfEEvlllT_PT11_llS8_llS6_PT12_llPT13_lli.num_named_barrier, 0
	.set _ZN12_GLOBAL__N_127rocblas_gemm_batched_kernelIfLi16ELi16ELi32ELi32ELi8ELi32ELi8ELi8ELi32ELc84ELc67EKPKfS3_KPfEEvlllT_PT11_llS8_llS6_PT12_llPT13_lli.private_seg_size, 0
	.set _ZN12_GLOBAL__N_127rocblas_gemm_batched_kernelIfLi16ELi16ELi32ELi32ELi8ELi32ELi8ELi8ELi32ELc84ELc67EKPKfS3_KPfEEvlllT_PT11_llS8_llS6_PT12_llPT13_lli.uses_vcc, 1
	.set _ZN12_GLOBAL__N_127rocblas_gemm_batched_kernelIfLi16ELi16ELi32ELi32ELi8ELi32ELi8ELi8ELi32ELc84ELc67EKPKfS3_KPfEEvlllT_PT11_llS8_llS6_PT12_llPT13_lli.uses_flat_scratch, 1
	.set _ZN12_GLOBAL__N_127rocblas_gemm_batched_kernelIfLi16ELi16ELi32ELi32ELi8ELi32ELi8ELi8ELi32ELc84ELc67EKPKfS3_KPfEEvlllT_PT11_llS8_llS6_PT12_llPT13_lli.has_dyn_sized_stack, 0
	.set _ZN12_GLOBAL__N_127rocblas_gemm_batched_kernelIfLi16ELi16ELi32ELi32ELi8ELi32ELi8ELi8ELi32ELc84ELc67EKPKfS3_KPfEEvlllT_PT11_llS8_llS6_PT12_llPT13_lli.has_recursion, 0
	.set _ZN12_GLOBAL__N_127rocblas_gemm_batched_kernelIfLi16ELi16ELi32ELi32ELi8ELi32ELi8ELi8ELi32ELc84ELc67EKPKfS3_KPfEEvlllT_PT11_llS8_llS6_PT12_llPT13_lli.has_indirect_call, 0
	.section	.AMDGPU.csdata,"",@progbits
; Kernel info:
; codeLenInByte = 1712
; TotalNumSgprs: 40
; NumVgprs: 59
; ScratchSize: 0
; MemoryBound: 0
; FloatMode: 240
; IeeeMode: 1
; LDSByteSize: 2048 bytes/workgroup (compile time only)
; SGPRBlocks: 0
; VGPRBlocks: 7
; NumSGPRsForWavesPerEU: 40
; NumVGPRsForWavesPerEU: 59
; Occupancy: 16
; WaveLimiterHint : 1
; COMPUTE_PGM_RSRC2:SCRATCH_EN: 0
; COMPUTE_PGM_RSRC2:USER_SGPR: 2
; COMPUTE_PGM_RSRC2:TRAP_HANDLER: 0
; COMPUTE_PGM_RSRC2:TGID_X_EN: 1
; COMPUTE_PGM_RSRC2:TGID_Y_EN: 1
; COMPUTE_PGM_RSRC2:TGID_Z_EN: 1
; COMPUTE_PGM_RSRC2:TIDIG_COMP_CNT: 1
	.section	.text._ZN12_GLOBAL__N_135rocblas_gemm_batched_general_kernelIfLi16ELi16ELi32ELi32ELi8ELi32ELi8ELi8ELi32ELc78ELc78EKPKfS3_KPfEEvlllT_PT11_llS8_llS6_PT12_llPT13_lli,"axG",@progbits,_ZN12_GLOBAL__N_135rocblas_gemm_batched_general_kernelIfLi16ELi16ELi32ELi32ELi8ELi32ELi8ELi8ELi32ELc78ELc78EKPKfS3_KPfEEvlllT_PT11_llS8_llS6_PT12_llPT13_lli,comdat
	.globl	_ZN12_GLOBAL__N_135rocblas_gemm_batched_general_kernelIfLi16ELi16ELi32ELi32ELi8ELi32ELi8ELi8ELi32ELc78ELc78EKPKfS3_KPfEEvlllT_PT11_llS8_llS6_PT12_llPT13_lli ; -- Begin function _ZN12_GLOBAL__N_135rocblas_gemm_batched_general_kernelIfLi16ELi16ELi32ELi32ELi8ELi32ELi8ELi8ELi32ELc78ELc78EKPKfS3_KPfEEvlllT_PT11_llS8_llS6_PT12_llPT13_lli
	.p2align	8
	.type	_ZN12_GLOBAL__N_135rocblas_gemm_batched_general_kernelIfLi16ELi16ELi32ELi32ELi8ELi32ELi8ELi8ELi32ELc78ELc78EKPKfS3_KPfEEvlllT_PT11_llS8_llS6_PT12_llPT13_lli,@function
_ZN12_GLOBAL__N_135rocblas_gemm_batched_general_kernelIfLi16ELi16ELi32ELi32ELi8ELi32ELi8ELi8ELi32ELc78ELc78EKPKfS3_KPfEEvlllT_PT11_llS8_llS6_PT12_llPT13_lli: ; @_ZN12_GLOBAL__N_135rocblas_gemm_batched_general_kernelIfLi16ELi16ELi32ELi32ELi8ELi32ELi8ELi8ELi32ELc78ELc78EKPKfS3_KPfEEvlllT_PT11_llS8_llS6_PT12_llPT13_lli
; %bb.0:
	s_load_b32 s33, s[0:1], 0x88
	s_lshr_b32 s34, ttmp7, 16
	s_wait_kmcnt 0x0
	s_cmp_ge_i32 s34, s33
	s_cbranch_scc1 .LBB194_34
; %bb.1:
	s_clause 0x2
	s_load_b128 s[28:31], s[0:1], 0x0
	s_load_b96 s[36:38], s[0:1], 0x10
	s_load_b256 s[8:15], s[0:1], 0x20
	v_bfe_u32 v2, v0, 10, 10
	v_dual_mov_b32 v16, 0 :: v_dual_and_b32 v3, 0x3ff, v0
	s_clause 0x3
	s_load_b128 s[4:7], s[0:1], 0x40
	s_load_b32 s39, s[0:1], 0x50
	s_load_b128 s[24:27], s[0:1], 0x78
	s_load_b256 s[16:23], s[0:1], 0x58
	s_mov_b32 s40, ttmp9
	s_ashr_i32 s41, ttmp9, 31
	v_lshl_add_u32 v1, v2, 4, v3
	s_lshl_b64 s[2:3], s[40:41], 5
	s_and_b32 s0, ttmp7, 0xffff
	v_lshlrev_b32_e32 v19, 2, v3
	s_lshl_b32 s42, s0, 5
	v_and_b32_e32 v4, 31, v1
	v_lshrrev_b32_e32 v14, 5, v1
	v_lshrrev_b32_e32 v6, 3, v1
	v_mov_b32_e32 v1, s3
	v_lshl_add_u32 v20, v2, 5, 0x400
	v_lshlrev_b32_e32 v28, 2, v4
	s_mov_b32 s35, 0
	s_wait_kmcnt 0x0
	v_mad_co_u64_u32 v[21:22], null, s10, v14, 0
	v_and_b32_e32 v15, 7, v0
	v_or_b32_e32 v0, s2, v4
	v_add_co_u32 v4, s0, v6, s42
	s_delay_alu instid0(VALU_DEP_1) | instskip(NEXT) | instid1(VALU_DEP_3)
	v_add_co_ci_u32_e64 v5, null, 0, 0, s0
	v_cmp_gt_i64_e64 s0, s[28:29], v[0:1]
	v_add_co_u32 v0, s2, s2, v3
	s_delay_alu instid0(VALU_DEP_3) | instskip(SKIP_4) | instid1(VALU_DEP_3)
	v_cmp_gt_i64_e64 s1, s[30:31], v[4:5]
	v_add_co_u32 v5, s42, s42, v2
	v_mad_co_u64_u32 v[9:10], null, s4, v4, 0
	s_wait_alu 0xf1ff
	v_add_co_ci_u32_e64 v1, null, s3, 0, s2
	v_mad_co_u64_u32 v[2:3], null, v5, s24, 0
	v_mad_co_u64_u32 v[11:12], null, v5, s18, 0
	v_lshlrev_b32_e32 v29, 2, v15
	v_add_co_u32 v7, vcc_lo, v0, 16
	s_delay_alu instid0(VALU_DEP_1) | instskip(SKIP_4) | instid1(VALU_DEP_3)
	v_add_co_ci_u32_e64 v8, null, 0, v1, vcc_lo
	v_mad_co_u64_u32 v[23:24], null, v5, s25, v[3:4]
	v_dual_mov_b32 v3, v10 :: v_dual_mov_b32 v10, v12
	v_lshl_or_b32 v6, v6, 5, v29
	v_add_co_u32 v24, vcc_lo, v5, 16
	v_mad_co_u64_u32 v[12:13], null, s5, v4, v[3:4]
	s_delay_alu instid0(VALU_DEP_3)
	v_dual_mov_b32 v3, v23 :: v_dual_add_nc_u32 v18, 0x400, v6
	v_add_co_ci_u32_e64 v6, null, 0, 0, s42
	s_cmp_eq_f32 s39, 0
	v_cmp_gt_i64_e64 s4, s[28:29], v[7:8]
	v_cmp_gt_i64_e64 s3, s[28:29], v[0:1]
	;; [unrolled: 1-line block ×3, first 2 shown]
	s_wait_alu 0xfffd
	v_add_co_ci_u32_e64 v25, null, 0, v6, vcc_lo
	v_mov_b32_e32 v6, v22
	v_mad_co_u64_u32 v[4:5], null, v5, s19, v[10:11]
	v_mov_b32_e32 v10, v12
	s_cselect_b32 s42, -1, 0
	s_delay_alu instid0(VALU_DEP_3)
	v_mad_co_u64_u32 v[26:27], null, s11, v14, v[6:7]
	s_lshl_b64 s[6:7], s[6:7], 2
	s_lshl_b64 s[28:29], s[40:41], 7
	v_mov_b32_e32 v12, v4
	v_lshlrev_b64_e32 v[4:5], 2, v[9:10]
	s_lshl_b64 s[12:13], s[12:13], 2
	v_cmp_gt_i64_e64 s5, s[30:31], v[24:25]
	v_mov_b32_e32 v22, v26
	v_lshl_or_b32 v17, v14, 7, v28
	s_lshl_b64 s[18:19], s[18:19], 4
	v_add_co_u32 v4, vcc_lo, v4, s6
	s_delay_alu instid0(VALU_DEP_3)
	v_lshlrev_b64_e32 v[6:7], 2, v[21:22]
	s_wait_alu 0xfffd
	v_add_co_ci_u32_e64 v5, null, s7, v5, vcc_lo
	s_wait_alu 0xfffe
	s_add_nc_u64 s[6:7], s[12:13], s[28:29]
	v_cmp_gt_i64_e64 s28, s[36:37], 0
	s_lshl_b64 s[24:25], s[24:25], 4
	s_wait_alu 0xfffe
	v_add_co_u32 v6, vcc_lo, s6, v6
	s_wait_alu 0xfffd
	v_add_co_ci_u32_e64 v7, null, s7, v7, vcc_lo
	v_add_co_u32 v21, vcc_lo, v4, v29
	s_wait_alu 0xfffd
	v_add_co_ci_u32_e64 v22, null, 0, v5, vcc_lo
	v_add_co_u32 v23, vcc_lo, v6, v28
	v_lshlrev_b64_e32 v[4:5], 2, v[11:12]
	s_wait_alu 0xfffd
	v_add_co_ci_u32_e64 v24, null, 0, v7, vcc_lo
	s_lshl_b64 s[6:7], s[10:11], 5
	s_lshl_b64 s[10:11], s[26:27], 2
	;; [unrolled: 1-line block ×4, first 2 shown]
	s_branch .LBB194_4
.LBB194_2:                              ;   in Loop: Header=BB194_4 Depth=1
	s_wait_alu 0xfffe
	s_or_b32 exec_lo, exec_lo, s20
.LBB194_3:                              ;   in Loop: Header=BB194_4 Depth=1
	s_add_co_i32 s34, s34, 0x10000
	s_delay_alu instid0(SALU_CYCLE_1)
	s_cmp_lt_i32 s34, s33
	s_cbranch_scc0 .LBB194_34
.LBB194_4:                              ; =>This Loop Header: Depth=1
                                        ;     Child Loop BB194_7 Depth 2
	s_lshl_b64 s[20:21], s[34:35], 3
	v_dual_mov_b32 v28, 0 :: v_dual_mov_b32 v27, 0
	s_wait_alu 0xfffe
	s_add_nc_u64 s[26:27], s[16:17], s[20:21]
	s_add_nc_u64 s[30:31], s[22:23], s[20:21]
	s_clause 0x1
	global_load_b64 v[6:7], v16, s[26:27]
	global_load_b64 v[8:9], v16, s[30:31]
	v_dual_mov_b32 v26, 0 :: v_dual_mov_b32 v25, 0
	s_and_not1_b32 vcc_lo, exec_lo, s28
	s_wait_alu 0xfffe
	s_cbranch_vccnz .LBB194_11
; %bb.5:                                ;   in Loop: Header=BB194_4 Depth=1
	s_add_nc_u64 s[26:27], s[14:15], s[20:21]
	s_add_nc_u64 s[20:21], s[8:9], s[20:21]
	s_clause 0x1
	global_load_b64 v[10:11], v16, s[26:27]
	global_load_b64 v[12:13], v16, s[20:21]
	v_dual_mov_b32 v25, 0 :: v_dual_mov_b32 v26, 0
	v_dual_mov_b32 v27, 0 :: v_dual_mov_b32 v28, 0
	s_mov_b64 s[20:21], 0
	s_wait_loadcnt 0x1
	v_add_co_u32 v10, vcc_lo, v10, v21
	s_wait_alu 0xfffd
	v_add_co_ci_u32_e64 v11, null, v11, v22, vcc_lo
	s_wait_loadcnt 0x0
	v_add_co_u32 v12, vcc_lo, v12, v23
	s_wait_alu 0xfffd
	v_add_co_ci_u32_e64 v13, null, v13, v24, vcc_lo
	s_branch .LBB194_7
.LBB194_6:                              ;   in Loop: Header=BB194_7 Depth=2
	s_wait_alu 0xfffe
	s_or_b32 exec_lo, exec_lo, s26
	s_wait_loadcnt_dscnt 0x0
	ds_store_b32 v18, v30
	s_wait_dscnt 0x0
	s_barrier_signal -1
	s_barrier_wait -1
	global_inv scope:SCOPE_SE
	ds_load_b128 v[29:32], v20
	ds_load_2addr_b32 v[45:46], v19 offset1:16
	ds_load_b128 v[33:36], v20 offset:512
	ds_load_2addr_b32 v[47:48], v19 offset0:32 offset1:48
	ds_load_2addr_b32 v[49:50], v19 offset0:64 offset1:80
	;; [unrolled: 1-line block ×3, first 2 shown]
	ds_load_b128 v[37:40], v20 offset:16
	ds_load_2addr_b32 v[53:54], v19 offset0:128 offset1:144
	ds_load_b128 v[41:44], v20 offset:528
	ds_load_2addr_b32 v[55:56], v19 offset0:160 offset1:176
	s_add_nc_u64 s[20:21], s[20:21], 8
	v_add_co_u32 v10, vcc_lo, v10, 32
	s_wait_alu 0xfffe
	v_cmp_lt_i64_e64 s26, s[20:21], s[36:37]
	s_wait_alu 0xfffd
	v_add_co_ci_u32_e64 v11, null, 0, v11, vcc_lo
	v_add_co_u32 v12, vcc_lo, v12, s6
	s_wait_alu 0xfffd
	v_add_co_ci_u32_e64 v13, null, s7, v13, vcc_lo
	s_and_b32 vcc_lo, exec_lo, s26
	s_wait_dscnt 0x8
	v_fmac_f32_e32 v27, v46, v29
	v_fmac_f32_e32 v28, v45, v29
	s_wait_dscnt 0x7
	v_fmac_f32_e32 v25, v46, v33
	v_fmac_f32_e32 v26, v45, v33
	ds_load_2addr_b32 v[45:46], v19 offset0:192 offset1:208
	s_wait_dscnt 0x7
	v_fmac_f32_e32 v27, v48, v30
	v_fmac_f32_e32 v28, v47, v30
	;; [unrolled: 1-line block ×4, first 2 shown]
	ds_load_2addr_b32 v[29:30], v19 offset0:224 offset1:240
	s_wait_dscnt 0x7
	v_fmac_f32_e32 v27, v50, v31
	v_fmac_f32_e32 v28, v49, v31
	;; [unrolled: 1-line block ×4, first 2 shown]
	s_wait_loadcnt_dscnt 0x0
	v_fmac_f32_e32 v27, v52, v32
	v_fmac_f32_e32 v28, v51, v32
	;; [unrolled: 1-line block ×4, first 2 shown]
	s_barrier_signal -1
	v_fmac_f32_e32 v27, v54, v37
	v_fmac_f32_e32 v28, v53, v37
	;; [unrolled: 1-line block ×4, first 2 shown]
	s_barrier_wait -1
	v_fmac_f32_e32 v27, v56, v38
	v_fmac_f32_e32 v28, v55, v38
	v_fmac_f32_e32 v25, v56, v42
	v_fmac_f32_e32 v26, v55, v42
	global_inv scope:SCOPE_SE
	v_fmac_f32_e32 v27, v46, v39
	v_fmac_f32_e32 v28, v45, v39
	;; [unrolled: 1-line block ×3, first 2 shown]
	s_delay_alu instid0(VALU_DEP_3) | instskip(NEXT) | instid1(VALU_DEP_3)
	v_dual_fmac_f32 v26, v45, v43 :: v_dual_fmac_f32 v27, v30, v40
	v_fmac_f32_e32 v28, v29, v40
	s_delay_alu instid0(VALU_DEP_3) | instskip(NEXT) | instid1(VALU_DEP_3)
	v_fmac_f32_e32 v25, v30, v44
	v_fmac_f32_e32 v26, v29, v44
	s_wait_alu 0xfffe
	s_cbranch_vccz .LBB194_11
.LBB194_7:                              ;   Parent Loop BB194_4 Depth=1
                                        ; =>  This Inner Loop Header: Depth=2
	s_wait_alu 0xfffe
	v_add_co_u32 v29, s26, v14, s20
	s_wait_alu 0xf1ff
	v_add_co_ci_u32_e64 v30, null, 0, s21, s26
	s_delay_alu instid0(VALU_DEP_1)
	v_cmp_gt_i64_e32 vcc_lo, s[36:37], v[29:30]
	v_mov_b32_e32 v29, 0
	s_and_b32 s27, s0, vcc_lo
	s_wait_alu 0xfffe
	s_and_saveexec_b32 s26, s27
	s_cbranch_execz .LBB194_9
; %bb.8:                                ;   in Loop: Header=BB194_7 Depth=2
	flat_load_b32 v29, v[12:13]
.LBB194_9:                              ;   in Loop: Header=BB194_7 Depth=2
	s_wait_alu 0xfffe
	s_or_b32 exec_lo, exec_lo, s26
	v_add_co_u32 v30, s26, v15, s20
	s_wait_alu 0xf1ff
	v_add_co_ci_u32_e64 v31, null, 0, s21, s26
	s_wait_loadcnt_dscnt 0x0
	ds_store_b32 v17, v29
	v_cmp_gt_i64_e32 vcc_lo, s[36:37], v[30:31]
	v_mov_b32_e32 v30, 0
	s_and_b32 s27, vcc_lo, s1
	s_wait_alu 0xfffe
	s_and_saveexec_b32 s26, s27
	s_cbranch_execz .LBB194_6
; %bb.10:                               ;   in Loop: Header=BB194_7 Depth=2
	flat_load_b32 v30, v[10:11]
	s_branch .LBB194_6
.LBB194_11:                             ;   in Loop: Header=BB194_4 Depth=1
	s_wait_loadcnt 0x0
	v_add_co_u32 v10, vcc_lo, v8, s10
	s_wait_alu 0xfffd
	v_add_co_ci_u32_e64 v11, null, s11, v9, vcc_lo
	s_and_not1_b32 vcc_lo, exec_lo, s42
	s_wait_alu 0xfffe
	s_cbranch_vccnz .LBB194_16
; %bb.12:                               ;   in Loop: Header=BB194_4 Depth=1
	s_and_saveexec_b32 s20, s2
	s_cbranch_execz .LBB194_23
; %bb.13:                               ;   in Loop: Header=BB194_4 Depth=1
	v_lshlrev_b64_e32 v[8:9], 2, v[2:3]
	s_delay_alu instid0(VALU_DEP_1) | instskip(SKIP_1) | instid1(VALU_DEP_2)
	v_add_co_u32 v8, vcc_lo, v10, v8
	s_wait_alu 0xfffd
	v_add_co_ci_u32_e64 v9, null, v11, v9, vcc_lo
	s_and_saveexec_b32 s21, s3
	s_cbranch_execnz .LBB194_17
; %bb.14:                               ;   in Loop: Header=BB194_4 Depth=1
	s_wait_alu 0xfffe
	s_or_b32 exec_lo, exec_lo, s21
	s_and_saveexec_b32 s21, s4
	s_cbranch_execnz .LBB194_18
.LBB194_15:                             ;   in Loop: Header=BB194_4 Depth=1
	s_wait_alu 0xfffe
	s_or_b32 exec_lo, exec_lo, s21
	s_delay_alu instid0(SALU_CYCLE_1)
	s_and_b32 exec_lo, exec_lo, s5
	s_cbranch_execnz .LBB194_19
	s_branch .LBB194_23
.LBB194_16:                             ;   in Loop: Header=BB194_4 Depth=1
	s_branch .LBB194_24
.LBB194_17:                             ;   in Loop: Header=BB194_4 Depth=1
	v_lshlrev_b64_e32 v[12:13], 2, v[0:1]
	v_mul_f32_e32 v29, s38, v28
	s_delay_alu instid0(VALU_DEP_2) | instskip(SKIP_1) | instid1(VALU_DEP_3)
	v_add_co_u32 v12, vcc_lo, v8, v12
	s_wait_alu 0xfffd
	v_add_co_ci_u32_e64 v13, null, v9, v13, vcc_lo
	flat_store_b32 v[12:13], v29
	s_wait_alu 0xfffe
	s_or_b32 exec_lo, exec_lo, s21
	s_and_saveexec_b32 s21, s4
	s_cbranch_execz .LBB194_15
.LBB194_18:                             ;   in Loop: Header=BB194_4 Depth=1
	v_lshlrev_b64_e32 v[12:13], 2, v[0:1]
	v_mul_f32_e32 v29, s38, v27
	s_delay_alu instid0(VALU_DEP_2) | instskip(SKIP_1) | instid1(VALU_DEP_3)
	v_add_co_u32 v12, vcc_lo, v8, v12
	s_wait_alu 0xfffd
	v_add_co_ci_u32_e64 v13, null, v9, v13, vcc_lo
	flat_store_b32 v[12:13], v29 offset:64
	s_wait_alu 0xfffe
	s_or_b32 exec_lo, exec_lo, s21
	s_delay_alu instid0(SALU_CYCLE_1)
	s_and_b32 exec_lo, exec_lo, s5
	s_cbranch_execz .LBB194_23
.LBB194_19:                             ;   in Loop: Header=BB194_4 Depth=1
	s_lshl_b64 s[26:27], s[24:25], 2
	v_lshlrev_b64_e32 v[12:13], 2, v[0:1]
	s_wait_alu 0xfffe
	v_add_co_u32 v8, vcc_lo, v8, s26
	s_wait_alu 0xfffd
	v_add_co_ci_u32_e64 v9, null, s27, v9, vcc_lo
	s_delay_alu instid0(VALU_DEP_2) | instskip(SKIP_1) | instid1(VALU_DEP_2)
	v_add_co_u32 v8, vcc_lo, v8, v12
	s_wait_alu 0xfffd
	v_add_co_ci_u32_e64 v9, null, v9, v13, vcc_lo
	s_and_saveexec_b32 s21, s3
	s_cbranch_execz .LBB194_21
; %bb.20:                               ;   in Loop: Header=BB194_4 Depth=1
	v_mul_f32_e32 v12, s38, v26
	flat_store_b32 v[8:9], v12
.LBB194_21:                             ;   in Loop: Header=BB194_4 Depth=1
	s_wait_alu 0xfffe
	s_or_b32 exec_lo, exec_lo, s21
	s_delay_alu instid0(SALU_CYCLE_1)
	s_and_b32 exec_lo, exec_lo, s4
	s_cbranch_execz .LBB194_23
; %bb.22:                               ;   in Loop: Header=BB194_4 Depth=1
	v_mul_f32_e32 v12, s38, v25
	flat_store_b32 v[8:9], v12 offset:64
.LBB194_23:                             ;   in Loop: Header=BB194_4 Depth=1
	s_wait_alu 0xfffe
	s_or_b32 exec_lo, exec_lo, s20
	s_cbranch_execnz .LBB194_3
.LBB194_24:                             ;   in Loop: Header=BB194_4 Depth=1
	s_and_saveexec_b32 s20, s2
	s_cbranch_execz .LBB194_2
; %bb.25:                               ;   in Loop: Header=BB194_4 Depth=1
	v_add_co_u32 v6, vcc_lo, v6, s12
	v_lshlrev_b64_e32 v[12:13], 2, v[2:3]
	s_wait_alu 0xfffd
	v_add_co_ci_u32_e64 v7, null, s13, v7, vcc_lo
	s_delay_alu instid0(VALU_DEP_3) | instskip(SKIP_1) | instid1(VALU_DEP_2)
	v_add_co_u32 v8, vcc_lo, v6, v4
	s_wait_alu 0xfffd
	v_add_co_ci_u32_e64 v9, null, v7, v5, vcc_lo
	v_add_co_u32 v10, vcc_lo, v10, v12
	v_lshlrev_b64_e32 v[6:7], 2, v[0:1]
	s_wait_alu 0xfffd
	v_add_co_ci_u32_e64 v11, null, v11, v13, vcc_lo
	s_and_saveexec_b32 s21, s3
	s_cbranch_execnz .LBB194_28
; %bb.26:                               ;   in Loop: Header=BB194_4 Depth=1
	s_wait_alu 0xfffe
	s_or_b32 exec_lo, exec_lo, s21
	s_and_saveexec_b32 s21, s4
	s_cbranch_execnz .LBB194_29
.LBB194_27:                             ;   in Loop: Header=BB194_4 Depth=1
	s_wait_alu 0xfffe
	s_or_b32 exec_lo, exec_lo, s21
	s_delay_alu instid0(SALU_CYCLE_1)
	s_and_b32 exec_lo, exec_lo, s5
	s_cbranch_execz .LBB194_2
	s_branch .LBB194_30
.LBB194_28:                             ;   in Loop: Header=BB194_4 Depth=1
	v_add_co_u32 v12, vcc_lo, v8, v6
	s_wait_alu 0xfffd
	v_add_co_ci_u32_e64 v13, null, v9, v7, vcc_lo
	flat_load_b32 v12, v[12:13]
	s_wait_loadcnt_dscnt 0x0
	v_mul_f32_e32 v29, s39, v12
	v_add_co_u32 v12, vcc_lo, v10, v6
	s_wait_alu 0xfffd
	v_add_co_ci_u32_e64 v13, null, v11, v7, vcc_lo
	s_delay_alu instid0(VALU_DEP_3)
	v_fmac_f32_e32 v29, s38, v28
	flat_store_b32 v[12:13], v29
	s_wait_alu 0xfffe
	s_or_b32 exec_lo, exec_lo, s21
	s_and_saveexec_b32 s21, s4
	s_cbranch_execz .LBB194_27
.LBB194_29:                             ;   in Loop: Header=BB194_4 Depth=1
	v_add_co_u32 v12, vcc_lo, v8, v6
	s_wait_alu 0xfffd
	v_add_co_ci_u32_e64 v13, null, v9, v7, vcc_lo
	flat_load_b32 v12, v[12:13] offset:64
	s_wait_loadcnt_dscnt 0x0
	v_mul_f32_e32 v28, s39, v12
	v_add_co_u32 v12, vcc_lo, v10, v6
	s_wait_alu 0xfffd
	v_add_co_ci_u32_e64 v13, null, v11, v7, vcc_lo
	s_delay_alu instid0(VALU_DEP_3) | instskip(SKIP_3) | instid1(SALU_CYCLE_1)
	v_fmac_f32_e32 v28, s38, v27
	flat_store_b32 v[12:13], v28 offset:64
	s_wait_alu 0xfffe
	s_or_b32 exec_lo, exec_lo, s21
	s_and_b32 exec_lo, exec_lo, s5
	s_cbranch_execz .LBB194_2
.LBB194_30:                             ;   in Loop: Header=BB194_4 Depth=1
	v_add_co_u32 v8, vcc_lo, v8, s18
	s_lshl_b64 s[26:27], s[24:25], 2
	s_wait_alu 0xfffd
	v_add_co_ci_u32_e64 v9, null, s19, v9, vcc_lo
	s_wait_alu 0xfffe
	v_add_co_u32 v10, vcc_lo, v10, s26
	s_wait_alu 0xfffd
	v_add_co_ci_u32_e64 v11, null, s27, v11, vcc_lo
	v_add_co_u32 v8, vcc_lo, v8, v6
	s_wait_alu 0xfffd
	v_add_co_ci_u32_e64 v9, null, v9, v7, vcc_lo
	;; [unrolled: 3-line block ×3, first 2 shown]
	s_and_saveexec_b32 s21, s3
	s_cbranch_execz .LBB194_32
; %bb.31:                               ;   in Loop: Header=BB194_4 Depth=1
	flat_load_b32 v10, v[8:9]
	s_wait_loadcnt_dscnt 0x0
	v_mul_f32_e32 v10, s39, v10
	s_delay_alu instid0(VALU_DEP_1)
	v_fmac_f32_e32 v10, s38, v26
	flat_store_b32 v[6:7], v10
.LBB194_32:                             ;   in Loop: Header=BB194_4 Depth=1
	s_wait_alu 0xfffe
	s_or_b32 exec_lo, exec_lo, s21
	s_delay_alu instid0(SALU_CYCLE_1)
	s_and_b32 exec_lo, exec_lo, s4
	s_cbranch_execz .LBB194_2
; %bb.33:                               ;   in Loop: Header=BB194_4 Depth=1
	flat_load_b32 v8, v[8:9] offset:64
	s_wait_loadcnt_dscnt 0x0
	v_mul_f32_e32 v8, s39, v8
	s_delay_alu instid0(VALU_DEP_1)
	v_fmac_f32_e32 v8, s38, v25
	flat_store_b32 v[6:7], v8 offset:64
	s_branch .LBB194_2
.LBB194_34:
	s_endpgm
	.section	.rodata,"a",@progbits
	.p2align	6, 0x0
	.amdhsa_kernel _ZN12_GLOBAL__N_135rocblas_gemm_batched_general_kernelIfLi16ELi16ELi32ELi32ELi8ELi32ELi8ELi8ELi32ELc78ELc78EKPKfS3_KPfEEvlllT_PT11_llS8_llS6_PT12_llPT13_lli
		.amdhsa_group_segment_fixed_size 2048
		.amdhsa_private_segment_fixed_size 0
		.amdhsa_kernarg_size 140
		.amdhsa_user_sgpr_count 2
		.amdhsa_user_sgpr_dispatch_ptr 0
		.amdhsa_user_sgpr_queue_ptr 0
		.amdhsa_user_sgpr_kernarg_segment_ptr 1
		.amdhsa_user_sgpr_dispatch_id 0
		.amdhsa_user_sgpr_private_segment_size 0
		.amdhsa_wavefront_size32 1
		.amdhsa_uses_dynamic_stack 0
		.amdhsa_enable_private_segment 0
		.amdhsa_system_sgpr_workgroup_id_x 1
		.amdhsa_system_sgpr_workgroup_id_y 1
		.amdhsa_system_sgpr_workgroup_id_z 1
		.amdhsa_system_sgpr_workgroup_info 0
		.amdhsa_system_vgpr_workitem_id 1
		.amdhsa_next_free_vgpr 57
		.amdhsa_next_free_sgpr 43
		.amdhsa_reserve_vcc 1
		.amdhsa_float_round_mode_32 0
		.amdhsa_float_round_mode_16_64 0
		.amdhsa_float_denorm_mode_32 3
		.amdhsa_float_denorm_mode_16_64 3
		.amdhsa_fp16_overflow 0
		.amdhsa_workgroup_processor_mode 1
		.amdhsa_memory_ordered 1
		.amdhsa_forward_progress 1
		.amdhsa_inst_pref_size 18
		.amdhsa_round_robin_scheduling 0
		.amdhsa_exception_fp_ieee_invalid_op 0
		.amdhsa_exception_fp_denorm_src 0
		.amdhsa_exception_fp_ieee_div_zero 0
		.amdhsa_exception_fp_ieee_overflow 0
		.amdhsa_exception_fp_ieee_underflow 0
		.amdhsa_exception_fp_ieee_inexact 0
		.amdhsa_exception_int_div_zero 0
	.end_amdhsa_kernel
	.section	.text._ZN12_GLOBAL__N_135rocblas_gemm_batched_general_kernelIfLi16ELi16ELi32ELi32ELi8ELi32ELi8ELi8ELi32ELc78ELc78EKPKfS3_KPfEEvlllT_PT11_llS8_llS6_PT12_llPT13_lli,"axG",@progbits,_ZN12_GLOBAL__N_135rocblas_gemm_batched_general_kernelIfLi16ELi16ELi32ELi32ELi8ELi32ELi8ELi8ELi32ELc78ELc78EKPKfS3_KPfEEvlllT_PT11_llS8_llS6_PT12_llPT13_lli,comdat
.Lfunc_end194:
	.size	_ZN12_GLOBAL__N_135rocblas_gemm_batched_general_kernelIfLi16ELi16ELi32ELi32ELi8ELi32ELi8ELi8ELi32ELc78ELc78EKPKfS3_KPfEEvlllT_PT11_llS8_llS6_PT12_llPT13_lli, .Lfunc_end194-_ZN12_GLOBAL__N_135rocblas_gemm_batched_general_kernelIfLi16ELi16ELi32ELi32ELi8ELi32ELi8ELi8ELi32ELc78ELc78EKPKfS3_KPfEEvlllT_PT11_llS8_llS6_PT12_llPT13_lli
                                        ; -- End function
	.set _ZN12_GLOBAL__N_135rocblas_gemm_batched_general_kernelIfLi16ELi16ELi32ELi32ELi8ELi32ELi8ELi8ELi32ELc78ELc78EKPKfS3_KPfEEvlllT_PT11_llS8_llS6_PT12_llPT13_lli.num_vgpr, 57
	.set _ZN12_GLOBAL__N_135rocblas_gemm_batched_general_kernelIfLi16ELi16ELi32ELi32ELi8ELi32ELi8ELi8ELi32ELc78ELc78EKPKfS3_KPfEEvlllT_PT11_llS8_llS6_PT12_llPT13_lli.num_agpr, 0
	.set _ZN12_GLOBAL__N_135rocblas_gemm_batched_general_kernelIfLi16ELi16ELi32ELi32ELi8ELi32ELi8ELi8ELi32ELc78ELc78EKPKfS3_KPfEEvlllT_PT11_llS8_llS6_PT12_llPT13_lli.numbered_sgpr, 43
	.set _ZN12_GLOBAL__N_135rocblas_gemm_batched_general_kernelIfLi16ELi16ELi32ELi32ELi8ELi32ELi8ELi8ELi32ELc78ELc78EKPKfS3_KPfEEvlllT_PT11_llS8_llS6_PT12_llPT13_lli.num_named_barrier, 0
	.set _ZN12_GLOBAL__N_135rocblas_gemm_batched_general_kernelIfLi16ELi16ELi32ELi32ELi8ELi32ELi8ELi8ELi32ELc78ELc78EKPKfS3_KPfEEvlllT_PT11_llS8_llS6_PT12_llPT13_lli.private_seg_size, 0
	.set _ZN12_GLOBAL__N_135rocblas_gemm_batched_general_kernelIfLi16ELi16ELi32ELi32ELi8ELi32ELi8ELi8ELi32ELc78ELc78EKPKfS3_KPfEEvlllT_PT11_llS8_llS6_PT12_llPT13_lli.uses_vcc, 1
	.set _ZN12_GLOBAL__N_135rocblas_gemm_batched_general_kernelIfLi16ELi16ELi32ELi32ELi8ELi32ELi8ELi8ELi32ELc78ELc78EKPKfS3_KPfEEvlllT_PT11_llS8_llS6_PT12_llPT13_lli.uses_flat_scratch, 0
	.set _ZN12_GLOBAL__N_135rocblas_gemm_batched_general_kernelIfLi16ELi16ELi32ELi32ELi8ELi32ELi8ELi8ELi32ELc78ELc78EKPKfS3_KPfEEvlllT_PT11_llS8_llS6_PT12_llPT13_lli.has_dyn_sized_stack, 0
	.set _ZN12_GLOBAL__N_135rocblas_gemm_batched_general_kernelIfLi16ELi16ELi32ELi32ELi8ELi32ELi8ELi8ELi32ELc78ELc78EKPKfS3_KPfEEvlllT_PT11_llS8_llS6_PT12_llPT13_lli.has_recursion, 0
	.set _ZN12_GLOBAL__N_135rocblas_gemm_batched_general_kernelIfLi16ELi16ELi32ELi32ELi8ELi32ELi8ELi8ELi32ELc78ELc78EKPKfS3_KPfEEvlllT_PT11_llS8_llS6_PT12_llPT13_lli.has_indirect_call, 0
	.section	.AMDGPU.csdata,"",@progbits
; Kernel info:
; codeLenInByte = 2268
; TotalNumSgprs: 45
; NumVgprs: 57
; ScratchSize: 0
; MemoryBound: 0
; FloatMode: 240
; IeeeMode: 1
; LDSByteSize: 2048 bytes/workgroup (compile time only)
; SGPRBlocks: 0
; VGPRBlocks: 7
; NumSGPRsForWavesPerEU: 45
; NumVGPRsForWavesPerEU: 57
; Occupancy: 16
; WaveLimiterHint : 1
; COMPUTE_PGM_RSRC2:SCRATCH_EN: 0
; COMPUTE_PGM_RSRC2:USER_SGPR: 2
; COMPUTE_PGM_RSRC2:TRAP_HANDLER: 0
; COMPUTE_PGM_RSRC2:TGID_X_EN: 1
; COMPUTE_PGM_RSRC2:TGID_Y_EN: 1
; COMPUTE_PGM_RSRC2:TGID_Z_EN: 1
; COMPUTE_PGM_RSRC2:TIDIG_COMP_CNT: 1
	.section	.text._ZN12_GLOBAL__N_135rocblas_gemm_batched_general_kernelIfLi16ELi16ELi32ELi32ELi8ELi32ELi8ELi8ELi32ELc84ELc78EKPKfS3_KPfEEvlllT_PT11_llS8_llS6_PT12_llPT13_lli,"axG",@progbits,_ZN12_GLOBAL__N_135rocblas_gemm_batched_general_kernelIfLi16ELi16ELi32ELi32ELi8ELi32ELi8ELi8ELi32ELc84ELc78EKPKfS3_KPfEEvlllT_PT11_llS8_llS6_PT12_llPT13_lli,comdat
	.globl	_ZN12_GLOBAL__N_135rocblas_gemm_batched_general_kernelIfLi16ELi16ELi32ELi32ELi8ELi32ELi8ELi8ELi32ELc84ELc78EKPKfS3_KPfEEvlllT_PT11_llS8_llS6_PT12_llPT13_lli ; -- Begin function _ZN12_GLOBAL__N_135rocblas_gemm_batched_general_kernelIfLi16ELi16ELi32ELi32ELi8ELi32ELi8ELi8ELi32ELc84ELc78EKPKfS3_KPfEEvlllT_PT11_llS8_llS6_PT12_llPT13_lli
	.p2align	8
	.type	_ZN12_GLOBAL__N_135rocblas_gemm_batched_general_kernelIfLi16ELi16ELi32ELi32ELi8ELi32ELi8ELi8ELi32ELc84ELc78EKPKfS3_KPfEEvlllT_PT11_llS8_llS6_PT12_llPT13_lli,@function
_ZN12_GLOBAL__N_135rocblas_gemm_batched_general_kernelIfLi16ELi16ELi32ELi32ELi8ELi32ELi8ELi8ELi32ELc84ELc78EKPKfS3_KPfEEvlllT_PT11_llS8_llS6_PT12_llPT13_lli: ; @_ZN12_GLOBAL__N_135rocblas_gemm_batched_general_kernelIfLi16ELi16ELi32ELi32ELi8ELi32ELi8ELi8ELi32ELc84ELc78EKPKfS3_KPfEEvlllT_PT11_llS8_llS6_PT12_llPT13_lli
; %bb.0:
	s_load_b32 s33, s[0:1], 0x88
	s_lshr_b32 s34, ttmp7, 16
	s_wait_kmcnt 0x0
	s_cmp_ge_i32 s34, s33
	s_cbranch_scc1 .LBB195_34
; %bb.1:
	s_mov_b32 s2, ttmp9
	s_ashr_i32 s3, ttmp9, 31
	v_bfe_u32 v1, v0, 10, 10
	s_lshl_b64 s[40:41], s[2:3], 5
	s_delay_alu instid0(SALU_CYCLE_1)
	v_dual_mov_b32 v5, s41 :: v_dual_and_b32 v2, 0x3ff, v0
	s_clause 0x6
	s_load_b128 s[28:31], s[0:1], 0x0
	s_load_b96 s[36:38], s[0:1], 0x10
	s_load_b256 s[8:15], s[0:1], 0x20
	s_load_b128 s[4:7], s[0:1], 0x40
	s_load_b32 s39, s[0:1], 0x50
	s_load_b128 s[24:27], s[0:1], 0x78
	s_load_b256 s[16:23], s[0:1], 0x58
	v_dual_mov_b32 v16, 0 :: v_dual_and_b32 v15, 7, v0
	v_lshl_add_u32 v3, v1, 4, v2
	s_and_b32 s0, ttmp7, 0xffff
	v_lshlrev_b32_e32 v19, 2, v2
	s_lshl_b32 s2, s0, 5
	v_lshlrev_b32_e32 v13, 2, v15
	v_and_b32_e32 v6, 31, v3
	v_lshrrev_b32_e32 v0, 3, v3
	v_lshrrev_b32_e32 v14, 5, v3
	v_lshl_add_u32 v20, v1, 5, 0x400
	s_mov_b32 s35, 0
	v_or_b32_e32 v4, s40, v6
	v_lshlrev_b32_e32 v3, 2, v6
	v_add_co_u32 v6, s0, v0, s2
	s_delay_alu instid0(VALU_DEP_1) | instskip(SKIP_1) | instid1(VALU_DEP_4)
	v_add_co_ci_u32_e64 v7, null, 0, 0, s0
	v_lshl_or_b32 v0, v0, 5, v13
	v_lshl_or_b32 v17, v14, 7, v3
	s_wait_kmcnt 0x0
	v_mad_co_u64_u32 v[11:12], null, s4, v6, 0
	v_cmp_gt_i64_e64 s1, s[30:31], v[6:7]
	v_add_co_u32 v7, s2, s2, v1
	s_wait_alu 0xf1ff
	v_add_co_ci_u32_e64 v8, null, 0, 0, s2
	v_add_co_u32 v2, s2, s40, v2
	s_wait_alu 0xf1ff
	v_add_co_ci_u32_e64 v3, null, s41, 0, s2
	v_mad_co_u64_u32 v[25:26], null, v7, s18, 0
	v_add_nc_u32_e32 v18, 0x400, v0
	v_mad_co_u64_u32 v[0:1], null, v7, s24, 0
	v_add_co_u32 v9, vcc_lo, v2, 16
	s_delay_alu instid0(VALU_DEP_1) | instskip(SKIP_2) | instid1(VALU_DEP_3)
	v_add_co_ci_u32_e64 v10, null, 0, v3, vcc_lo
	v_cmp_gt_i64_e64 s0, s[28:29], v[4:5]
	v_add_co_u32 v21, vcc_lo, v7, 16
	v_cmp_gt_i64_e64 s4, s[28:29], v[9:10]
	v_mad_co_u64_u32 v[9:10], null, v7, s25, v[1:2]
	v_mov_b32_e32 v1, v12
	v_cmp_gt_i64_e64 s2, s[30:31], v[7:8]
	s_wait_alu 0xfffd
	v_add_co_ci_u32_e64 v22, null, 0, v8, vcc_lo
	v_mul_lo_u32 v8, s11, v4
	v_mad_co_u64_u32 v[5:6], null, s5, v6, v[1:2]
	v_mov_b32_e32 v1, v26
	v_mad_co_u64_u32 v[23:24], null, s10, v4, 0
	s_mul_i32 s10, s10, s41
	s_cmp_eq_f32 s39, 0
	v_mad_co_u64_u32 v[6:7], null, v7, s19, v[1:2]
	v_mov_b32_e32 v12, v5
	s_cselect_b32 s40, -1, 0
	s_wait_alu 0xfffe
	v_add3_u32 v24, v24, s10, v8
	s_lshl_b64 s[6:7], s[6:7], 2
	v_dual_mov_b32 v1, v9 :: v_dual_lshlrev_b32 v8, 2, v14
	v_lshlrev_b64_e32 v[4:5], 2, v[11:12]
	v_mov_b32_e32 v26, v6
	v_lshlrev_b64_e32 v[6:7], 2, v[23:24]
	v_cmp_gt_i64_e64 s5, s[30:31], v[21:22]
	v_cmp_gt_i64_e64 s3, s[28:29], v[2:3]
	s_lshl_b64 s[28:29], s[24:25], 4
	v_add_co_u32 v4, vcc_lo, v4, s6
	s_wait_alu 0xfffd
	v_add_co_ci_u32_e64 v5, null, s7, v5, vcc_lo
	s_lshl_b64 s[6:7], s[12:13], 2
	v_cmp_gt_i64_e64 s24, s[36:37], 0
	s_wait_alu 0xfffe
	v_add_co_u32 v6, vcc_lo, v6, s6
	s_wait_alu 0xfffd
	v_add_co_ci_u32_e64 v7, null, s7, v7, vcc_lo
	v_add_co_u32 v21, vcc_lo, v4, v13
	s_wait_alu 0xfffd
	v_add_co_ci_u32_e64 v22, null, 0, v5, vcc_lo
	v_add_co_u32 v23, vcc_lo, v6, v8
	v_lshlrev_b64_e32 v[4:5], 2, v[25:26]
	s_wait_alu 0xfffd
	v_add_co_ci_u32_e64 v24, null, 0, v7, vcc_lo
	s_lshl_b64 s[18:19], s[18:19], 4
	s_lshl_b64 s[6:7], s[26:27], 2
	;; [unrolled: 1-line block ×3, first 2 shown]
	s_wait_alu 0xfffe
	s_lshl_b64 s[12:13], s[18:19], 2
	s_lshl_b64 s[18:19], s[28:29], 2
	s_branch .LBB195_4
.LBB195_2:                              ;   in Loop: Header=BB195_4 Depth=1
	s_wait_alu 0xfffe
	s_or_b32 exec_lo, exec_lo, s20
.LBB195_3:                              ;   in Loop: Header=BB195_4 Depth=1
	s_add_co_i32 s34, s34, 0x10000
	s_delay_alu instid0(SALU_CYCLE_1)
	s_cmp_lt_i32 s34, s33
	s_cbranch_scc0 .LBB195_34
.LBB195_4:                              ; =>This Loop Header: Depth=1
                                        ;     Child Loop BB195_7 Depth 2
	s_lshl_b64 s[20:21], s[34:35], 3
	v_dual_mov_b32 v28, 0 :: v_dual_mov_b32 v27, 0
	s_wait_alu 0xfffe
	s_add_nc_u64 s[26:27], s[16:17], s[20:21]
	s_add_nc_u64 s[28:29], s[22:23], s[20:21]
	s_clause 0x1
	global_load_b64 v[6:7], v16, s[26:27]
	global_load_b64 v[8:9], v16, s[28:29]
	v_dual_mov_b32 v26, 0 :: v_dual_mov_b32 v25, 0
	s_and_not1_b32 vcc_lo, exec_lo, s24
	s_wait_alu 0xfffe
	s_cbranch_vccnz .LBB195_11
; %bb.5:                                ;   in Loop: Header=BB195_4 Depth=1
	s_add_nc_u64 s[26:27], s[14:15], s[20:21]
	s_add_nc_u64 s[20:21], s[8:9], s[20:21]
	s_clause 0x1
	global_load_b64 v[10:11], v16, s[26:27]
	global_load_b64 v[12:13], v16, s[20:21]
	v_dual_mov_b32 v25, 0 :: v_dual_mov_b32 v26, 0
	v_dual_mov_b32 v27, 0 :: v_dual_mov_b32 v28, 0
	s_mov_b64 s[20:21], 0
	s_wait_loadcnt 0x1
	v_add_co_u32 v10, vcc_lo, v10, v21
	s_wait_alu 0xfffd
	v_add_co_ci_u32_e64 v11, null, v11, v22, vcc_lo
	s_wait_loadcnt 0x0
	v_add_co_u32 v12, vcc_lo, v12, v23
	s_wait_alu 0xfffd
	v_add_co_ci_u32_e64 v13, null, v13, v24, vcc_lo
	s_branch .LBB195_7
.LBB195_6:                              ;   in Loop: Header=BB195_7 Depth=2
	s_wait_alu 0xfffe
	s_or_b32 exec_lo, exec_lo, s25
	s_wait_loadcnt_dscnt 0x0
	ds_store_b32 v18, v30
	s_wait_dscnt 0x0
	s_barrier_signal -1
	s_barrier_wait -1
	global_inv scope:SCOPE_SE
	ds_load_b128 v[29:32], v20
	ds_load_2addr_b32 v[45:46], v19 offset1:16
	ds_load_b128 v[33:36], v20 offset:512
	ds_load_2addr_b32 v[47:48], v19 offset0:32 offset1:48
	ds_load_2addr_b32 v[49:50], v19 offset0:64 offset1:80
	;; [unrolled: 1-line block ×3, first 2 shown]
	ds_load_b128 v[37:40], v20 offset:16
	ds_load_2addr_b32 v[53:54], v19 offset0:128 offset1:144
	ds_load_b128 v[41:44], v20 offset:528
	ds_load_2addr_b32 v[55:56], v19 offset0:160 offset1:176
	s_add_nc_u64 s[20:21], s[20:21], 8
	v_add_co_u32 v10, vcc_lo, v10, 32
	s_wait_alu 0xfffe
	v_cmp_lt_i64_e64 s25, s[20:21], s[36:37]
	s_wait_alu 0xfffd
	v_add_co_ci_u32_e64 v11, null, 0, v11, vcc_lo
	v_add_co_u32 v12, vcc_lo, v12, 32
	s_wait_alu 0xfffd
	v_add_co_ci_u32_e64 v13, null, 0, v13, vcc_lo
	s_and_b32 vcc_lo, exec_lo, s25
	s_wait_dscnt 0x8
	v_fmac_f32_e32 v27, v46, v29
	v_fmac_f32_e32 v28, v45, v29
	s_wait_dscnt 0x7
	v_fmac_f32_e32 v25, v46, v33
	v_fmac_f32_e32 v26, v45, v33
	ds_load_2addr_b32 v[45:46], v19 offset0:192 offset1:208
	s_wait_dscnt 0x7
	v_fmac_f32_e32 v27, v48, v30
	v_fmac_f32_e32 v28, v47, v30
	;; [unrolled: 1-line block ×4, first 2 shown]
	ds_load_2addr_b32 v[29:30], v19 offset0:224 offset1:240
	s_wait_dscnt 0x7
	v_fmac_f32_e32 v27, v50, v31
	v_fmac_f32_e32 v28, v49, v31
	;; [unrolled: 1-line block ×4, first 2 shown]
	s_wait_loadcnt_dscnt 0x0
	v_fmac_f32_e32 v27, v52, v32
	v_fmac_f32_e32 v28, v51, v32
	;; [unrolled: 1-line block ×4, first 2 shown]
	s_barrier_signal -1
	v_fmac_f32_e32 v27, v54, v37
	v_fmac_f32_e32 v28, v53, v37
	;; [unrolled: 1-line block ×4, first 2 shown]
	s_barrier_wait -1
	v_fmac_f32_e32 v27, v56, v38
	v_fmac_f32_e32 v28, v55, v38
	;; [unrolled: 1-line block ×4, first 2 shown]
	global_inv scope:SCOPE_SE
	v_fmac_f32_e32 v27, v46, v39
	v_fmac_f32_e32 v28, v45, v39
	;; [unrolled: 1-line block ×3, first 2 shown]
	s_delay_alu instid0(VALU_DEP_3) | instskip(NEXT) | instid1(VALU_DEP_3)
	v_dual_fmac_f32 v26, v45, v43 :: v_dual_fmac_f32 v27, v30, v40
	v_fmac_f32_e32 v28, v29, v40
	s_delay_alu instid0(VALU_DEP_3) | instskip(NEXT) | instid1(VALU_DEP_3)
	v_fmac_f32_e32 v25, v30, v44
	v_fmac_f32_e32 v26, v29, v44
	s_wait_alu 0xfffe
	s_cbranch_vccz .LBB195_11
.LBB195_7:                              ;   Parent Loop BB195_4 Depth=1
                                        ; =>  This Inner Loop Header: Depth=2
	s_wait_alu 0xfffe
	v_add_co_u32 v29, s25, v14, s20
	s_wait_alu 0xf1ff
	v_add_co_ci_u32_e64 v30, null, 0, s21, s25
	s_delay_alu instid0(VALU_DEP_1) | instskip(SKIP_2) | instid1(SALU_CYCLE_1)
	v_cmp_gt_i64_e32 vcc_lo, s[36:37], v[29:30]
	v_mov_b32_e32 v29, 0
	s_and_b32 s26, s0, vcc_lo
	s_and_saveexec_b32 s25, s26
	s_cbranch_execz .LBB195_9
; %bb.8:                                ;   in Loop: Header=BB195_7 Depth=2
	flat_load_b32 v29, v[12:13]
.LBB195_9:                              ;   in Loop: Header=BB195_7 Depth=2
	s_wait_alu 0xfffe
	s_or_b32 exec_lo, exec_lo, s25
	v_add_co_u32 v30, s25, v15, s20
	s_wait_alu 0xf1ff
	v_add_co_ci_u32_e64 v31, null, 0, s21, s25
	s_wait_loadcnt_dscnt 0x0
	ds_store_b32 v17, v29
	v_cmp_gt_i64_e32 vcc_lo, s[36:37], v[30:31]
	v_mov_b32_e32 v30, 0
	s_and_b32 s26, vcc_lo, s1
	s_delay_alu instid0(SALU_CYCLE_1)
	s_and_saveexec_b32 s25, s26
	s_cbranch_execz .LBB195_6
; %bb.10:                               ;   in Loop: Header=BB195_7 Depth=2
	flat_load_b32 v30, v[10:11]
	s_branch .LBB195_6
.LBB195_11:                             ;   in Loop: Header=BB195_4 Depth=1
	s_wait_loadcnt 0x0
	v_add_co_u32 v10, vcc_lo, v8, s6
	s_wait_alu 0xfffd
	v_add_co_ci_u32_e64 v11, null, s7, v9, vcc_lo
	s_and_not1_b32 vcc_lo, exec_lo, s40
	s_wait_alu 0xfffe
	s_cbranch_vccnz .LBB195_16
; %bb.12:                               ;   in Loop: Header=BB195_4 Depth=1
	s_and_saveexec_b32 s20, s2
	s_cbranch_execz .LBB195_23
; %bb.13:                               ;   in Loop: Header=BB195_4 Depth=1
	v_lshlrev_b64_e32 v[8:9], 2, v[0:1]
	s_delay_alu instid0(VALU_DEP_1) | instskip(SKIP_1) | instid1(VALU_DEP_2)
	v_add_co_u32 v8, vcc_lo, v10, v8
	s_wait_alu 0xfffd
	v_add_co_ci_u32_e64 v9, null, v11, v9, vcc_lo
	s_and_saveexec_b32 s21, s3
	s_cbranch_execnz .LBB195_17
; %bb.14:                               ;   in Loop: Header=BB195_4 Depth=1
	s_wait_alu 0xfffe
	s_or_b32 exec_lo, exec_lo, s21
	s_and_saveexec_b32 s21, s4
	s_cbranch_execnz .LBB195_18
.LBB195_15:                             ;   in Loop: Header=BB195_4 Depth=1
	s_wait_alu 0xfffe
	s_or_b32 exec_lo, exec_lo, s21
	s_delay_alu instid0(SALU_CYCLE_1)
	s_and_b32 exec_lo, exec_lo, s5
	s_cbranch_execnz .LBB195_19
	s_branch .LBB195_23
.LBB195_16:                             ;   in Loop: Header=BB195_4 Depth=1
	s_branch .LBB195_24
.LBB195_17:                             ;   in Loop: Header=BB195_4 Depth=1
	v_lshlrev_b64_e32 v[12:13], 2, v[2:3]
	v_mul_f32_e32 v29, s38, v28
	s_delay_alu instid0(VALU_DEP_2) | instskip(SKIP_1) | instid1(VALU_DEP_3)
	v_add_co_u32 v12, vcc_lo, v8, v12
	s_wait_alu 0xfffd
	v_add_co_ci_u32_e64 v13, null, v9, v13, vcc_lo
	flat_store_b32 v[12:13], v29
	s_wait_alu 0xfffe
	s_or_b32 exec_lo, exec_lo, s21
	s_and_saveexec_b32 s21, s4
	s_cbranch_execz .LBB195_15
.LBB195_18:                             ;   in Loop: Header=BB195_4 Depth=1
	v_lshlrev_b64_e32 v[12:13], 2, v[2:3]
	v_mul_f32_e32 v29, s38, v27
	s_delay_alu instid0(VALU_DEP_2) | instskip(SKIP_1) | instid1(VALU_DEP_3)
	v_add_co_u32 v12, vcc_lo, v8, v12
	s_wait_alu 0xfffd
	v_add_co_ci_u32_e64 v13, null, v9, v13, vcc_lo
	flat_store_b32 v[12:13], v29 offset:64
	s_wait_alu 0xfffe
	s_or_b32 exec_lo, exec_lo, s21
	s_delay_alu instid0(SALU_CYCLE_1)
	s_and_b32 exec_lo, exec_lo, s5
	s_cbranch_execz .LBB195_23
.LBB195_19:                             ;   in Loop: Header=BB195_4 Depth=1
	v_lshlrev_b64_e32 v[12:13], 2, v[2:3]
	v_add_co_u32 v8, vcc_lo, v8, s18
	s_wait_alu 0xfffd
	v_add_co_ci_u32_e64 v9, null, s19, v9, vcc_lo
	s_delay_alu instid0(VALU_DEP_2) | instskip(SKIP_1) | instid1(VALU_DEP_2)
	v_add_co_u32 v8, vcc_lo, v8, v12
	s_wait_alu 0xfffd
	v_add_co_ci_u32_e64 v9, null, v9, v13, vcc_lo
	s_and_saveexec_b32 s21, s3
	s_cbranch_execz .LBB195_21
; %bb.20:                               ;   in Loop: Header=BB195_4 Depth=1
	v_mul_f32_e32 v12, s38, v26
	flat_store_b32 v[8:9], v12
.LBB195_21:                             ;   in Loop: Header=BB195_4 Depth=1
	s_wait_alu 0xfffe
	s_or_b32 exec_lo, exec_lo, s21
	s_delay_alu instid0(SALU_CYCLE_1)
	s_and_b32 exec_lo, exec_lo, s4
	s_cbranch_execz .LBB195_23
; %bb.22:                               ;   in Loop: Header=BB195_4 Depth=1
	v_mul_f32_e32 v12, s38, v25
	flat_store_b32 v[8:9], v12 offset:64
.LBB195_23:                             ;   in Loop: Header=BB195_4 Depth=1
	s_wait_alu 0xfffe
	s_or_b32 exec_lo, exec_lo, s20
	s_cbranch_execnz .LBB195_3
.LBB195_24:                             ;   in Loop: Header=BB195_4 Depth=1
	s_and_saveexec_b32 s20, s2
	s_cbranch_execz .LBB195_2
; %bb.25:                               ;   in Loop: Header=BB195_4 Depth=1
	v_add_co_u32 v6, vcc_lo, v6, s10
	v_lshlrev_b64_e32 v[12:13], 2, v[0:1]
	s_wait_alu 0xfffd
	v_add_co_ci_u32_e64 v7, null, s11, v7, vcc_lo
	s_delay_alu instid0(VALU_DEP_3) | instskip(SKIP_1) | instid1(VALU_DEP_2)
	v_add_co_u32 v8, vcc_lo, v6, v4
	s_wait_alu 0xfffd
	v_add_co_ci_u32_e64 v9, null, v7, v5, vcc_lo
	v_add_co_u32 v10, vcc_lo, v10, v12
	v_lshlrev_b64_e32 v[6:7], 2, v[2:3]
	s_wait_alu 0xfffd
	v_add_co_ci_u32_e64 v11, null, v11, v13, vcc_lo
	s_and_saveexec_b32 s21, s3
	s_cbranch_execnz .LBB195_28
; %bb.26:                               ;   in Loop: Header=BB195_4 Depth=1
	s_wait_alu 0xfffe
	s_or_b32 exec_lo, exec_lo, s21
	s_and_saveexec_b32 s21, s4
	s_cbranch_execnz .LBB195_29
.LBB195_27:                             ;   in Loop: Header=BB195_4 Depth=1
	s_wait_alu 0xfffe
	s_or_b32 exec_lo, exec_lo, s21
	s_delay_alu instid0(SALU_CYCLE_1)
	s_and_b32 exec_lo, exec_lo, s5
	s_cbranch_execz .LBB195_2
	s_branch .LBB195_30
.LBB195_28:                             ;   in Loop: Header=BB195_4 Depth=1
	v_add_co_u32 v12, vcc_lo, v8, v6
	s_wait_alu 0xfffd
	v_add_co_ci_u32_e64 v13, null, v9, v7, vcc_lo
	flat_load_b32 v12, v[12:13]
	s_wait_loadcnt_dscnt 0x0
	v_mul_f32_e32 v29, s39, v12
	v_add_co_u32 v12, vcc_lo, v10, v6
	s_wait_alu 0xfffd
	v_add_co_ci_u32_e64 v13, null, v11, v7, vcc_lo
	s_delay_alu instid0(VALU_DEP_3)
	v_fmac_f32_e32 v29, s38, v28
	flat_store_b32 v[12:13], v29
	s_wait_alu 0xfffe
	s_or_b32 exec_lo, exec_lo, s21
	s_and_saveexec_b32 s21, s4
	s_cbranch_execz .LBB195_27
.LBB195_29:                             ;   in Loop: Header=BB195_4 Depth=1
	v_add_co_u32 v12, vcc_lo, v8, v6
	s_wait_alu 0xfffd
	v_add_co_ci_u32_e64 v13, null, v9, v7, vcc_lo
	flat_load_b32 v12, v[12:13] offset:64
	s_wait_loadcnt_dscnt 0x0
	v_mul_f32_e32 v28, s39, v12
	v_add_co_u32 v12, vcc_lo, v10, v6
	s_wait_alu 0xfffd
	v_add_co_ci_u32_e64 v13, null, v11, v7, vcc_lo
	s_delay_alu instid0(VALU_DEP_3) | instskip(SKIP_3) | instid1(SALU_CYCLE_1)
	v_fmac_f32_e32 v28, s38, v27
	flat_store_b32 v[12:13], v28 offset:64
	s_wait_alu 0xfffe
	s_or_b32 exec_lo, exec_lo, s21
	s_and_b32 exec_lo, exec_lo, s5
	s_cbranch_execz .LBB195_2
.LBB195_30:                             ;   in Loop: Header=BB195_4 Depth=1
	v_add_co_u32 v8, vcc_lo, v8, s12
	s_wait_alu 0xfffd
	v_add_co_ci_u32_e64 v9, null, s13, v9, vcc_lo
	v_add_co_u32 v10, vcc_lo, v10, s18
	s_wait_alu 0xfffd
	v_add_co_ci_u32_e64 v11, null, s19, v11, vcc_lo
	;; [unrolled: 3-line block ×4, first 2 shown]
	s_and_saveexec_b32 s21, s3
	s_cbranch_execz .LBB195_32
; %bb.31:                               ;   in Loop: Header=BB195_4 Depth=1
	flat_load_b32 v10, v[8:9]
	s_wait_loadcnt_dscnt 0x0
	v_mul_f32_e32 v10, s39, v10
	s_delay_alu instid0(VALU_DEP_1)
	v_fmac_f32_e32 v10, s38, v26
	flat_store_b32 v[6:7], v10
.LBB195_32:                             ;   in Loop: Header=BB195_4 Depth=1
	s_wait_alu 0xfffe
	s_or_b32 exec_lo, exec_lo, s21
	s_delay_alu instid0(SALU_CYCLE_1)
	s_and_b32 exec_lo, exec_lo, s4
	s_cbranch_execz .LBB195_2
; %bb.33:                               ;   in Loop: Header=BB195_4 Depth=1
	flat_load_b32 v8, v[8:9] offset:64
	s_wait_loadcnt_dscnt 0x0
	v_mul_f32_e32 v8, s39, v8
	s_delay_alu instid0(VALU_DEP_1)
	v_fmac_f32_e32 v8, s38, v25
	flat_store_b32 v[6:7], v8 offset:64
	s_branch .LBB195_2
.LBB195_34:
	s_endpgm
	.section	.rodata,"a",@progbits
	.p2align	6, 0x0
	.amdhsa_kernel _ZN12_GLOBAL__N_135rocblas_gemm_batched_general_kernelIfLi16ELi16ELi32ELi32ELi8ELi32ELi8ELi8ELi32ELc84ELc78EKPKfS3_KPfEEvlllT_PT11_llS8_llS6_PT12_llPT13_lli
		.amdhsa_group_segment_fixed_size 2048
		.amdhsa_private_segment_fixed_size 0
		.amdhsa_kernarg_size 140
		.amdhsa_user_sgpr_count 2
		.amdhsa_user_sgpr_dispatch_ptr 0
		.amdhsa_user_sgpr_queue_ptr 0
		.amdhsa_user_sgpr_kernarg_segment_ptr 1
		.amdhsa_user_sgpr_dispatch_id 0
		.amdhsa_user_sgpr_private_segment_size 0
		.amdhsa_wavefront_size32 1
		.amdhsa_uses_dynamic_stack 0
		.amdhsa_enable_private_segment 0
		.amdhsa_system_sgpr_workgroup_id_x 1
		.amdhsa_system_sgpr_workgroup_id_y 1
		.amdhsa_system_sgpr_workgroup_id_z 1
		.amdhsa_system_sgpr_workgroup_info 0
		.amdhsa_system_vgpr_workitem_id 1
		.amdhsa_next_free_vgpr 57
		.amdhsa_next_free_sgpr 42
		.amdhsa_reserve_vcc 1
		.amdhsa_float_round_mode_32 0
		.amdhsa_float_round_mode_16_64 0
		.amdhsa_float_denorm_mode_32 3
		.amdhsa_float_denorm_mode_16_64 3
		.amdhsa_fp16_overflow 0
		.amdhsa_workgroup_processor_mode 1
		.amdhsa_memory_ordered 1
		.amdhsa_forward_progress 1
		.amdhsa_inst_pref_size 18
		.amdhsa_round_robin_scheduling 0
		.amdhsa_exception_fp_ieee_invalid_op 0
		.amdhsa_exception_fp_denorm_src 0
		.amdhsa_exception_fp_ieee_div_zero 0
		.amdhsa_exception_fp_ieee_overflow 0
		.amdhsa_exception_fp_ieee_underflow 0
		.amdhsa_exception_fp_ieee_inexact 0
		.amdhsa_exception_int_div_zero 0
	.end_amdhsa_kernel
	.section	.text._ZN12_GLOBAL__N_135rocblas_gemm_batched_general_kernelIfLi16ELi16ELi32ELi32ELi8ELi32ELi8ELi8ELi32ELc84ELc78EKPKfS3_KPfEEvlllT_PT11_llS8_llS6_PT12_llPT13_lli,"axG",@progbits,_ZN12_GLOBAL__N_135rocblas_gemm_batched_general_kernelIfLi16ELi16ELi32ELi32ELi8ELi32ELi8ELi8ELi32ELc84ELc78EKPKfS3_KPfEEvlllT_PT11_llS8_llS6_PT12_llPT13_lli,comdat
.Lfunc_end195:
	.size	_ZN12_GLOBAL__N_135rocblas_gemm_batched_general_kernelIfLi16ELi16ELi32ELi32ELi8ELi32ELi8ELi8ELi32ELc84ELc78EKPKfS3_KPfEEvlllT_PT11_llS8_llS6_PT12_llPT13_lli, .Lfunc_end195-_ZN12_GLOBAL__N_135rocblas_gemm_batched_general_kernelIfLi16ELi16ELi32ELi32ELi8ELi32ELi8ELi8ELi32ELc84ELc78EKPKfS3_KPfEEvlllT_PT11_llS8_llS6_PT12_llPT13_lli
                                        ; -- End function
	.set _ZN12_GLOBAL__N_135rocblas_gemm_batched_general_kernelIfLi16ELi16ELi32ELi32ELi8ELi32ELi8ELi8ELi32ELc84ELc78EKPKfS3_KPfEEvlllT_PT11_llS8_llS6_PT12_llPT13_lli.num_vgpr, 57
	.set _ZN12_GLOBAL__N_135rocblas_gemm_batched_general_kernelIfLi16ELi16ELi32ELi32ELi8ELi32ELi8ELi8ELi32ELc84ELc78EKPKfS3_KPfEEvlllT_PT11_llS8_llS6_PT12_llPT13_lli.num_agpr, 0
	.set _ZN12_GLOBAL__N_135rocblas_gemm_batched_general_kernelIfLi16ELi16ELi32ELi32ELi8ELi32ELi8ELi8ELi32ELc84ELc78EKPKfS3_KPfEEvlllT_PT11_llS8_llS6_PT12_llPT13_lli.numbered_sgpr, 42
	.set _ZN12_GLOBAL__N_135rocblas_gemm_batched_general_kernelIfLi16ELi16ELi32ELi32ELi8ELi32ELi8ELi8ELi32ELc84ELc78EKPKfS3_KPfEEvlllT_PT11_llS8_llS6_PT12_llPT13_lli.num_named_barrier, 0
	.set _ZN12_GLOBAL__N_135rocblas_gemm_batched_general_kernelIfLi16ELi16ELi32ELi32ELi8ELi32ELi8ELi8ELi32ELc84ELc78EKPKfS3_KPfEEvlllT_PT11_llS8_llS6_PT12_llPT13_lli.private_seg_size, 0
	.set _ZN12_GLOBAL__N_135rocblas_gemm_batched_general_kernelIfLi16ELi16ELi32ELi32ELi8ELi32ELi8ELi8ELi32ELc84ELc78EKPKfS3_KPfEEvlllT_PT11_llS8_llS6_PT12_llPT13_lli.uses_vcc, 1
	.set _ZN12_GLOBAL__N_135rocblas_gemm_batched_general_kernelIfLi16ELi16ELi32ELi32ELi8ELi32ELi8ELi8ELi32ELc84ELc78EKPKfS3_KPfEEvlllT_PT11_llS8_llS6_PT12_llPT13_lli.uses_flat_scratch, 0
	.set _ZN12_GLOBAL__N_135rocblas_gemm_batched_general_kernelIfLi16ELi16ELi32ELi32ELi8ELi32ELi8ELi8ELi32ELc84ELc78EKPKfS3_KPfEEvlllT_PT11_llS8_llS6_PT12_llPT13_lli.has_dyn_sized_stack, 0
	.set _ZN12_GLOBAL__N_135rocblas_gemm_batched_general_kernelIfLi16ELi16ELi32ELi32ELi8ELi32ELi8ELi8ELi32ELc84ELc78EKPKfS3_KPfEEvlllT_PT11_llS8_llS6_PT12_llPT13_lli.has_recursion, 0
	.set _ZN12_GLOBAL__N_135rocblas_gemm_batched_general_kernelIfLi16ELi16ELi32ELi32ELi8ELi32ELi8ELi8ELi32ELc84ELc78EKPKfS3_KPfEEvlllT_PT11_llS8_llS6_PT12_llPT13_lli.has_indirect_call, 0
	.section	.AMDGPU.csdata,"",@progbits
; Kernel info:
; codeLenInByte = 2240
; TotalNumSgprs: 44
; NumVgprs: 57
; ScratchSize: 0
; MemoryBound: 0
; FloatMode: 240
; IeeeMode: 1
; LDSByteSize: 2048 bytes/workgroup (compile time only)
; SGPRBlocks: 0
; VGPRBlocks: 7
; NumSGPRsForWavesPerEU: 44
; NumVGPRsForWavesPerEU: 57
; Occupancy: 16
; WaveLimiterHint : 1
; COMPUTE_PGM_RSRC2:SCRATCH_EN: 0
; COMPUTE_PGM_RSRC2:USER_SGPR: 2
; COMPUTE_PGM_RSRC2:TRAP_HANDLER: 0
; COMPUTE_PGM_RSRC2:TGID_X_EN: 1
; COMPUTE_PGM_RSRC2:TGID_Y_EN: 1
; COMPUTE_PGM_RSRC2:TGID_Z_EN: 1
; COMPUTE_PGM_RSRC2:TIDIG_COMP_CNT: 1
	.section	.text._ZN12_GLOBAL__N_135rocblas_gemm_batched_general_kernelIfLi16ELi16ELi32ELi32ELi8ELi32ELi8ELi8ELi32ELc78ELc84EKPKfS3_KPfEEvlllT_PT11_llS8_llS6_PT12_llPT13_lli,"axG",@progbits,_ZN12_GLOBAL__N_135rocblas_gemm_batched_general_kernelIfLi16ELi16ELi32ELi32ELi8ELi32ELi8ELi8ELi32ELc78ELc84EKPKfS3_KPfEEvlllT_PT11_llS8_llS6_PT12_llPT13_lli,comdat
	.globl	_ZN12_GLOBAL__N_135rocblas_gemm_batched_general_kernelIfLi16ELi16ELi32ELi32ELi8ELi32ELi8ELi8ELi32ELc78ELc84EKPKfS3_KPfEEvlllT_PT11_llS8_llS6_PT12_llPT13_lli ; -- Begin function _ZN12_GLOBAL__N_135rocblas_gemm_batched_general_kernelIfLi16ELi16ELi32ELi32ELi8ELi32ELi8ELi8ELi32ELc78ELc84EKPKfS3_KPfEEvlllT_PT11_llS8_llS6_PT12_llPT13_lli
	.p2align	8
	.type	_ZN12_GLOBAL__N_135rocblas_gemm_batched_general_kernelIfLi16ELi16ELi32ELi32ELi8ELi32ELi8ELi8ELi32ELc78ELc84EKPKfS3_KPfEEvlllT_PT11_llS8_llS6_PT12_llPT13_lli,@function
_ZN12_GLOBAL__N_135rocblas_gemm_batched_general_kernelIfLi16ELi16ELi32ELi32ELi8ELi32ELi8ELi8ELi32ELc78ELc84EKPKfS3_KPfEEvlllT_PT11_llS8_llS6_PT12_llPT13_lli: ; @_ZN12_GLOBAL__N_135rocblas_gemm_batched_general_kernelIfLi16ELi16ELi32ELi32ELi8ELi32ELi8ELi8ELi32ELc78ELc84EKPKfS3_KPfEEvlllT_PT11_llS8_llS6_PT12_llPT13_lli
; %bb.0:
	s_load_b32 s33, s[0:1], 0x88
	s_lshr_b32 s34, ttmp7, 16
	s_wait_kmcnt 0x0
	s_cmp_ge_i32 s34, s33
	s_cbranch_scc1 .LBB196_34
; %bb.1:
	s_mov_b32 s40, ttmp9
	s_ashr_i32 s41, ttmp9, 31
	v_bfe_u32 v4, v0, 10, 10
	s_lshl_b64 s[2:3], s[40:41], 5
	v_and_b32_e32 v6, 0x3ff, v0
	s_clause 0x6
	s_load_b128 s[4:7], s[0:1], 0x0
	s_load_b96 s[36:38], s[0:1], 0x10
	s_load_b256 s[8:15], s[0:1], 0x20
	s_load_b128 s[28:31], s[0:1], 0x40
	s_load_b32 s39, s[0:1], 0x50
	s_load_b128 s[24:27], s[0:1], 0x78
	s_load_b256 s[16:23], s[0:1], 0x58
	s_and_b32 s43, ttmp7, 0xffff
	v_dual_mov_b32 v16, 0 :: v_dual_and_b32 v15, 7, v0
	v_lshl_add_u32 v1, v4, 4, v6
	s_lshl_b32 s42, s43, 5
	v_lshl_add_u32 v20, v4, 5, 0x400
	s_delay_alu instid0(VALU_DEP_3)
	v_lshlrev_b32_e32 v5, 2, v15
	s_mov_b32 s35, 0
	v_and_b32_e32 v2, 31, v1
	v_lshrrev_b32_e32 v23, 3, v1
	v_lshrrev_b32_e32 v14, 5, v1
	v_mov_b32_e32 v1, s3
	v_lshlrev_b32_e32 v19, 2, v6
	v_or_b32_e32 v0, s2, v2
	v_lshlrev_b32_e32 v24, 2, v2
	v_add_co_u32 v2, s0, v23, s42
	s_delay_alu instid0(VALU_DEP_1)
	v_add_co_ci_u32_e64 v3, null, 0, 0, s0
	v_add_co_u32 v4, s42, s42, v4
	s_wait_kmcnt 0x0
	v_cmp_gt_i64_e64 s0, s[4:5], v[0:1]
	v_add_co_u32 v0, s2, s2, v6
	s_wait_alu 0xf1ff
	v_add_co_ci_u32_e64 v1, null, s3, 0, s2
	v_cmp_gt_i64_e64 s1, s[6:7], v[2:3]
	v_mad_co_u64_u32 v[2:3], null, v4, s24, 0
	v_add_co_u32 v8, vcc_lo, v0, 16
	s_delay_alu instid0(VALU_DEP_1) | instskip(SKIP_3) | instid1(VALU_DEP_4)
	v_add_co_ci_u32_e64 v9, null, 0, v1, vcc_lo
	v_mad_co_u64_u32 v[6:7], null, s28, v15, 0
	v_mad_co_u64_u32 v[10:11], null, v4, s18, 0
	v_cmp_gt_i64_e64 s3, s[4:5], v[0:1]
	v_cmp_gt_i64_e64 s4, s[4:5], v[8:9]
	v_mad_co_u64_u32 v[8:9], null, v4, s25, v[3:4]
	v_lshl_or_b32 v5, v23, 5, v5
	v_add_co_u32 v21, vcc_lo, v4, 16
	v_mov_b32_e32 v3, v11
	s_cmp_eq_f32 s39, 0
	s_delay_alu instid0(VALU_DEP_4)
	v_mad_co_u64_u32 v[11:12], null, s29, v15, v[7:8]
	v_mad_co_u64_u32 v[12:13], null, s10, v14, 0
	v_add_nc_u32_e32 v18, 0x400, v5
	v_add_co_ci_u32_e64 v5, null, 0, 0, s42
	s_cselect_b32 s42, -1, 0
	v_mov_b32_e32 v7, v11
	s_lshl_b64 s[30:31], s[30:31], 2
	v_cmp_gt_i64_e64 s2, s[6:7], v[4:5]
	s_wait_alu 0xfffd
	v_add_co_ci_u32_e64 v22, null, 0, v5, vcc_lo
	v_mad_co_u64_u32 v[4:5], null, v4, s19, v[3:4]
	v_mov_b32_e32 v5, v13
	v_mov_b32_e32 v3, v8
	s_delay_alu instid0(VALU_DEP_4)
	v_cmp_gt_i64_e64 s5, s[6:7], v[21:22]
	s_lshl_b64 s[6:7], s[24:25], 4
	s_lshl_b32 s24, s43, 7
	v_mad_co_u64_u32 v[8:9], null, s11, v14, v[5:6]
	v_mov_b32_e32 v11, v4
	s_mov_b32 s25, s35
	s_lshl_b64 s[44:45], s[18:19], 4
	s_wait_alu 0xfffe
	s_add_nc_u64 s[18:19], s[30:31], s[24:25]
	s_lshl_b64 s[12:13], s[12:13], 2
	v_lshl_or_b32 v17, v14, 7, v24
	v_dual_mov_b32 v13, v8 :: v_dual_lshlrev_b32 v8, 2, v23
	v_lshlrev_b64_e32 v[4:5], 2, v[6:7]
	s_lshl_b64 s[10:11], s[10:11], 5
	s_lshl_b64 s[20:21], s[20:21], 2
	;; [unrolled: 1-line block ×3, first 2 shown]
	s_wait_alu 0xfffe
	s_delay_alu instid0(VALU_DEP_1)
	v_add_co_u32 v6, vcc_lo, s18, v4
	s_wait_alu 0xfffd
	v_add_co_ci_u32_e64 v7, null, s19, v5, vcc_lo
	v_lshlrev_b64_e32 v[4:5], 2, v[12:13]
	s_lshl_b64 s[18:19], s[40:41], 7
	v_add_co_u32 v21, vcc_lo, v6, v8
	s_wait_alu 0xfffe
	s_add_nc_u64 s[12:13], s[12:13], s[18:19]
	s_wait_alu 0xfffd
	v_add_co_ci_u32_e64 v22, null, 0, v7, vcc_lo
	v_add_co_u32 v4, vcc_lo, s12, v4
	s_wait_alu 0xfffd
	v_add_co_ci_u32_e64 v5, null, s13, v5, vcc_lo
	s_lshl_b64 s[12:13], s[28:29], 5
	v_add_co_u32 v23, vcc_lo, v4, v24
	s_wait_alu 0xfffd
	v_add_co_ci_u32_e64 v24, null, 0, v5, vcc_lo
	v_lshlrev_b64_e32 v[4:5], 2, v[10:11]
	v_cmp_gt_i64_e64 s28, s[36:37], 0
	s_lshl_b64 s[18:19], s[26:27], 2
	s_branch .LBB196_4
.LBB196_2:                              ;   in Loop: Header=BB196_4 Depth=1
	s_wait_alu 0xfffe
	s_or_b32 exec_lo, exec_lo, s26
.LBB196_3:                              ;   in Loop: Header=BB196_4 Depth=1
	s_add_co_i32 s34, s34, 0x10000
	s_delay_alu instid0(SALU_CYCLE_1)
	s_cmp_lt_i32 s34, s33
	s_cbranch_scc0 .LBB196_34
.LBB196_4:                              ; =>This Loop Header: Depth=1
                                        ;     Child Loop BB196_7 Depth 2
	s_lshl_b64 s[26:27], s[34:35], 3
	v_dual_mov_b32 v28, 0 :: v_dual_mov_b32 v27, 0
	s_wait_alu 0xfffe
	s_add_nc_u64 s[30:31], s[16:17], s[26:27]
	s_add_nc_u64 s[40:41], s[22:23], s[26:27]
	s_clause 0x1
	global_load_b64 v[6:7], v16, s[30:31]
	global_load_b64 v[8:9], v16, s[40:41]
	v_dual_mov_b32 v26, 0 :: v_dual_mov_b32 v25, 0
	s_and_not1_b32 vcc_lo, exec_lo, s28
	s_wait_alu 0xfffe
	s_cbranch_vccnz .LBB196_11
; %bb.5:                                ;   in Loop: Header=BB196_4 Depth=1
	s_add_nc_u64 s[30:31], s[14:15], s[26:27]
	s_add_nc_u64 s[26:27], s[8:9], s[26:27]
	s_clause 0x1
	global_load_b64 v[10:11], v16, s[30:31]
	global_load_b64 v[12:13], v16, s[26:27]
	v_dual_mov_b32 v25, 0 :: v_dual_mov_b32 v26, 0
	v_dual_mov_b32 v27, 0 :: v_dual_mov_b32 v28, 0
	s_mov_b64 s[26:27], 0
	s_wait_loadcnt 0x1
	v_add_co_u32 v10, vcc_lo, v10, v21
	s_wait_alu 0xfffd
	v_add_co_ci_u32_e64 v11, null, v11, v22, vcc_lo
	s_wait_loadcnt 0x0
	v_add_co_u32 v12, vcc_lo, v12, v23
	s_wait_alu 0xfffd
	v_add_co_ci_u32_e64 v13, null, v13, v24, vcc_lo
	s_branch .LBB196_7
.LBB196_6:                              ;   in Loop: Header=BB196_7 Depth=2
	s_wait_alu 0xfffe
	s_or_b32 exec_lo, exec_lo, s29
	s_wait_loadcnt_dscnt 0x0
	ds_store_b32 v18, v30
	s_wait_dscnt 0x0
	s_barrier_signal -1
	s_barrier_wait -1
	global_inv scope:SCOPE_SE
	ds_load_b128 v[29:32], v20
	ds_load_2addr_b32 v[45:46], v19 offset1:16
	ds_load_b128 v[33:36], v20 offset:512
	ds_load_2addr_b32 v[47:48], v19 offset0:32 offset1:48
	ds_load_2addr_b32 v[49:50], v19 offset0:64 offset1:80
	;; [unrolled: 1-line block ×3, first 2 shown]
	ds_load_b128 v[37:40], v20 offset:16
	ds_load_2addr_b32 v[53:54], v19 offset0:128 offset1:144
	ds_load_b128 v[41:44], v20 offset:528
	ds_load_2addr_b32 v[55:56], v19 offset0:160 offset1:176
	s_add_nc_u64 s[26:27], s[26:27], 8
	v_add_co_u32 v10, vcc_lo, v10, s12
	s_wait_alu 0xfffe
	v_cmp_lt_i64_e64 s29, s[26:27], s[36:37]
	s_wait_alu 0xfffd
	v_add_co_ci_u32_e64 v11, null, s13, v11, vcc_lo
	v_add_co_u32 v12, vcc_lo, v12, s10
	s_wait_alu 0xfffd
	v_add_co_ci_u32_e64 v13, null, s11, v13, vcc_lo
	s_and_b32 vcc_lo, exec_lo, s29
	s_wait_dscnt 0x8
	v_fmac_f32_e32 v27, v46, v29
	v_fmac_f32_e32 v28, v45, v29
	s_wait_dscnt 0x7
	v_fmac_f32_e32 v25, v46, v33
	v_fmac_f32_e32 v26, v45, v33
	ds_load_2addr_b32 v[45:46], v19 offset0:192 offset1:208
	s_wait_dscnt 0x7
	v_fmac_f32_e32 v27, v48, v30
	v_fmac_f32_e32 v28, v47, v30
	;; [unrolled: 1-line block ×4, first 2 shown]
	ds_load_2addr_b32 v[29:30], v19 offset0:224 offset1:240
	s_wait_dscnt 0x7
	v_fmac_f32_e32 v27, v50, v31
	v_fmac_f32_e32 v28, v49, v31
	;; [unrolled: 1-line block ×4, first 2 shown]
	s_wait_loadcnt_dscnt 0x0
	v_fmac_f32_e32 v27, v52, v32
	v_fmac_f32_e32 v28, v51, v32
	;; [unrolled: 1-line block ×4, first 2 shown]
	s_barrier_signal -1
	v_fmac_f32_e32 v27, v54, v37
	v_fmac_f32_e32 v28, v53, v37
	;; [unrolled: 1-line block ×4, first 2 shown]
	s_barrier_wait -1
	v_fmac_f32_e32 v27, v56, v38
	v_fmac_f32_e32 v28, v55, v38
	;; [unrolled: 1-line block ×4, first 2 shown]
	global_inv scope:SCOPE_SE
	v_fmac_f32_e32 v27, v46, v39
	v_fmac_f32_e32 v28, v45, v39
	;; [unrolled: 1-line block ×3, first 2 shown]
	s_delay_alu instid0(VALU_DEP_3) | instskip(NEXT) | instid1(VALU_DEP_3)
	v_dual_fmac_f32 v26, v45, v43 :: v_dual_fmac_f32 v27, v30, v40
	v_fmac_f32_e32 v28, v29, v40
	s_delay_alu instid0(VALU_DEP_3) | instskip(NEXT) | instid1(VALU_DEP_3)
	v_fmac_f32_e32 v25, v30, v44
	v_fmac_f32_e32 v26, v29, v44
	s_wait_alu 0xfffe
	s_cbranch_vccz .LBB196_11
.LBB196_7:                              ;   Parent Loop BB196_4 Depth=1
                                        ; =>  This Inner Loop Header: Depth=2
	s_wait_alu 0xfffe
	v_add_co_u32 v29, s29, v14, s26
	s_wait_alu 0xf1ff
	v_add_co_ci_u32_e64 v30, null, 0, s27, s29
	s_delay_alu instid0(VALU_DEP_1)
	v_cmp_gt_i64_e32 vcc_lo, s[36:37], v[29:30]
	v_mov_b32_e32 v29, 0
	s_and_b32 s30, s0, vcc_lo
	s_wait_alu 0xfffe
	s_and_saveexec_b32 s29, s30
	s_cbranch_execz .LBB196_9
; %bb.8:                                ;   in Loop: Header=BB196_7 Depth=2
	flat_load_b32 v29, v[12:13]
.LBB196_9:                              ;   in Loop: Header=BB196_7 Depth=2
	s_wait_alu 0xfffe
	s_or_b32 exec_lo, exec_lo, s29
	v_add_co_u32 v30, s29, v15, s26
	s_wait_alu 0xf1ff
	v_add_co_ci_u32_e64 v31, null, 0, s27, s29
	s_wait_loadcnt_dscnt 0x0
	ds_store_b32 v17, v29
	v_cmp_gt_i64_e32 vcc_lo, s[36:37], v[30:31]
	v_mov_b32_e32 v30, 0
	s_and_b32 s30, vcc_lo, s1
	s_wait_alu 0xfffe
	s_and_saveexec_b32 s29, s30
	s_cbranch_execz .LBB196_6
; %bb.10:                               ;   in Loop: Header=BB196_7 Depth=2
	flat_load_b32 v30, v[10:11]
	s_branch .LBB196_6
.LBB196_11:                             ;   in Loop: Header=BB196_4 Depth=1
	s_wait_loadcnt 0x0
	v_add_co_u32 v10, vcc_lo, v8, s18
	s_wait_alu 0xfffd
	v_add_co_ci_u32_e64 v11, null, s19, v9, vcc_lo
	s_and_not1_b32 vcc_lo, exec_lo, s42
	s_wait_alu 0xfffe
	s_cbranch_vccnz .LBB196_16
; %bb.12:                               ;   in Loop: Header=BB196_4 Depth=1
	s_and_saveexec_b32 s26, s2
	s_cbranch_execz .LBB196_23
; %bb.13:                               ;   in Loop: Header=BB196_4 Depth=1
	v_lshlrev_b64_e32 v[8:9], 2, v[2:3]
	s_delay_alu instid0(VALU_DEP_1) | instskip(SKIP_1) | instid1(VALU_DEP_2)
	v_add_co_u32 v8, vcc_lo, v10, v8
	s_wait_alu 0xfffd
	v_add_co_ci_u32_e64 v9, null, v11, v9, vcc_lo
	s_and_saveexec_b32 s27, s3
	s_cbranch_execnz .LBB196_17
; %bb.14:                               ;   in Loop: Header=BB196_4 Depth=1
	s_wait_alu 0xfffe
	s_or_b32 exec_lo, exec_lo, s27
	s_and_saveexec_b32 s27, s4
	s_cbranch_execnz .LBB196_18
.LBB196_15:                             ;   in Loop: Header=BB196_4 Depth=1
	s_wait_alu 0xfffe
	s_or_b32 exec_lo, exec_lo, s27
	s_delay_alu instid0(SALU_CYCLE_1)
	s_and_b32 exec_lo, exec_lo, s5
	s_cbranch_execnz .LBB196_19
	s_branch .LBB196_23
.LBB196_16:                             ;   in Loop: Header=BB196_4 Depth=1
	s_branch .LBB196_24
.LBB196_17:                             ;   in Loop: Header=BB196_4 Depth=1
	v_lshlrev_b64_e32 v[12:13], 2, v[0:1]
	v_mul_f32_e32 v29, s38, v28
	s_delay_alu instid0(VALU_DEP_2) | instskip(SKIP_1) | instid1(VALU_DEP_3)
	v_add_co_u32 v12, vcc_lo, v8, v12
	s_wait_alu 0xfffd
	v_add_co_ci_u32_e64 v13, null, v9, v13, vcc_lo
	flat_store_b32 v[12:13], v29
	s_wait_alu 0xfffe
	s_or_b32 exec_lo, exec_lo, s27
	s_and_saveexec_b32 s27, s4
	s_cbranch_execz .LBB196_15
.LBB196_18:                             ;   in Loop: Header=BB196_4 Depth=1
	v_lshlrev_b64_e32 v[12:13], 2, v[0:1]
	v_mul_f32_e32 v29, s38, v27
	s_delay_alu instid0(VALU_DEP_2) | instskip(SKIP_1) | instid1(VALU_DEP_3)
	v_add_co_u32 v12, vcc_lo, v8, v12
	s_wait_alu 0xfffd
	v_add_co_ci_u32_e64 v13, null, v9, v13, vcc_lo
	flat_store_b32 v[12:13], v29 offset:64
	s_wait_alu 0xfffe
	s_or_b32 exec_lo, exec_lo, s27
	s_delay_alu instid0(SALU_CYCLE_1)
	s_and_b32 exec_lo, exec_lo, s5
	s_cbranch_execz .LBB196_23
.LBB196_19:                             ;   in Loop: Header=BB196_4 Depth=1
	s_lshl_b64 s[30:31], s[6:7], 2
	v_lshlrev_b64_e32 v[12:13], 2, v[0:1]
	s_wait_alu 0xfffe
	v_add_co_u32 v8, vcc_lo, v8, s30
	s_wait_alu 0xfffd
	v_add_co_ci_u32_e64 v9, null, s31, v9, vcc_lo
	s_delay_alu instid0(VALU_DEP_2) | instskip(SKIP_1) | instid1(VALU_DEP_2)
	v_add_co_u32 v8, vcc_lo, v8, v12
	s_wait_alu 0xfffd
	v_add_co_ci_u32_e64 v9, null, v9, v13, vcc_lo
	s_and_saveexec_b32 s27, s3
	s_cbranch_execz .LBB196_21
; %bb.20:                               ;   in Loop: Header=BB196_4 Depth=1
	v_mul_f32_e32 v12, s38, v26
	flat_store_b32 v[8:9], v12
.LBB196_21:                             ;   in Loop: Header=BB196_4 Depth=1
	s_wait_alu 0xfffe
	s_or_b32 exec_lo, exec_lo, s27
	s_delay_alu instid0(SALU_CYCLE_1)
	s_and_b32 exec_lo, exec_lo, s4
	s_cbranch_execz .LBB196_23
; %bb.22:                               ;   in Loop: Header=BB196_4 Depth=1
	v_mul_f32_e32 v12, s38, v25
	flat_store_b32 v[8:9], v12 offset:64
.LBB196_23:                             ;   in Loop: Header=BB196_4 Depth=1
	s_wait_alu 0xfffe
	s_or_b32 exec_lo, exec_lo, s26
	s_cbranch_execnz .LBB196_3
.LBB196_24:                             ;   in Loop: Header=BB196_4 Depth=1
	s_and_saveexec_b32 s26, s2
	s_cbranch_execz .LBB196_2
; %bb.25:                               ;   in Loop: Header=BB196_4 Depth=1
	v_add_co_u32 v6, vcc_lo, v6, s20
	v_lshlrev_b64_e32 v[12:13], 2, v[2:3]
	s_wait_alu 0xfffd
	v_add_co_ci_u32_e64 v7, null, s21, v7, vcc_lo
	s_delay_alu instid0(VALU_DEP_3) | instskip(SKIP_1) | instid1(VALU_DEP_2)
	v_add_co_u32 v8, vcc_lo, v6, v4
	s_wait_alu 0xfffd
	v_add_co_ci_u32_e64 v9, null, v7, v5, vcc_lo
	v_add_co_u32 v10, vcc_lo, v10, v12
	v_lshlrev_b64_e32 v[6:7], 2, v[0:1]
	s_wait_alu 0xfffd
	v_add_co_ci_u32_e64 v11, null, v11, v13, vcc_lo
	s_and_saveexec_b32 s27, s3
	s_cbranch_execnz .LBB196_28
; %bb.26:                               ;   in Loop: Header=BB196_4 Depth=1
	s_wait_alu 0xfffe
	s_or_b32 exec_lo, exec_lo, s27
	s_and_saveexec_b32 s27, s4
	s_cbranch_execnz .LBB196_29
.LBB196_27:                             ;   in Loop: Header=BB196_4 Depth=1
	s_wait_alu 0xfffe
	s_or_b32 exec_lo, exec_lo, s27
	s_delay_alu instid0(SALU_CYCLE_1)
	s_and_b32 exec_lo, exec_lo, s5
	s_cbranch_execz .LBB196_2
	s_branch .LBB196_30
.LBB196_28:                             ;   in Loop: Header=BB196_4 Depth=1
	v_add_co_u32 v12, vcc_lo, v8, v6
	s_wait_alu 0xfffd
	v_add_co_ci_u32_e64 v13, null, v9, v7, vcc_lo
	flat_load_b32 v12, v[12:13]
	s_wait_loadcnt_dscnt 0x0
	v_mul_f32_e32 v29, s39, v12
	v_add_co_u32 v12, vcc_lo, v10, v6
	s_wait_alu 0xfffd
	v_add_co_ci_u32_e64 v13, null, v11, v7, vcc_lo
	s_delay_alu instid0(VALU_DEP_3)
	v_fmac_f32_e32 v29, s38, v28
	flat_store_b32 v[12:13], v29
	s_wait_alu 0xfffe
	s_or_b32 exec_lo, exec_lo, s27
	s_and_saveexec_b32 s27, s4
	s_cbranch_execz .LBB196_27
.LBB196_29:                             ;   in Loop: Header=BB196_4 Depth=1
	v_add_co_u32 v12, vcc_lo, v8, v6
	s_wait_alu 0xfffd
	v_add_co_ci_u32_e64 v13, null, v9, v7, vcc_lo
	flat_load_b32 v12, v[12:13] offset:64
	s_wait_loadcnt_dscnt 0x0
	v_mul_f32_e32 v28, s39, v12
	v_add_co_u32 v12, vcc_lo, v10, v6
	s_wait_alu 0xfffd
	v_add_co_ci_u32_e64 v13, null, v11, v7, vcc_lo
	s_delay_alu instid0(VALU_DEP_3) | instskip(SKIP_3) | instid1(SALU_CYCLE_1)
	v_fmac_f32_e32 v28, s38, v27
	flat_store_b32 v[12:13], v28 offset:64
	s_wait_alu 0xfffe
	s_or_b32 exec_lo, exec_lo, s27
	s_and_b32 exec_lo, exec_lo, s5
	s_cbranch_execz .LBB196_2
.LBB196_30:                             ;   in Loop: Header=BB196_4 Depth=1
	v_add_co_u32 v8, vcc_lo, v8, s24
	s_lshl_b64 s[30:31], s[6:7], 2
	s_wait_alu 0xfffd
	v_add_co_ci_u32_e64 v9, null, s25, v9, vcc_lo
	s_wait_alu 0xfffe
	v_add_co_u32 v10, vcc_lo, v10, s30
	s_wait_alu 0xfffd
	v_add_co_ci_u32_e64 v11, null, s31, v11, vcc_lo
	v_add_co_u32 v8, vcc_lo, v8, v6
	s_wait_alu 0xfffd
	v_add_co_ci_u32_e64 v9, null, v9, v7, vcc_lo
	;; [unrolled: 3-line block ×3, first 2 shown]
	s_and_saveexec_b32 s27, s3
	s_cbranch_execz .LBB196_32
; %bb.31:                               ;   in Loop: Header=BB196_4 Depth=1
	flat_load_b32 v10, v[8:9]
	s_wait_loadcnt_dscnt 0x0
	v_mul_f32_e32 v10, s39, v10
	s_delay_alu instid0(VALU_DEP_1)
	v_fmac_f32_e32 v10, s38, v26
	flat_store_b32 v[6:7], v10
.LBB196_32:                             ;   in Loop: Header=BB196_4 Depth=1
	s_wait_alu 0xfffe
	s_or_b32 exec_lo, exec_lo, s27
	s_delay_alu instid0(SALU_CYCLE_1)
	s_and_b32 exec_lo, exec_lo, s4
	s_cbranch_execz .LBB196_2
; %bb.33:                               ;   in Loop: Header=BB196_4 Depth=1
	flat_load_b32 v8, v[8:9] offset:64
	s_wait_loadcnt_dscnt 0x0
	v_mul_f32_e32 v8, s39, v8
	s_delay_alu instid0(VALU_DEP_1)
	v_fmac_f32_e32 v8, s38, v25
	flat_store_b32 v[6:7], v8 offset:64
	s_branch .LBB196_2
.LBB196_34:
	s_endpgm
	.section	.rodata,"a",@progbits
	.p2align	6, 0x0
	.amdhsa_kernel _ZN12_GLOBAL__N_135rocblas_gemm_batched_general_kernelIfLi16ELi16ELi32ELi32ELi8ELi32ELi8ELi8ELi32ELc78ELc84EKPKfS3_KPfEEvlllT_PT11_llS8_llS6_PT12_llPT13_lli
		.amdhsa_group_segment_fixed_size 2048
		.amdhsa_private_segment_fixed_size 0
		.amdhsa_kernarg_size 140
		.amdhsa_user_sgpr_count 2
		.amdhsa_user_sgpr_dispatch_ptr 0
		.amdhsa_user_sgpr_queue_ptr 0
		.amdhsa_user_sgpr_kernarg_segment_ptr 1
		.amdhsa_user_sgpr_dispatch_id 0
		.amdhsa_user_sgpr_private_segment_size 0
		.amdhsa_wavefront_size32 1
		.amdhsa_uses_dynamic_stack 0
		.amdhsa_enable_private_segment 0
		.amdhsa_system_sgpr_workgroup_id_x 1
		.amdhsa_system_sgpr_workgroup_id_y 1
		.amdhsa_system_sgpr_workgroup_id_z 1
		.amdhsa_system_sgpr_workgroup_info 0
		.amdhsa_system_vgpr_workitem_id 1
		.amdhsa_next_free_vgpr 57
		.amdhsa_next_free_sgpr 46
		.amdhsa_reserve_vcc 1
		.amdhsa_float_round_mode_32 0
		.amdhsa_float_round_mode_16_64 0
		.amdhsa_float_denorm_mode_32 3
		.amdhsa_float_denorm_mode_16_64 3
		.amdhsa_fp16_overflow 0
		.amdhsa_workgroup_processor_mode 1
		.amdhsa_memory_ordered 1
		.amdhsa_forward_progress 1
		.amdhsa_inst_pref_size 18
		.amdhsa_round_robin_scheduling 0
		.amdhsa_exception_fp_ieee_invalid_op 0
		.amdhsa_exception_fp_denorm_src 0
		.amdhsa_exception_fp_ieee_div_zero 0
		.amdhsa_exception_fp_ieee_overflow 0
		.amdhsa_exception_fp_ieee_underflow 0
		.amdhsa_exception_fp_ieee_inexact 0
		.amdhsa_exception_int_div_zero 0
	.end_amdhsa_kernel
	.section	.text._ZN12_GLOBAL__N_135rocblas_gemm_batched_general_kernelIfLi16ELi16ELi32ELi32ELi8ELi32ELi8ELi8ELi32ELc78ELc84EKPKfS3_KPfEEvlllT_PT11_llS8_llS6_PT12_llPT13_lli,"axG",@progbits,_ZN12_GLOBAL__N_135rocblas_gemm_batched_general_kernelIfLi16ELi16ELi32ELi32ELi8ELi32ELi8ELi8ELi32ELc78ELc84EKPKfS3_KPfEEvlllT_PT11_llS8_llS6_PT12_llPT13_lli,comdat
.Lfunc_end196:
	.size	_ZN12_GLOBAL__N_135rocblas_gemm_batched_general_kernelIfLi16ELi16ELi32ELi32ELi8ELi32ELi8ELi8ELi32ELc78ELc84EKPKfS3_KPfEEvlllT_PT11_llS8_llS6_PT12_llPT13_lli, .Lfunc_end196-_ZN12_GLOBAL__N_135rocblas_gemm_batched_general_kernelIfLi16ELi16ELi32ELi32ELi8ELi32ELi8ELi8ELi32ELc78ELc84EKPKfS3_KPfEEvlllT_PT11_llS8_llS6_PT12_llPT13_lli
                                        ; -- End function
	.set _ZN12_GLOBAL__N_135rocblas_gemm_batched_general_kernelIfLi16ELi16ELi32ELi32ELi8ELi32ELi8ELi8ELi32ELc78ELc84EKPKfS3_KPfEEvlllT_PT11_llS8_llS6_PT12_llPT13_lli.num_vgpr, 57
	.set _ZN12_GLOBAL__N_135rocblas_gemm_batched_general_kernelIfLi16ELi16ELi32ELi32ELi8ELi32ELi8ELi8ELi32ELc78ELc84EKPKfS3_KPfEEvlllT_PT11_llS8_llS6_PT12_llPT13_lli.num_agpr, 0
	.set _ZN12_GLOBAL__N_135rocblas_gemm_batched_general_kernelIfLi16ELi16ELi32ELi32ELi8ELi32ELi8ELi8ELi32ELc78ELc84EKPKfS3_KPfEEvlllT_PT11_llS8_llS6_PT12_llPT13_lli.numbered_sgpr, 46
	.set _ZN12_GLOBAL__N_135rocblas_gemm_batched_general_kernelIfLi16ELi16ELi32ELi32ELi8ELi32ELi8ELi8ELi32ELc78ELc84EKPKfS3_KPfEEvlllT_PT11_llS8_llS6_PT12_llPT13_lli.num_named_barrier, 0
	.set _ZN12_GLOBAL__N_135rocblas_gemm_batched_general_kernelIfLi16ELi16ELi32ELi32ELi8ELi32ELi8ELi8ELi32ELc78ELc84EKPKfS3_KPfEEvlllT_PT11_llS8_llS6_PT12_llPT13_lli.private_seg_size, 0
	.set _ZN12_GLOBAL__N_135rocblas_gemm_batched_general_kernelIfLi16ELi16ELi32ELi32ELi8ELi32ELi8ELi8ELi32ELc78ELc84EKPKfS3_KPfEEvlllT_PT11_llS8_llS6_PT12_llPT13_lli.uses_vcc, 1
	.set _ZN12_GLOBAL__N_135rocblas_gemm_batched_general_kernelIfLi16ELi16ELi32ELi32ELi8ELi32ELi8ELi8ELi32ELc78ELc84EKPKfS3_KPfEEvlllT_PT11_llS8_llS6_PT12_llPT13_lli.uses_flat_scratch, 0
	.set _ZN12_GLOBAL__N_135rocblas_gemm_batched_general_kernelIfLi16ELi16ELi32ELi32ELi8ELi32ELi8ELi8ELi32ELc78ELc84EKPKfS3_KPfEEvlllT_PT11_llS8_llS6_PT12_llPT13_lli.has_dyn_sized_stack, 0
	.set _ZN12_GLOBAL__N_135rocblas_gemm_batched_general_kernelIfLi16ELi16ELi32ELi32ELi8ELi32ELi8ELi8ELi32ELc78ELc84EKPKfS3_KPfEEvlllT_PT11_llS8_llS6_PT12_llPT13_lli.has_recursion, 0
	.set _ZN12_GLOBAL__N_135rocblas_gemm_batched_general_kernelIfLi16ELi16ELi32ELi32ELi8ELi32ELi8ELi8ELi32ELc78ELc84EKPKfS3_KPfEEvlllT_PT11_llS8_llS6_PT12_llPT13_lli.has_indirect_call, 0
	.section	.AMDGPU.csdata,"",@progbits
; Kernel info:
; codeLenInByte = 2284
; TotalNumSgprs: 48
; NumVgprs: 57
; ScratchSize: 0
; MemoryBound: 0
; FloatMode: 240
; IeeeMode: 1
; LDSByteSize: 2048 bytes/workgroup (compile time only)
; SGPRBlocks: 0
; VGPRBlocks: 7
; NumSGPRsForWavesPerEU: 48
; NumVGPRsForWavesPerEU: 57
; Occupancy: 16
; WaveLimiterHint : 1
; COMPUTE_PGM_RSRC2:SCRATCH_EN: 0
; COMPUTE_PGM_RSRC2:USER_SGPR: 2
; COMPUTE_PGM_RSRC2:TRAP_HANDLER: 0
; COMPUTE_PGM_RSRC2:TGID_X_EN: 1
; COMPUTE_PGM_RSRC2:TGID_Y_EN: 1
; COMPUTE_PGM_RSRC2:TGID_Z_EN: 1
; COMPUTE_PGM_RSRC2:TIDIG_COMP_CNT: 1
	.section	.text._ZN12_GLOBAL__N_135rocblas_gemm_batched_general_kernelIfLi16ELi16ELi32ELi32ELi8ELi32ELi8ELi8ELi32ELc84ELc84EKPKfS3_KPfEEvlllT_PT11_llS8_llS6_PT12_llPT13_lli,"axG",@progbits,_ZN12_GLOBAL__N_135rocblas_gemm_batched_general_kernelIfLi16ELi16ELi32ELi32ELi8ELi32ELi8ELi8ELi32ELc84ELc84EKPKfS3_KPfEEvlllT_PT11_llS8_llS6_PT12_llPT13_lli,comdat
	.globl	_ZN12_GLOBAL__N_135rocblas_gemm_batched_general_kernelIfLi16ELi16ELi32ELi32ELi8ELi32ELi8ELi8ELi32ELc84ELc84EKPKfS3_KPfEEvlllT_PT11_llS8_llS6_PT12_llPT13_lli ; -- Begin function _ZN12_GLOBAL__N_135rocblas_gemm_batched_general_kernelIfLi16ELi16ELi32ELi32ELi8ELi32ELi8ELi8ELi32ELc84ELc84EKPKfS3_KPfEEvlllT_PT11_llS8_llS6_PT12_llPT13_lli
	.p2align	8
	.type	_ZN12_GLOBAL__N_135rocblas_gemm_batched_general_kernelIfLi16ELi16ELi32ELi32ELi8ELi32ELi8ELi8ELi32ELc84ELc84EKPKfS3_KPfEEvlllT_PT11_llS8_llS6_PT12_llPT13_lli,@function
_ZN12_GLOBAL__N_135rocblas_gemm_batched_general_kernelIfLi16ELi16ELi32ELi32ELi8ELi32ELi8ELi8ELi32ELc84ELc84EKPKfS3_KPfEEvlllT_PT11_llS8_llS6_PT12_llPT13_lli: ; @_ZN12_GLOBAL__N_135rocblas_gemm_batched_general_kernelIfLi16ELi16ELi32ELi32ELi8ELi32ELi8ELi8ELi32ELc84ELc84EKPKfS3_KPfEEvlllT_PT11_llS8_llS6_PT12_llPT13_lli
; %bb.0:
	s_load_b32 s33, s[0:1], 0x88
	s_lshr_b32 s34, ttmp7, 16
	s_wait_kmcnt 0x0
	s_cmp_ge_i32 s34, s33
	s_cbranch_scc1 .LBB197_34
; %bb.1:
	v_bfe_u32 v2, v0, 10, 10
	v_dual_mov_b32 v16, 0 :: v_dual_and_b32 v3, 0x3ff, v0
	s_clause 0x6
	s_load_b128 s[4:7], s[0:1], 0x0
	s_load_b96 s[36:38], s[0:1], 0x10
	s_load_b256 s[8:15], s[0:1], 0x20
	s_load_b128 s[28:31], s[0:1], 0x40
	s_load_b32 s39, s[0:1], 0x50
	s_load_b128 s[24:27], s[0:1], 0x78
	s_load_b256 s[16:23], s[0:1], 0x58
	s_mov_b32 s2, ttmp9
	v_lshl_add_u32 v1, v2, 4, v3
	s_ashr_i32 s3, ttmp9, 31
	s_and_b32 s43, ttmp7, 0xffff
	s_lshl_b64 s[40:41], s[2:3], 5
	s_lshl_b32 s2, s43, 5
	v_dual_mov_b32 v5, s41 :: v_dual_and_b32 v6, 31, v1
	v_lshrrev_b32_e32 v13, 3, v1
	v_and_b32_e32 v15, 7, v0
	v_lshrrev_b32_e32 v14, 5, v1
	s_delay_alu instid0(VALU_DEP_4) | instskip(SKIP_2) | instid1(VALU_DEP_1)
	v_or_b32_e32 v4, s40, v6
	v_lshl_add_u32 v20, v2, 5, 0x400
	v_add_co_u32 v0, s0, v13, s2
	v_add_co_ci_u32_e64 v1, null, 0, 0, s0
	s_wait_kmcnt 0x0
	v_cmp_gt_i64_e64 s0, s[4:5], v[4:5]
	v_add_co_u32 v5, s2, s2, v2
	v_lshlrev_b32_e32 v7, 2, v15
	v_cmp_gt_i64_e64 s1, s[6:7], v[0:1]
	v_add_co_u32 v2, s3, s40, v3
	s_delay_alu instid0(VALU_DEP_4) | instskip(NEXT) | instid1(VALU_DEP_4)
	v_mad_co_u64_u32 v[0:1], null, v5, s24, 0
	v_lshl_or_b32 v7, v13, 5, v7
	v_mad_co_u64_u32 v[9:10], null, s28, v15, 0
	s_delay_alu instid0(VALU_DEP_4)
	v_add_co_u32 v11, vcc_lo, v2, 16
	s_cmp_eq_f32 s39, 0
	v_mad_co_u64_u32 v[21:22], null, v5, s25, v[1:2]
	v_add_nc_u32_e32 v18, 0x400, v7
	v_mad_co_u64_u32 v[7:8], null, v5, s18, 0
	v_lshlrev_b32_e32 v6, 2, v6
	s_mov_b32 s35, 0
	s_cselect_b32 s42, -1, 0
	s_lshl_b64 s[30:31], s[30:31], 2
	s_delay_alu instid0(VALU_DEP_2) | instskip(SKIP_3) | instid1(VALU_DEP_3)
	v_dual_mov_b32 v1, v8 :: v_dual_mov_b32 v8, v10
	v_lshl_or_b32 v17, v14, 7, v6
	s_wait_alu 0xf1ff
	v_add_co_ci_u32_e64 v6, null, 0, 0, s2
	v_mad_co_u64_u32 v[24:25], null, s29, v15, v[8:9]
	v_lshlrev_b32_e32 v19, 2, v3
	v_add_co_ci_u32_e64 v3, null, s41, 0, s3
	s_delay_alu instid0(VALU_DEP_4) | instskip(NEXT) | instid1(VALU_DEP_2)
	v_cmp_gt_i64_e64 s2, s[6:7], v[5:6]
	v_add_co_ci_u32_e64 v12, null, 0, v3, vcc_lo
	v_add_co_u32 v22, vcc_lo, v5, 16
	s_wait_alu 0xfffd
	v_add_co_ci_u32_e64 v23, null, 0, v6, vcc_lo
	v_mad_co_u64_u32 v[5:6], null, v5, s19, v[1:2]
	v_mul_lo_u32 v6, s11, v4
	v_mov_b32_e32 v10, v24
	v_cmp_gt_i64_e64 s3, s[4:5], v[2:3]
	v_cmp_gt_i64_e64 s4, s[4:5], v[11:12]
	v_cmp_gt_i64_e64 s5, s[6:7], v[22:23]
	s_lshl_b64 s[6:7], s[24:25], 4
	v_mov_b32_e32 v8, v5
	v_mad_co_u64_u32 v[4:5], null, s10, v4, 0
	v_lshlrev_b64_e32 v[9:10], 2, v[9:10]
	s_mul_i32 s10, s10, s41
	s_lshl_b64 s[24:25], s[18:19], 4
	s_lshl_b32 s18, s43, 7
	s_mov_b32 s19, s35
	v_lshlrev_b32_e32 v11, 2, v13
	s_wait_alu 0xfffe
	v_add3_u32 v5, v5, s10, v6
	s_add_nc_u64 s[18:19], s[30:31], s[18:19]
	v_mov_b32_e32 v1, v21
	s_wait_alu 0xfffe
	v_add_co_u32 v6, vcc_lo, s18, v9
	v_lshlrev_b64_e32 v[4:5], 2, v[4:5]
	s_wait_alu 0xfffd
	v_add_co_ci_u32_e64 v9, null, s19, v10, vcc_lo
	s_delay_alu instid0(VALU_DEP_3)
	v_add_co_u32 v21, vcc_lo, v6, v11
	s_lshl_b64 s[10:11], s[12:13], 2
	s_wait_alu 0xfffd
	v_add_co_ci_u32_e64 v22, null, 0, v9, vcc_lo
	v_lshlrev_b32_e32 v6, 2, v14
	s_wait_alu 0xfffe
	v_add_co_u32 v4, vcc_lo, v4, s10
	s_wait_alu 0xfffd
	v_add_co_ci_u32_e64 v5, null, s11, v5, vcc_lo
	s_lshl_b64 s[10:11], s[28:29], 5
	v_add_co_u32 v23, vcc_lo, v4, v6
	s_wait_alu 0xfffd
	v_add_co_ci_u32_e64 v24, null, 0, v5, vcc_lo
	v_lshlrev_b64_e32 v[4:5], 2, v[7:8]
	v_cmp_gt_i64_e64 s28, s[36:37], 0
	s_lshl_b64 s[12:13], s[26:27], 2
	s_lshl_b64 s[18:19], s[20:21], 2
	;; [unrolled: 1-line block ×3, first 2 shown]
	s_branch .LBB197_4
.LBB197_2:                              ;   in Loop: Header=BB197_4 Depth=1
	s_wait_alu 0xfffe
	s_or_b32 exec_lo, exec_lo, s24
.LBB197_3:                              ;   in Loop: Header=BB197_4 Depth=1
	s_add_co_i32 s34, s34, 0x10000
	s_delay_alu instid0(SALU_CYCLE_1)
	s_cmp_lt_i32 s34, s33
	s_cbranch_scc0 .LBB197_34
.LBB197_4:                              ; =>This Loop Header: Depth=1
                                        ;     Child Loop BB197_7 Depth 2
	s_lshl_b64 s[24:25], s[34:35], 3
	v_dual_mov_b32 v28, 0 :: v_dual_mov_b32 v27, 0
	s_wait_alu 0xfffe
	s_add_nc_u64 s[26:27], s[16:17], s[24:25]
	s_add_nc_u64 s[30:31], s[22:23], s[24:25]
	s_clause 0x1
	global_load_b64 v[6:7], v16, s[26:27]
	global_load_b64 v[8:9], v16, s[30:31]
	v_dual_mov_b32 v26, 0 :: v_dual_mov_b32 v25, 0
	s_and_not1_b32 vcc_lo, exec_lo, s28
	s_wait_alu 0xfffe
	s_cbranch_vccnz .LBB197_11
; %bb.5:                                ;   in Loop: Header=BB197_4 Depth=1
	s_add_nc_u64 s[26:27], s[14:15], s[24:25]
	s_add_nc_u64 s[24:25], s[8:9], s[24:25]
	s_clause 0x1
	global_load_b64 v[10:11], v16, s[26:27]
	global_load_b64 v[12:13], v16, s[24:25]
	v_dual_mov_b32 v25, 0 :: v_dual_mov_b32 v26, 0
	v_dual_mov_b32 v27, 0 :: v_dual_mov_b32 v28, 0
	s_mov_b64 s[24:25], 0
	s_wait_loadcnt 0x1
	v_add_co_u32 v10, vcc_lo, v10, v21
	s_wait_alu 0xfffd
	v_add_co_ci_u32_e64 v11, null, v11, v22, vcc_lo
	s_wait_loadcnt 0x0
	v_add_co_u32 v12, vcc_lo, v12, v23
	s_wait_alu 0xfffd
	v_add_co_ci_u32_e64 v13, null, v13, v24, vcc_lo
	s_branch .LBB197_7
.LBB197_6:                              ;   in Loop: Header=BB197_7 Depth=2
	s_wait_alu 0xfffe
	s_or_b32 exec_lo, exec_lo, s26
	s_wait_loadcnt_dscnt 0x0
	ds_store_b32 v18, v30
	s_wait_dscnt 0x0
	s_barrier_signal -1
	s_barrier_wait -1
	global_inv scope:SCOPE_SE
	ds_load_b128 v[29:32], v20
	ds_load_2addr_b32 v[45:46], v19 offset1:16
	ds_load_b128 v[33:36], v20 offset:512
	ds_load_2addr_b32 v[47:48], v19 offset0:32 offset1:48
	ds_load_2addr_b32 v[49:50], v19 offset0:64 offset1:80
	;; [unrolled: 1-line block ×3, first 2 shown]
	ds_load_b128 v[37:40], v20 offset:16
	ds_load_2addr_b32 v[53:54], v19 offset0:128 offset1:144
	ds_load_b128 v[41:44], v20 offset:528
	ds_load_2addr_b32 v[55:56], v19 offset0:160 offset1:176
	s_add_nc_u64 s[24:25], s[24:25], 8
	v_add_co_u32 v10, vcc_lo, v10, s10
	s_wait_alu 0xfffe
	v_cmp_lt_i64_e64 s26, s[24:25], s[36:37]
	s_wait_alu 0xfffd
	v_add_co_ci_u32_e64 v11, null, s11, v11, vcc_lo
	v_add_co_u32 v12, vcc_lo, v12, 32
	s_wait_alu 0xfffd
	v_add_co_ci_u32_e64 v13, null, 0, v13, vcc_lo
	s_and_b32 vcc_lo, exec_lo, s26
	s_wait_dscnt 0x8
	v_fmac_f32_e32 v27, v46, v29
	v_fmac_f32_e32 v28, v45, v29
	s_wait_dscnt 0x7
	v_fmac_f32_e32 v25, v46, v33
	v_fmac_f32_e32 v26, v45, v33
	ds_load_2addr_b32 v[45:46], v19 offset0:192 offset1:208
	s_wait_dscnt 0x7
	v_fmac_f32_e32 v27, v48, v30
	v_fmac_f32_e32 v28, v47, v30
	;; [unrolled: 1-line block ×4, first 2 shown]
	ds_load_2addr_b32 v[29:30], v19 offset0:224 offset1:240
	s_wait_dscnt 0x7
	v_fmac_f32_e32 v27, v50, v31
	v_fmac_f32_e32 v28, v49, v31
	;; [unrolled: 1-line block ×4, first 2 shown]
	s_wait_loadcnt_dscnt 0x0
	v_fmac_f32_e32 v27, v52, v32
	v_fmac_f32_e32 v28, v51, v32
	;; [unrolled: 1-line block ×4, first 2 shown]
	s_barrier_signal -1
	v_fmac_f32_e32 v27, v54, v37
	v_fmac_f32_e32 v28, v53, v37
	;; [unrolled: 1-line block ×4, first 2 shown]
	s_barrier_wait -1
	v_fmac_f32_e32 v27, v56, v38
	v_fmac_f32_e32 v28, v55, v38
	;; [unrolled: 1-line block ×4, first 2 shown]
	global_inv scope:SCOPE_SE
	v_fmac_f32_e32 v27, v46, v39
	v_fmac_f32_e32 v28, v45, v39
	;; [unrolled: 1-line block ×3, first 2 shown]
	s_delay_alu instid0(VALU_DEP_3) | instskip(NEXT) | instid1(VALU_DEP_3)
	v_dual_fmac_f32 v26, v45, v43 :: v_dual_fmac_f32 v27, v30, v40
	v_fmac_f32_e32 v28, v29, v40
	s_delay_alu instid0(VALU_DEP_3) | instskip(NEXT) | instid1(VALU_DEP_3)
	v_fmac_f32_e32 v25, v30, v44
	v_fmac_f32_e32 v26, v29, v44
	s_wait_alu 0xfffe
	s_cbranch_vccz .LBB197_11
.LBB197_7:                              ;   Parent Loop BB197_4 Depth=1
                                        ; =>  This Inner Loop Header: Depth=2
	s_wait_alu 0xfffe
	v_add_co_u32 v29, s26, v14, s24
	s_wait_alu 0xf1ff
	v_add_co_ci_u32_e64 v30, null, 0, s25, s26
	s_delay_alu instid0(VALU_DEP_1)
	v_cmp_gt_i64_e32 vcc_lo, s[36:37], v[29:30]
	v_mov_b32_e32 v29, 0
	s_and_b32 s27, s0, vcc_lo
	s_wait_alu 0xfffe
	s_and_saveexec_b32 s26, s27
	s_cbranch_execz .LBB197_9
; %bb.8:                                ;   in Loop: Header=BB197_7 Depth=2
	flat_load_b32 v29, v[12:13]
.LBB197_9:                              ;   in Loop: Header=BB197_7 Depth=2
	s_wait_alu 0xfffe
	s_or_b32 exec_lo, exec_lo, s26
	v_add_co_u32 v30, s26, v15, s24
	s_wait_alu 0xf1ff
	v_add_co_ci_u32_e64 v31, null, 0, s25, s26
	s_wait_loadcnt_dscnt 0x0
	ds_store_b32 v17, v29
	v_cmp_gt_i64_e32 vcc_lo, s[36:37], v[30:31]
	v_mov_b32_e32 v30, 0
	s_and_b32 s27, vcc_lo, s1
	s_wait_alu 0xfffe
	s_and_saveexec_b32 s26, s27
	s_cbranch_execz .LBB197_6
; %bb.10:                               ;   in Loop: Header=BB197_7 Depth=2
	flat_load_b32 v30, v[10:11]
	s_branch .LBB197_6
.LBB197_11:                             ;   in Loop: Header=BB197_4 Depth=1
	s_wait_loadcnt 0x0
	v_add_co_u32 v10, vcc_lo, v8, s12
	s_wait_alu 0xfffd
	v_add_co_ci_u32_e64 v11, null, s13, v9, vcc_lo
	s_and_not1_b32 vcc_lo, exec_lo, s42
	s_wait_alu 0xfffe
	s_cbranch_vccnz .LBB197_16
; %bb.12:                               ;   in Loop: Header=BB197_4 Depth=1
	s_and_saveexec_b32 s24, s2
	s_cbranch_execz .LBB197_23
; %bb.13:                               ;   in Loop: Header=BB197_4 Depth=1
	v_lshlrev_b64_e32 v[8:9], 2, v[0:1]
	s_delay_alu instid0(VALU_DEP_1) | instskip(SKIP_1) | instid1(VALU_DEP_2)
	v_add_co_u32 v8, vcc_lo, v10, v8
	s_wait_alu 0xfffd
	v_add_co_ci_u32_e64 v9, null, v11, v9, vcc_lo
	s_and_saveexec_b32 s25, s3
	s_cbranch_execnz .LBB197_17
; %bb.14:                               ;   in Loop: Header=BB197_4 Depth=1
	s_wait_alu 0xfffe
	s_or_b32 exec_lo, exec_lo, s25
	s_and_saveexec_b32 s25, s4
	s_cbranch_execnz .LBB197_18
.LBB197_15:                             ;   in Loop: Header=BB197_4 Depth=1
	s_wait_alu 0xfffe
	s_or_b32 exec_lo, exec_lo, s25
	s_delay_alu instid0(SALU_CYCLE_1)
	s_and_b32 exec_lo, exec_lo, s5
	s_cbranch_execnz .LBB197_19
	s_branch .LBB197_23
.LBB197_16:                             ;   in Loop: Header=BB197_4 Depth=1
	s_branch .LBB197_24
.LBB197_17:                             ;   in Loop: Header=BB197_4 Depth=1
	v_lshlrev_b64_e32 v[12:13], 2, v[2:3]
	v_mul_f32_e32 v29, s38, v28
	s_delay_alu instid0(VALU_DEP_2) | instskip(SKIP_1) | instid1(VALU_DEP_3)
	v_add_co_u32 v12, vcc_lo, v8, v12
	s_wait_alu 0xfffd
	v_add_co_ci_u32_e64 v13, null, v9, v13, vcc_lo
	flat_store_b32 v[12:13], v29
	s_wait_alu 0xfffe
	s_or_b32 exec_lo, exec_lo, s25
	s_and_saveexec_b32 s25, s4
	s_cbranch_execz .LBB197_15
.LBB197_18:                             ;   in Loop: Header=BB197_4 Depth=1
	v_lshlrev_b64_e32 v[12:13], 2, v[2:3]
	v_mul_f32_e32 v29, s38, v27
	s_delay_alu instid0(VALU_DEP_2) | instskip(SKIP_1) | instid1(VALU_DEP_3)
	v_add_co_u32 v12, vcc_lo, v8, v12
	s_wait_alu 0xfffd
	v_add_co_ci_u32_e64 v13, null, v9, v13, vcc_lo
	flat_store_b32 v[12:13], v29 offset:64
	s_wait_alu 0xfffe
	s_or_b32 exec_lo, exec_lo, s25
	s_delay_alu instid0(SALU_CYCLE_1)
	s_and_b32 exec_lo, exec_lo, s5
	s_cbranch_execz .LBB197_23
.LBB197_19:                             ;   in Loop: Header=BB197_4 Depth=1
	s_lshl_b64 s[26:27], s[6:7], 2
	v_lshlrev_b64_e32 v[12:13], 2, v[2:3]
	s_wait_alu 0xfffe
	v_add_co_u32 v8, vcc_lo, v8, s26
	s_wait_alu 0xfffd
	v_add_co_ci_u32_e64 v9, null, s27, v9, vcc_lo
	s_delay_alu instid0(VALU_DEP_2) | instskip(SKIP_1) | instid1(VALU_DEP_2)
	v_add_co_u32 v8, vcc_lo, v8, v12
	s_wait_alu 0xfffd
	v_add_co_ci_u32_e64 v9, null, v9, v13, vcc_lo
	s_and_saveexec_b32 s25, s3
	s_cbranch_execz .LBB197_21
; %bb.20:                               ;   in Loop: Header=BB197_4 Depth=1
	v_mul_f32_e32 v12, s38, v26
	flat_store_b32 v[8:9], v12
.LBB197_21:                             ;   in Loop: Header=BB197_4 Depth=1
	s_wait_alu 0xfffe
	s_or_b32 exec_lo, exec_lo, s25
	s_delay_alu instid0(SALU_CYCLE_1)
	s_and_b32 exec_lo, exec_lo, s4
	s_cbranch_execz .LBB197_23
; %bb.22:                               ;   in Loop: Header=BB197_4 Depth=1
	v_mul_f32_e32 v12, s38, v25
	flat_store_b32 v[8:9], v12 offset:64
.LBB197_23:                             ;   in Loop: Header=BB197_4 Depth=1
	s_wait_alu 0xfffe
	s_or_b32 exec_lo, exec_lo, s24
	s_cbranch_execnz .LBB197_3
.LBB197_24:                             ;   in Loop: Header=BB197_4 Depth=1
	s_and_saveexec_b32 s24, s2
	s_cbranch_execz .LBB197_2
; %bb.25:                               ;   in Loop: Header=BB197_4 Depth=1
	v_add_co_u32 v6, vcc_lo, v6, s18
	v_lshlrev_b64_e32 v[12:13], 2, v[0:1]
	s_wait_alu 0xfffd
	v_add_co_ci_u32_e64 v7, null, s19, v7, vcc_lo
	s_delay_alu instid0(VALU_DEP_3) | instskip(SKIP_1) | instid1(VALU_DEP_2)
	v_add_co_u32 v8, vcc_lo, v6, v4
	s_wait_alu 0xfffd
	v_add_co_ci_u32_e64 v9, null, v7, v5, vcc_lo
	v_add_co_u32 v10, vcc_lo, v10, v12
	v_lshlrev_b64_e32 v[6:7], 2, v[2:3]
	s_wait_alu 0xfffd
	v_add_co_ci_u32_e64 v11, null, v11, v13, vcc_lo
	s_and_saveexec_b32 s25, s3
	s_cbranch_execnz .LBB197_28
; %bb.26:                               ;   in Loop: Header=BB197_4 Depth=1
	s_wait_alu 0xfffe
	s_or_b32 exec_lo, exec_lo, s25
	s_and_saveexec_b32 s25, s4
	s_cbranch_execnz .LBB197_29
.LBB197_27:                             ;   in Loop: Header=BB197_4 Depth=1
	s_wait_alu 0xfffe
	s_or_b32 exec_lo, exec_lo, s25
	s_delay_alu instid0(SALU_CYCLE_1)
	s_and_b32 exec_lo, exec_lo, s5
	s_cbranch_execz .LBB197_2
	s_branch .LBB197_30
.LBB197_28:                             ;   in Loop: Header=BB197_4 Depth=1
	v_add_co_u32 v12, vcc_lo, v8, v6
	s_wait_alu 0xfffd
	v_add_co_ci_u32_e64 v13, null, v9, v7, vcc_lo
	flat_load_b32 v12, v[12:13]
	s_wait_loadcnt_dscnt 0x0
	v_mul_f32_e32 v29, s39, v12
	v_add_co_u32 v12, vcc_lo, v10, v6
	s_wait_alu 0xfffd
	v_add_co_ci_u32_e64 v13, null, v11, v7, vcc_lo
	s_delay_alu instid0(VALU_DEP_3)
	v_fmac_f32_e32 v29, s38, v28
	flat_store_b32 v[12:13], v29
	s_wait_alu 0xfffe
	s_or_b32 exec_lo, exec_lo, s25
	s_and_saveexec_b32 s25, s4
	s_cbranch_execz .LBB197_27
.LBB197_29:                             ;   in Loop: Header=BB197_4 Depth=1
	v_add_co_u32 v12, vcc_lo, v8, v6
	s_wait_alu 0xfffd
	v_add_co_ci_u32_e64 v13, null, v9, v7, vcc_lo
	flat_load_b32 v12, v[12:13] offset:64
	s_wait_loadcnt_dscnt 0x0
	v_mul_f32_e32 v28, s39, v12
	v_add_co_u32 v12, vcc_lo, v10, v6
	s_wait_alu 0xfffd
	v_add_co_ci_u32_e64 v13, null, v11, v7, vcc_lo
	s_delay_alu instid0(VALU_DEP_3) | instskip(SKIP_3) | instid1(SALU_CYCLE_1)
	v_fmac_f32_e32 v28, s38, v27
	flat_store_b32 v[12:13], v28 offset:64
	s_wait_alu 0xfffe
	s_or_b32 exec_lo, exec_lo, s25
	s_and_b32 exec_lo, exec_lo, s5
	s_cbranch_execz .LBB197_2
.LBB197_30:                             ;   in Loop: Header=BB197_4 Depth=1
	v_add_co_u32 v8, vcc_lo, v8, s20
	s_lshl_b64 s[26:27], s[6:7], 2
	s_wait_alu 0xfffd
	v_add_co_ci_u32_e64 v9, null, s21, v9, vcc_lo
	s_wait_alu 0xfffe
	v_add_co_u32 v10, vcc_lo, v10, s26
	s_wait_alu 0xfffd
	v_add_co_ci_u32_e64 v11, null, s27, v11, vcc_lo
	v_add_co_u32 v8, vcc_lo, v8, v6
	s_wait_alu 0xfffd
	v_add_co_ci_u32_e64 v9, null, v9, v7, vcc_lo
	;; [unrolled: 3-line block ×3, first 2 shown]
	s_and_saveexec_b32 s25, s3
	s_cbranch_execz .LBB197_32
; %bb.31:                               ;   in Loop: Header=BB197_4 Depth=1
	flat_load_b32 v10, v[8:9]
	s_wait_loadcnt_dscnt 0x0
	v_mul_f32_e32 v10, s39, v10
	s_delay_alu instid0(VALU_DEP_1)
	v_fmac_f32_e32 v10, s38, v26
	flat_store_b32 v[6:7], v10
.LBB197_32:                             ;   in Loop: Header=BB197_4 Depth=1
	s_wait_alu 0xfffe
	s_or_b32 exec_lo, exec_lo, s25
	s_delay_alu instid0(SALU_CYCLE_1)
	s_and_b32 exec_lo, exec_lo, s4
	s_cbranch_execz .LBB197_2
; %bb.33:                               ;   in Loop: Header=BB197_4 Depth=1
	flat_load_b32 v8, v[8:9] offset:64
	s_wait_loadcnt_dscnt 0x0
	v_mul_f32_e32 v8, s39, v8
	s_delay_alu instid0(VALU_DEP_1)
	v_fmac_f32_e32 v8, s38, v25
	flat_store_b32 v[6:7], v8 offset:64
	s_branch .LBB197_2
.LBB197_34:
	s_endpgm
	.section	.rodata,"a",@progbits
	.p2align	6, 0x0
	.amdhsa_kernel _ZN12_GLOBAL__N_135rocblas_gemm_batched_general_kernelIfLi16ELi16ELi32ELi32ELi8ELi32ELi8ELi8ELi32ELc84ELc84EKPKfS3_KPfEEvlllT_PT11_llS8_llS6_PT12_llPT13_lli
		.amdhsa_group_segment_fixed_size 2048
		.amdhsa_private_segment_fixed_size 0
		.amdhsa_kernarg_size 140
		.amdhsa_user_sgpr_count 2
		.amdhsa_user_sgpr_dispatch_ptr 0
		.amdhsa_user_sgpr_queue_ptr 0
		.amdhsa_user_sgpr_kernarg_segment_ptr 1
		.amdhsa_user_sgpr_dispatch_id 0
		.amdhsa_user_sgpr_private_segment_size 0
		.amdhsa_wavefront_size32 1
		.amdhsa_uses_dynamic_stack 0
		.amdhsa_enable_private_segment 0
		.amdhsa_system_sgpr_workgroup_id_x 1
		.amdhsa_system_sgpr_workgroup_id_y 1
		.amdhsa_system_sgpr_workgroup_id_z 1
		.amdhsa_system_sgpr_workgroup_info 0
		.amdhsa_system_vgpr_workitem_id 1
		.amdhsa_next_free_vgpr 57
		.amdhsa_next_free_sgpr 44
		.amdhsa_reserve_vcc 1
		.amdhsa_float_round_mode_32 0
		.amdhsa_float_round_mode_16_64 0
		.amdhsa_float_denorm_mode_32 3
		.amdhsa_float_denorm_mode_16_64 3
		.amdhsa_fp16_overflow 0
		.amdhsa_workgroup_processor_mode 1
		.amdhsa_memory_ordered 1
		.amdhsa_forward_progress 1
		.amdhsa_inst_pref_size 18
		.amdhsa_round_robin_scheduling 0
		.amdhsa_exception_fp_ieee_invalid_op 0
		.amdhsa_exception_fp_denorm_src 0
		.amdhsa_exception_fp_ieee_div_zero 0
		.amdhsa_exception_fp_ieee_overflow 0
		.amdhsa_exception_fp_ieee_underflow 0
		.amdhsa_exception_fp_ieee_inexact 0
		.amdhsa_exception_int_div_zero 0
	.end_amdhsa_kernel
	.section	.text._ZN12_GLOBAL__N_135rocblas_gemm_batched_general_kernelIfLi16ELi16ELi32ELi32ELi8ELi32ELi8ELi8ELi32ELc84ELc84EKPKfS3_KPfEEvlllT_PT11_llS8_llS6_PT12_llPT13_lli,"axG",@progbits,_ZN12_GLOBAL__N_135rocblas_gemm_batched_general_kernelIfLi16ELi16ELi32ELi32ELi8ELi32ELi8ELi8ELi32ELc84ELc84EKPKfS3_KPfEEvlllT_PT11_llS8_llS6_PT12_llPT13_lli,comdat
.Lfunc_end197:
	.size	_ZN12_GLOBAL__N_135rocblas_gemm_batched_general_kernelIfLi16ELi16ELi32ELi32ELi8ELi32ELi8ELi8ELi32ELc84ELc84EKPKfS3_KPfEEvlllT_PT11_llS8_llS6_PT12_llPT13_lli, .Lfunc_end197-_ZN12_GLOBAL__N_135rocblas_gemm_batched_general_kernelIfLi16ELi16ELi32ELi32ELi8ELi32ELi8ELi8ELi32ELc84ELc84EKPKfS3_KPfEEvlllT_PT11_llS8_llS6_PT12_llPT13_lli
                                        ; -- End function
	.set _ZN12_GLOBAL__N_135rocblas_gemm_batched_general_kernelIfLi16ELi16ELi32ELi32ELi8ELi32ELi8ELi8ELi32ELc84ELc84EKPKfS3_KPfEEvlllT_PT11_llS8_llS6_PT12_llPT13_lli.num_vgpr, 57
	.set _ZN12_GLOBAL__N_135rocblas_gemm_batched_general_kernelIfLi16ELi16ELi32ELi32ELi8ELi32ELi8ELi8ELi32ELc84ELc84EKPKfS3_KPfEEvlllT_PT11_llS8_llS6_PT12_llPT13_lli.num_agpr, 0
	.set _ZN12_GLOBAL__N_135rocblas_gemm_batched_general_kernelIfLi16ELi16ELi32ELi32ELi8ELi32ELi8ELi8ELi32ELc84ELc84EKPKfS3_KPfEEvlllT_PT11_llS8_llS6_PT12_llPT13_lli.numbered_sgpr, 44
	.set _ZN12_GLOBAL__N_135rocblas_gemm_batched_general_kernelIfLi16ELi16ELi32ELi32ELi8ELi32ELi8ELi8ELi32ELc84ELc84EKPKfS3_KPfEEvlllT_PT11_llS8_llS6_PT12_llPT13_lli.num_named_barrier, 0
	.set _ZN12_GLOBAL__N_135rocblas_gemm_batched_general_kernelIfLi16ELi16ELi32ELi32ELi8ELi32ELi8ELi8ELi32ELc84ELc84EKPKfS3_KPfEEvlllT_PT11_llS8_llS6_PT12_llPT13_lli.private_seg_size, 0
	.set _ZN12_GLOBAL__N_135rocblas_gemm_batched_general_kernelIfLi16ELi16ELi32ELi32ELi8ELi32ELi8ELi8ELi32ELc84ELc84EKPKfS3_KPfEEvlllT_PT11_llS8_llS6_PT12_llPT13_lli.uses_vcc, 1
	.set _ZN12_GLOBAL__N_135rocblas_gemm_batched_general_kernelIfLi16ELi16ELi32ELi32ELi8ELi32ELi8ELi8ELi32ELc84ELc84EKPKfS3_KPfEEvlllT_PT11_llS8_llS6_PT12_llPT13_lli.uses_flat_scratch, 0
	.set _ZN12_GLOBAL__N_135rocblas_gemm_batched_general_kernelIfLi16ELi16ELi32ELi32ELi8ELi32ELi8ELi8ELi32ELc84ELc84EKPKfS3_KPfEEvlllT_PT11_llS8_llS6_PT12_llPT13_lli.has_dyn_sized_stack, 0
	.set _ZN12_GLOBAL__N_135rocblas_gemm_batched_general_kernelIfLi16ELi16ELi32ELi32ELi8ELi32ELi8ELi8ELi32ELc84ELc84EKPKfS3_KPfEEvlllT_PT11_llS8_llS6_PT12_llPT13_lli.has_recursion, 0
	.set _ZN12_GLOBAL__N_135rocblas_gemm_batched_general_kernelIfLi16ELi16ELi32ELi32ELi8ELi32ELi8ELi8ELi32ELc84ELc84EKPKfS3_KPfEEvlllT_PT11_llS8_llS6_PT12_llPT13_lli.has_indirect_call, 0
	.section	.AMDGPU.csdata,"",@progbits
; Kernel info:
; codeLenInByte = 2284
; TotalNumSgprs: 46
; NumVgprs: 57
; ScratchSize: 0
; MemoryBound: 0
; FloatMode: 240
; IeeeMode: 1
; LDSByteSize: 2048 bytes/workgroup (compile time only)
; SGPRBlocks: 0
; VGPRBlocks: 7
; NumSGPRsForWavesPerEU: 46
; NumVGPRsForWavesPerEU: 57
; Occupancy: 16
; WaveLimiterHint : 1
; COMPUTE_PGM_RSRC2:SCRATCH_EN: 0
; COMPUTE_PGM_RSRC2:USER_SGPR: 2
; COMPUTE_PGM_RSRC2:TRAP_HANDLER: 0
; COMPUTE_PGM_RSRC2:TGID_X_EN: 1
; COMPUTE_PGM_RSRC2:TGID_Y_EN: 1
; COMPUTE_PGM_RSRC2:TGID_Z_EN: 1
; COMPUTE_PGM_RSRC2:TIDIG_COMP_CNT: 1
	.section	.text._ZN12_GLOBAL__N_135rocblas_gemm_batched_general_kernelIfLi16ELi16ELi32ELi32ELi8ELi32ELi8ELi8ELi32ELc67ELc67EKPKfS3_KPfEEvlllT_PT11_llS8_llS6_PT12_llPT13_lli,"axG",@progbits,_ZN12_GLOBAL__N_135rocblas_gemm_batched_general_kernelIfLi16ELi16ELi32ELi32ELi8ELi32ELi8ELi8ELi32ELc67ELc67EKPKfS3_KPfEEvlllT_PT11_llS8_llS6_PT12_llPT13_lli,comdat
	.globl	_ZN12_GLOBAL__N_135rocblas_gemm_batched_general_kernelIfLi16ELi16ELi32ELi32ELi8ELi32ELi8ELi8ELi32ELc67ELc67EKPKfS3_KPfEEvlllT_PT11_llS8_llS6_PT12_llPT13_lli ; -- Begin function _ZN12_GLOBAL__N_135rocblas_gemm_batched_general_kernelIfLi16ELi16ELi32ELi32ELi8ELi32ELi8ELi8ELi32ELc67ELc67EKPKfS3_KPfEEvlllT_PT11_llS8_llS6_PT12_llPT13_lli
	.p2align	8
	.type	_ZN12_GLOBAL__N_135rocblas_gemm_batched_general_kernelIfLi16ELi16ELi32ELi32ELi8ELi32ELi8ELi8ELi32ELc67ELc67EKPKfS3_KPfEEvlllT_PT11_llS8_llS6_PT12_llPT13_lli,@function
_ZN12_GLOBAL__N_135rocblas_gemm_batched_general_kernelIfLi16ELi16ELi32ELi32ELi8ELi32ELi8ELi8ELi32ELc67ELc67EKPKfS3_KPfEEvlllT_PT11_llS8_llS6_PT12_llPT13_lli: ; @_ZN12_GLOBAL__N_135rocblas_gemm_batched_general_kernelIfLi16ELi16ELi32ELi32ELi8ELi32ELi8ELi8ELi32ELc67ELc67EKPKfS3_KPfEEvlllT_PT11_llS8_llS6_PT12_llPT13_lli
; %bb.0:
	s_load_b32 s33, s[0:1], 0x88
	s_lshr_b32 s34, ttmp7, 16
	s_wait_kmcnt 0x0
	s_cmp_ge_i32 s34, s33
	s_cbranch_scc1 .LBB198_34
; %bb.1:
	v_bfe_u32 v2, v0, 10, 10
	v_dual_mov_b32 v16, 0 :: v_dual_and_b32 v3, 0x3ff, v0
	s_clause 0x6
	s_load_b128 s[4:7], s[0:1], 0x0
	s_load_b96 s[36:38], s[0:1], 0x10
	s_load_b256 s[8:15], s[0:1], 0x20
	s_load_b128 s[28:31], s[0:1], 0x40
	s_load_b32 s39, s[0:1], 0x50
	s_load_b128 s[24:27], s[0:1], 0x78
	s_load_b256 s[16:23], s[0:1], 0x58
	s_mov_b32 s2, ttmp9
	v_lshl_add_u32 v1, v2, 4, v3
	s_ashr_i32 s3, ttmp9, 31
	s_and_b32 s43, ttmp7, 0xffff
	s_lshl_b64 s[40:41], s[2:3], 5
	s_lshl_b32 s2, s43, 5
	v_dual_mov_b32 v5, s41 :: v_dual_and_b32 v6, 31, v1
	v_lshrrev_b32_e32 v13, 3, v1
	v_and_b32_e32 v15, 7, v0
	v_lshrrev_b32_e32 v14, 5, v1
	s_delay_alu instid0(VALU_DEP_4) | instskip(SKIP_2) | instid1(VALU_DEP_1)
	v_or_b32_e32 v4, s40, v6
	v_lshl_add_u32 v20, v2, 5, 0x400
	v_add_co_u32 v0, s0, v13, s2
	v_add_co_ci_u32_e64 v1, null, 0, 0, s0
	s_wait_kmcnt 0x0
	v_cmp_gt_i64_e64 s0, s[4:5], v[4:5]
	v_add_co_u32 v5, s2, s2, v2
	v_lshlrev_b32_e32 v7, 2, v15
	v_cmp_gt_i64_e64 s1, s[6:7], v[0:1]
	v_add_co_u32 v2, s3, s40, v3
	s_delay_alu instid0(VALU_DEP_4) | instskip(NEXT) | instid1(VALU_DEP_4)
	v_mad_co_u64_u32 v[0:1], null, v5, s24, 0
	v_lshl_or_b32 v7, v13, 5, v7
	v_mad_co_u64_u32 v[9:10], null, s28, v15, 0
	s_delay_alu instid0(VALU_DEP_4)
	v_add_co_u32 v11, vcc_lo, v2, 16
	s_cmp_eq_f32 s39, 0
	v_mad_co_u64_u32 v[21:22], null, v5, s25, v[1:2]
	v_add_nc_u32_e32 v18, 0x400, v7
	v_mad_co_u64_u32 v[7:8], null, v5, s18, 0
	v_lshlrev_b32_e32 v6, 2, v6
	s_mov_b32 s35, 0
	s_cselect_b32 s42, -1, 0
	s_lshl_b64 s[30:31], s[30:31], 2
	s_delay_alu instid0(VALU_DEP_2) | instskip(SKIP_3) | instid1(VALU_DEP_3)
	v_dual_mov_b32 v1, v8 :: v_dual_mov_b32 v8, v10
	v_lshl_or_b32 v17, v14, 7, v6
	s_wait_alu 0xf1ff
	v_add_co_ci_u32_e64 v6, null, 0, 0, s2
	v_mad_co_u64_u32 v[24:25], null, s29, v15, v[8:9]
	v_lshlrev_b32_e32 v19, 2, v3
	v_add_co_ci_u32_e64 v3, null, s41, 0, s3
	s_delay_alu instid0(VALU_DEP_4) | instskip(NEXT) | instid1(VALU_DEP_2)
	v_cmp_gt_i64_e64 s2, s[6:7], v[5:6]
	v_add_co_ci_u32_e64 v12, null, 0, v3, vcc_lo
	v_add_co_u32 v22, vcc_lo, v5, 16
	s_wait_alu 0xfffd
	v_add_co_ci_u32_e64 v23, null, 0, v6, vcc_lo
	v_mad_co_u64_u32 v[5:6], null, v5, s19, v[1:2]
	v_mul_lo_u32 v6, s11, v4
	v_mov_b32_e32 v10, v24
	v_cmp_gt_i64_e64 s3, s[4:5], v[2:3]
	v_cmp_gt_i64_e64 s4, s[4:5], v[11:12]
	;; [unrolled: 1-line block ×3, first 2 shown]
	s_lshl_b64 s[6:7], s[24:25], 4
	v_mov_b32_e32 v8, v5
	v_mad_co_u64_u32 v[4:5], null, s10, v4, 0
	v_lshlrev_b64_e32 v[9:10], 2, v[9:10]
	s_mul_i32 s10, s10, s41
	s_lshl_b64 s[24:25], s[18:19], 4
	s_lshl_b32 s18, s43, 7
	s_mov_b32 s19, s35
	v_lshlrev_b32_e32 v11, 2, v13
	s_wait_alu 0xfffe
	v_add3_u32 v5, v5, s10, v6
	s_add_nc_u64 s[18:19], s[30:31], s[18:19]
	v_mov_b32_e32 v1, v21
	s_wait_alu 0xfffe
	v_add_co_u32 v6, vcc_lo, s18, v9
	v_lshlrev_b64_e32 v[4:5], 2, v[4:5]
	s_wait_alu 0xfffd
	v_add_co_ci_u32_e64 v9, null, s19, v10, vcc_lo
	s_delay_alu instid0(VALU_DEP_3)
	v_add_co_u32 v21, vcc_lo, v6, v11
	s_lshl_b64 s[10:11], s[12:13], 2
	s_wait_alu 0xfffd
	v_add_co_ci_u32_e64 v22, null, 0, v9, vcc_lo
	v_lshlrev_b32_e32 v6, 2, v14
	s_wait_alu 0xfffe
	v_add_co_u32 v4, vcc_lo, v4, s10
	s_wait_alu 0xfffd
	v_add_co_ci_u32_e64 v5, null, s11, v5, vcc_lo
	s_lshl_b64 s[10:11], s[28:29], 5
	v_add_co_u32 v23, vcc_lo, v4, v6
	s_wait_alu 0xfffd
	v_add_co_ci_u32_e64 v24, null, 0, v5, vcc_lo
	v_lshlrev_b64_e32 v[4:5], 2, v[7:8]
	v_cmp_gt_i64_e64 s28, s[36:37], 0
	s_lshl_b64 s[12:13], s[26:27], 2
	s_lshl_b64 s[18:19], s[20:21], 2
	;; [unrolled: 1-line block ×3, first 2 shown]
	s_branch .LBB198_4
.LBB198_2:                              ;   in Loop: Header=BB198_4 Depth=1
	s_wait_alu 0xfffe
	s_or_b32 exec_lo, exec_lo, s24
.LBB198_3:                              ;   in Loop: Header=BB198_4 Depth=1
	s_add_co_i32 s34, s34, 0x10000
	s_delay_alu instid0(SALU_CYCLE_1)
	s_cmp_lt_i32 s34, s33
	s_cbranch_scc0 .LBB198_34
.LBB198_4:                              ; =>This Loop Header: Depth=1
                                        ;     Child Loop BB198_7 Depth 2
	s_lshl_b64 s[24:25], s[34:35], 3
	v_dual_mov_b32 v28, 0 :: v_dual_mov_b32 v27, 0
	s_wait_alu 0xfffe
	s_add_nc_u64 s[26:27], s[16:17], s[24:25]
	s_add_nc_u64 s[30:31], s[22:23], s[24:25]
	s_clause 0x1
	global_load_b64 v[6:7], v16, s[26:27]
	global_load_b64 v[8:9], v16, s[30:31]
	v_dual_mov_b32 v26, 0 :: v_dual_mov_b32 v25, 0
	s_and_not1_b32 vcc_lo, exec_lo, s28
	s_wait_alu 0xfffe
	s_cbranch_vccnz .LBB198_11
; %bb.5:                                ;   in Loop: Header=BB198_4 Depth=1
	s_add_nc_u64 s[26:27], s[14:15], s[24:25]
	s_add_nc_u64 s[24:25], s[8:9], s[24:25]
	s_clause 0x1
	global_load_b64 v[10:11], v16, s[26:27]
	global_load_b64 v[12:13], v16, s[24:25]
	v_dual_mov_b32 v25, 0 :: v_dual_mov_b32 v26, 0
	v_dual_mov_b32 v27, 0 :: v_dual_mov_b32 v28, 0
	s_mov_b64 s[24:25], 0
	s_wait_loadcnt 0x1
	v_add_co_u32 v10, vcc_lo, v10, v21
	s_wait_alu 0xfffd
	v_add_co_ci_u32_e64 v11, null, v11, v22, vcc_lo
	s_wait_loadcnt 0x0
	v_add_co_u32 v12, vcc_lo, v12, v23
	s_wait_alu 0xfffd
	v_add_co_ci_u32_e64 v13, null, v13, v24, vcc_lo
	s_branch .LBB198_7
.LBB198_6:                              ;   in Loop: Header=BB198_7 Depth=2
	s_wait_alu 0xfffe
	s_or_b32 exec_lo, exec_lo, s26
	s_wait_loadcnt_dscnt 0x0
	ds_store_b32 v18, v30
	s_wait_dscnt 0x0
	s_barrier_signal -1
	s_barrier_wait -1
	global_inv scope:SCOPE_SE
	ds_load_b128 v[29:32], v20
	ds_load_2addr_b32 v[45:46], v19 offset1:16
	ds_load_b128 v[33:36], v20 offset:512
	ds_load_2addr_b32 v[47:48], v19 offset0:32 offset1:48
	ds_load_2addr_b32 v[49:50], v19 offset0:64 offset1:80
	ds_load_2addr_b32 v[51:52], v19 offset0:96 offset1:112
	ds_load_b128 v[37:40], v20 offset:16
	ds_load_2addr_b32 v[53:54], v19 offset0:128 offset1:144
	ds_load_b128 v[41:44], v20 offset:528
	ds_load_2addr_b32 v[55:56], v19 offset0:160 offset1:176
	s_add_nc_u64 s[24:25], s[24:25], 8
	v_add_co_u32 v10, vcc_lo, v10, s10
	s_wait_alu 0xfffe
	v_cmp_lt_i64_e64 s26, s[24:25], s[36:37]
	s_wait_alu 0xfffd
	v_add_co_ci_u32_e64 v11, null, s11, v11, vcc_lo
	v_add_co_u32 v12, vcc_lo, v12, 32
	s_wait_alu 0xfffd
	v_add_co_ci_u32_e64 v13, null, 0, v13, vcc_lo
	s_and_b32 vcc_lo, exec_lo, s26
	s_wait_dscnt 0x8
	v_fmac_f32_e32 v27, v46, v29
	v_fmac_f32_e32 v28, v45, v29
	s_wait_dscnt 0x7
	v_fmac_f32_e32 v25, v46, v33
	v_fmac_f32_e32 v26, v45, v33
	ds_load_2addr_b32 v[45:46], v19 offset0:192 offset1:208
	s_wait_dscnt 0x7
	v_fmac_f32_e32 v27, v48, v30
	v_fmac_f32_e32 v28, v47, v30
	v_fmac_f32_e32 v25, v48, v34
	v_fmac_f32_e32 v26, v47, v34
	ds_load_2addr_b32 v[29:30], v19 offset0:224 offset1:240
	s_wait_dscnt 0x7
	v_fmac_f32_e32 v27, v50, v31
	v_fmac_f32_e32 v28, v49, v31
	v_fmac_f32_e32 v25, v50, v35
	v_fmac_f32_e32 v26, v49, v35
	s_wait_loadcnt_dscnt 0x0
	v_fmac_f32_e32 v27, v52, v32
	v_fmac_f32_e32 v28, v51, v32
	;; [unrolled: 1-line block ×4, first 2 shown]
	s_barrier_signal -1
	v_fmac_f32_e32 v27, v54, v37
	v_fmac_f32_e32 v28, v53, v37
	;; [unrolled: 1-line block ×4, first 2 shown]
	s_barrier_wait -1
	v_fmac_f32_e32 v27, v56, v38
	v_fmac_f32_e32 v28, v55, v38
	v_fmac_f32_e32 v25, v56, v42
	v_fmac_f32_e32 v26, v55, v42
	global_inv scope:SCOPE_SE
	v_fmac_f32_e32 v27, v46, v39
	v_fmac_f32_e32 v28, v45, v39
	;; [unrolled: 1-line block ×3, first 2 shown]
	s_delay_alu instid0(VALU_DEP_3) | instskip(NEXT) | instid1(VALU_DEP_3)
	v_dual_fmac_f32 v26, v45, v43 :: v_dual_fmac_f32 v27, v30, v40
	v_fmac_f32_e32 v28, v29, v40
	s_delay_alu instid0(VALU_DEP_3) | instskip(NEXT) | instid1(VALU_DEP_3)
	v_fmac_f32_e32 v25, v30, v44
	v_fmac_f32_e32 v26, v29, v44
	s_wait_alu 0xfffe
	s_cbranch_vccz .LBB198_11
.LBB198_7:                              ;   Parent Loop BB198_4 Depth=1
                                        ; =>  This Inner Loop Header: Depth=2
	s_wait_alu 0xfffe
	v_add_co_u32 v29, s26, v14, s24
	s_wait_alu 0xf1ff
	v_add_co_ci_u32_e64 v30, null, 0, s25, s26
	s_delay_alu instid0(VALU_DEP_1)
	v_cmp_gt_i64_e32 vcc_lo, s[36:37], v[29:30]
	v_mov_b32_e32 v29, 0
	s_and_b32 s27, s0, vcc_lo
	s_wait_alu 0xfffe
	s_and_saveexec_b32 s26, s27
	s_cbranch_execz .LBB198_9
; %bb.8:                                ;   in Loop: Header=BB198_7 Depth=2
	flat_load_b32 v29, v[12:13]
.LBB198_9:                              ;   in Loop: Header=BB198_7 Depth=2
	s_wait_alu 0xfffe
	s_or_b32 exec_lo, exec_lo, s26
	v_add_co_u32 v30, s26, v15, s24
	s_wait_alu 0xf1ff
	v_add_co_ci_u32_e64 v31, null, 0, s25, s26
	s_wait_loadcnt_dscnt 0x0
	ds_store_b32 v17, v29
	v_cmp_gt_i64_e32 vcc_lo, s[36:37], v[30:31]
	v_mov_b32_e32 v30, 0
	s_and_b32 s27, vcc_lo, s1
	s_wait_alu 0xfffe
	s_and_saveexec_b32 s26, s27
	s_cbranch_execz .LBB198_6
; %bb.10:                               ;   in Loop: Header=BB198_7 Depth=2
	flat_load_b32 v30, v[10:11]
	s_branch .LBB198_6
.LBB198_11:                             ;   in Loop: Header=BB198_4 Depth=1
	s_wait_loadcnt 0x0
	v_add_co_u32 v10, vcc_lo, v8, s12
	s_wait_alu 0xfffd
	v_add_co_ci_u32_e64 v11, null, s13, v9, vcc_lo
	s_and_not1_b32 vcc_lo, exec_lo, s42
	s_wait_alu 0xfffe
	s_cbranch_vccnz .LBB198_16
; %bb.12:                               ;   in Loop: Header=BB198_4 Depth=1
	s_and_saveexec_b32 s24, s2
	s_cbranch_execz .LBB198_23
; %bb.13:                               ;   in Loop: Header=BB198_4 Depth=1
	v_lshlrev_b64_e32 v[8:9], 2, v[0:1]
	s_delay_alu instid0(VALU_DEP_1) | instskip(SKIP_1) | instid1(VALU_DEP_2)
	v_add_co_u32 v8, vcc_lo, v10, v8
	s_wait_alu 0xfffd
	v_add_co_ci_u32_e64 v9, null, v11, v9, vcc_lo
	s_and_saveexec_b32 s25, s3
	s_cbranch_execnz .LBB198_17
; %bb.14:                               ;   in Loop: Header=BB198_4 Depth=1
	s_wait_alu 0xfffe
	s_or_b32 exec_lo, exec_lo, s25
	s_and_saveexec_b32 s25, s4
	s_cbranch_execnz .LBB198_18
.LBB198_15:                             ;   in Loop: Header=BB198_4 Depth=1
	s_wait_alu 0xfffe
	s_or_b32 exec_lo, exec_lo, s25
	s_delay_alu instid0(SALU_CYCLE_1)
	s_and_b32 exec_lo, exec_lo, s5
	s_cbranch_execnz .LBB198_19
	s_branch .LBB198_23
.LBB198_16:                             ;   in Loop: Header=BB198_4 Depth=1
	s_branch .LBB198_24
.LBB198_17:                             ;   in Loop: Header=BB198_4 Depth=1
	v_lshlrev_b64_e32 v[12:13], 2, v[2:3]
	v_mul_f32_e32 v29, s38, v28
	s_delay_alu instid0(VALU_DEP_2) | instskip(SKIP_1) | instid1(VALU_DEP_3)
	v_add_co_u32 v12, vcc_lo, v8, v12
	s_wait_alu 0xfffd
	v_add_co_ci_u32_e64 v13, null, v9, v13, vcc_lo
	flat_store_b32 v[12:13], v29
	s_wait_alu 0xfffe
	s_or_b32 exec_lo, exec_lo, s25
	s_and_saveexec_b32 s25, s4
	s_cbranch_execz .LBB198_15
.LBB198_18:                             ;   in Loop: Header=BB198_4 Depth=1
	v_lshlrev_b64_e32 v[12:13], 2, v[2:3]
	v_mul_f32_e32 v29, s38, v27
	s_delay_alu instid0(VALU_DEP_2) | instskip(SKIP_1) | instid1(VALU_DEP_3)
	v_add_co_u32 v12, vcc_lo, v8, v12
	s_wait_alu 0xfffd
	v_add_co_ci_u32_e64 v13, null, v9, v13, vcc_lo
	flat_store_b32 v[12:13], v29 offset:64
	s_wait_alu 0xfffe
	s_or_b32 exec_lo, exec_lo, s25
	s_delay_alu instid0(SALU_CYCLE_1)
	s_and_b32 exec_lo, exec_lo, s5
	s_cbranch_execz .LBB198_23
.LBB198_19:                             ;   in Loop: Header=BB198_4 Depth=1
	s_lshl_b64 s[26:27], s[6:7], 2
	v_lshlrev_b64_e32 v[12:13], 2, v[2:3]
	s_wait_alu 0xfffe
	v_add_co_u32 v8, vcc_lo, v8, s26
	s_wait_alu 0xfffd
	v_add_co_ci_u32_e64 v9, null, s27, v9, vcc_lo
	s_delay_alu instid0(VALU_DEP_2) | instskip(SKIP_1) | instid1(VALU_DEP_2)
	v_add_co_u32 v8, vcc_lo, v8, v12
	s_wait_alu 0xfffd
	v_add_co_ci_u32_e64 v9, null, v9, v13, vcc_lo
	s_and_saveexec_b32 s25, s3
	s_cbranch_execz .LBB198_21
; %bb.20:                               ;   in Loop: Header=BB198_4 Depth=1
	v_mul_f32_e32 v12, s38, v26
	flat_store_b32 v[8:9], v12
.LBB198_21:                             ;   in Loop: Header=BB198_4 Depth=1
	s_wait_alu 0xfffe
	s_or_b32 exec_lo, exec_lo, s25
	s_delay_alu instid0(SALU_CYCLE_1)
	s_and_b32 exec_lo, exec_lo, s4
	s_cbranch_execz .LBB198_23
; %bb.22:                               ;   in Loop: Header=BB198_4 Depth=1
	v_mul_f32_e32 v12, s38, v25
	flat_store_b32 v[8:9], v12 offset:64
.LBB198_23:                             ;   in Loop: Header=BB198_4 Depth=1
	s_wait_alu 0xfffe
	s_or_b32 exec_lo, exec_lo, s24
	s_cbranch_execnz .LBB198_3
.LBB198_24:                             ;   in Loop: Header=BB198_4 Depth=1
	s_and_saveexec_b32 s24, s2
	s_cbranch_execz .LBB198_2
; %bb.25:                               ;   in Loop: Header=BB198_4 Depth=1
	v_add_co_u32 v6, vcc_lo, v6, s18
	v_lshlrev_b64_e32 v[12:13], 2, v[0:1]
	s_wait_alu 0xfffd
	v_add_co_ci_u32_e64 v7, null, s19, v7, vcc_lo
	s_delay_alu instid0(VALU_DEP_3) | instskip(SKIP_1) | instid1(VALU_DEP_2)
	v_add_co_u32 v8, vcc_lo, v6, v4
	s_wait_alu 0xfffd
	v_add_co_ci_u32_e64 v9, null, v7, v5, vcc_lo
	v_add_co_u32 v10, vcc_lo, v10, v12
	v_lshlrev_b64_e32 v[6:7], 2, v[2:3]
	s_wait_alu 0xfffd
	v_add_co_ci_u32_e64 v11, null, v11, v13, vcc_lo
	s_and_saveexec_b32 s25, s3
	s_cbranch_execnz .LBB198_28
; %bb.26:                               ;   in Loop: Header=BB198_4 Depth=1
	s_wait_alu 0xfffe
	s_or_b32 exec_lo, exec_lo, s25
	s_and_saveexec_b32 s25, s4
	s_cbranch_execnz .LBB198_29
.LBB198_27:                             ;   in Loop: Header=BB198_4 Depth=1
	s_wait_alu 0xfffe
	s_or_b32 exec_lo, exec_lo, s25
	s_delay_alu instid0(SALU_CYCLE_1)
	s_and_b32 exec_lo, exec_lo, s5
	s_cbranch_execz .LBB198_2
	s_branch .LBB198_30
.LBB198_28:                             ;   in Loop: Header=BB198_4 Depth=1
	v_add_co_u32 v12, vcc_lo, v8, v6
	s_wait_alu 0xfffd
	v_add_co_ci_u32_e64 v13, null, v9, v7, vcc_lo
	flat_load_b32 v12, v[12:13]
	s_wait_loadcnt_dscnt 0x0
	v_mul_f32_e32 v29, s39, v12
	v_add_co_u32 v12, vcc_lo, v10, v6
	s_wait_alu 0xfffd
	v_add_co_ci_u32_e64 v13, null, v11, v7, vcc_lo
	s_delay_alu instid0(VALU_DEP_3)
	v_fmac_f32_e32 v29, s38, v28
	flat_store_b32 v[12:13], v29
	s_wait_alu 0xfffe
	s_or_b32 exec_lo, exec_lo, s25
	s_and_saveexec_b32 s25, s4
	s_cbranch_execz .LBB198_27
.LBB198_29:                             ;   in Loop: Header=BB198_4 Depth=1
	v_add_co_u32 v12, vcc_lo, v8, v6
	s_wait_alu 0xfffd
	v_add_co_ci_u32_e64 v13, null, v9, v7, vcc_lo
	flat_load_b32 v12, v[12:13] offset:64
	s_wait_loadcnt_dscnt 0x0
	v_mul_f32_e32 v28, s39, v12
	v_add_co_u32 v12, vcc_lo, v10, v6
	s_wait_alu 0xfffd
	v_add_co_ci_u32_e64 v13, null, v11, v7, vcc_lo
	s_delay_alu instid0(VALU_DEP_3) | instskip(SKIP_3) | instid1(SALU_CYCLE_1)
	v_fmac_f32_e32 v28, s38, v27
	flat_store_b32 v[12:13], v28 offset:64
	s_wait_alu 0xfffe
	s_or_b32 exec_lo, exec_lo, s25
	s_and_b32 exec_lo, exec_lo, s5
	s_cbranch_execz .LBB198_2
.LBB198_30:                             ;   in Loop: Header=BB198_4 Depth=1
	v_add_co_u32 v8, vcc_lo, v8, s20
	s_lshl_b64 s[26:27], s[6:7], 2
	s_wait_alu 0xfffd
	v_add_co_ci_u32_e64 v9, null, s21, v9, vcc_lo
	s_wait_alu 0xfffe
	v_add_co_u32 v10, vcc_lo, v10, s26
	s_wait_alu 0xfffd
	v_add_co_ci_u32_e64 v11, null, s27, v11, vcc_lo
	v_add_co_u32 v8, vcc_lo, v8, v6
	s_wait_alu 0xfffd
	v_add_co_ci_u32_e64 v9, null, v9, v7, vcc_lo
	;; [unrolled: 3-line block ×3, first 2 shown]
	s_and_saveexec_b32 s25, s3
	s_cbranch_execz .LBB198_32
; %bb.31:                               ;   in Loop: Header=BB198_4 Depth=1
	flat_load_b32 v10, v[8:9]
	s_wait_loadcnt_dscnt 0x0
	v_mul_f32_e32 v10, s39, v10
	s_delay_alu instid0(VALU_DEP_1)
	v_fmac_f32_e32 v10, s38, v26
	flat_store_b32 v[6:7], v10
.LBB198_32:                             ;   in Loop: Header=BB198_4 Depth=1
	s_wait_alu 0xfffe
	s_or_b32 exec_lo, exec_lo, s25
	s_delay_alu instid0(SALU_CYCLE_1)
	s_and_b32 exec_lo, exec_lo, s4
	s_cbranch_execz .LBB198_2
; %bb.33:                               ;   in Loop: Header=BB198_4 Depth=1
	flat_load_b32 v8, v[8:9] offset:64
	s_wait_loadcnt_dscnt 0x0
	v_mul_f32_e32 v8, s39, v8
	s_delay_alu instid0(VALU_DEP_1)
	v_fmac_f32_e32 v8, s38, v25
	flat_store_b32 v[6:7], v8 offset:64
	s_branch .LBB198_2
.LBB198_34:
	s_endpgm
	.section	.rodata,"a",@progbits
	.p2align	6, 0x0
	.amdhsa_kernel _ZN12_GLOBAL__N_135rocblas_gemm_batched_general_kernelIfLi16ELi16ELi32ELi32ELi8ELi32ELi8ELi8ELi32ELc67ELc67EKPKfS3_KPfEEvlllT_PT11_llS8_llS6_PT12_llPT13_lli
		.amdhsa_group_segment_fixed_size 2048
		.amdhsa_private_segment_fixed_size 0
		.amdhsa_kernarg_size 140
		.amdhsa_user_sgpr_count 2
		.amdhsa_user_sgpr_dispatch_ptr 0
		.amdhsa_user_sgpr_queue_ptr 0
		.amdhsa_user_sgpr_kernarg_segment_ptr 1
		.amdhsa_user_sgpr_dispatch_id 0
		.amdhsa_user_sgpr_private_segment_size 0
		.amdhsa_wavefront_size32 1
		.amdhsa_uses_dynamic_stack 0
		.amdhsa_enable_private_segment 0
		.amdhsa_system_sgpr_workgroup_id_x 1
		.amdhsa_system_sgpr_workgroup_id_y 1
		.amdhsa_system_sgpr_workgroup_id_z 1
		.amdhsa_system_sgpr_workgroup_info 0
		.amdhsa_system_vgpr_workitem_id 1
		.amdhsa_next_free_vgpr 57
		.amdhsa_next_free_sgpr 44
		.amdhsa_reserve_vcc 1
		.amdhsa_float_round_mode_32 0
		.amdhsa_float_round_mode_16_64 0
		.amdhsa_float_denorm_mode_32 3
		.amdhsa_float_denorm_mode_16_64 3
		.amdhsa_fp16_overflow 0
		.amdhsa_workgroup_processor_mode 1
		.amdhsa_memory_ordered 1
		.amdhsa_forward_progress 1
		.amdhsa_inst_pref_size 18
		.amdhsa_round_robin_scheduling 0
		.amdhsa_exception_fp_ieee_invalid_op 0
		.amdhsa_exception_fp_denorm_src 0
		.amdhsa_exception_fp_ieee_div_zero 0
		.amdhsa_exception_fp_ieee_overflow 0
		.amdhsa_exception_fp_ieee_underflow 0
		.amdhsa_exception_fp_ieee_inexact 0
		.amdhsa_exception_int_div_zero 0
	.end_amdhsa_kernel
	.section	.text._ZN12_GLOBAL__N_135rocblas_gemm_batched_general_kernelIfLi16ELi16ELi32ELi32ELi8ELi32ELi8ELi8ELi32ELc67ELc67EKPKfS3_KPfEEvlllT_PT11_llS8_llS6_PT12_llPT13_lli,"axG",@progbits,_ZN12_GLOBAL__N_135rocblas_gemm_batched_general_kernelIfLi16ELi16ELi32ELi32ELi8ELi32ELi8ELi8ELi32ELc67ELc67EKPKfS3_KPfEEvlllT_PT11_llS8_llS6_PT12_llPT13_lli,comdat
.Lfunc_end198:
	.size	_ZN12_GLOBAL__N_135rocblas_gemm_batched_general_kernelIfLi16ELi16ELi32ELi32ELi8ELi32ELi8ELi8ELi32ELc67ELc67EKPKfS3_KPfEEvlllT_PT11_llS8_llS6_PT12_llPT13_lli, .Lfunc_end198-_ZN12_GLOBAL__N_135rocblas_gemm_batched_general_kernelIfLi16ELi16ELi32ELi32ELi8ELi32ELi8ELi8ELi32ELc67ELc67EKPKfS3_KPfEEvlllT_PT11_llS8_llS6_PT12_llPT13_lli
                                        ; -- End function
	.set _ZN12_GLOBAL__N_135rocblas_gemm_batched_general_kernelIfLi16ELi16ELi32ELi32ELi8ELi32ELi8ELi8ELi32ELc67ELc67EKPKfS3_KPfEEvlllT_PT11_llS8_llS6_PT12_llPT13_lli.num_vgpr, 57
	.set _ZN12_GLOBAL__N_135rocblas_gemm_batched_general_kernelIfLi16ELi16ELi32ELi32ELi8ELi32ELi8ELi8ELi32ELc67ELc67EKPKfS3_KPfEEvlllT_PT11_llS8_llS6_PT12_llPT13_lli.num_agpr, 0
	.set _ZN12_GLOBAL__N_135rocblas_gemm_batched_general_kernelIfLi16ELi16ELi32ELi32ELi8ELi32ELi8ELi8ELi32ELc67ELc67EKPKfS3_KPfEEvlllT_PT11_llS8_llS6_PT12_llPT13_lli.numbered_sgpr, 44
	.set _ZN12_GLOBAL__N_135rocblas_gemm_batched_general_kernelIfLi16ELi16ELi32ELi32ELi8ELi32ELi8ELi8ELi32ELc67ELc67EKPKfS3_KPfEEvlllT_PT11_llS8_llS6_PT12_llPT13_lli.num_named_barrier, 0
	.set _ZN12_GLOBAL__N_135rocblas_gemm_batched_general_kernelIfLi16ELi16ELi32ELi32ELi8ELi32ELi8ELi8ELi32ELc67ELc67EKPKfS3_KPfEEvlllT_PT11_llS8_llS6_PT12_llPT13_lli.private_seg_size, 0
	.set _ZN12_GLOBAL__N_135rocblas_gemm_batched_general_kernelIfLi16ELi16ELi32ELi32ELi8ELi32ELi8ELi8ELi32ELc67ELc67EKPKfS3_KPfEEvlllT_PT11_llS8_llS6_PT12_llPT13_lli.uses_vcc, 1
	.set _ZN12_GLOBAL__N_135rocblas_gemm_batched_general_kernelIfLi16ELi16ELi32ELi32ELi8ELi32ELi8ELi8ELi32ELc67ELc67EKPKfS3_KPfEEvlllT_PT11_llS8_llS6_PT12_llPT13_lli.uses_flat_scratch, 0
	.set _ZN12_GLOBAL__N_135rocblas_gemm_batched_general_kernelIfLi16ELi16ELi32ELi32ELi8ELi32ELi8ELi8ELi32ELc67ELc67EKPKfS3_KPfEEvlllT_PT11_llS8_llS6_PT12_llPT13_lli.has_dyn_sized_stack, 0
	.set _ZN12_GLOBAL__N_135rocblas_gemm_batched_general_kernelIfLi16ELi16ELi32ELi32ELi8ELi32ELi8ELi8ELi32ELc67ELc67EKPKfS3_KPfEEvlllT_PT11_llS8_llS6_PT12_llPT13_lli.has_recursion, 0
	.set _ZN12_GLOBAL__N_135rocblas_gemm_batched_general_kernelIfLi16ELi16ELi32ELi32ELi8ELi32ELi8ELi8ELi32ELc67ELc67EKPKfS3_KPfEEvlllT_PT11_llS8_llS6_PT12_llPT13_lli.has_indirect_call, 0
	.section	.AMDGPU.csdata,"",@progbits
; Kernel info:
; codeLenInByte = 2284
; TotalNumSgprs: 46
; NumVgprs: 57
; ScratchSize: 0
; MemoryBound: 0
; FloatMode: 240
; IeeeMode: 1
; LDSByteSize: 2048 bytes/workgroup (compile time only)
; SGPRBlocks: 0
; VGPRBlocks: 7
; NumSGPRsForWavesPerEU: 46
; NumVGPRsForWavesPerEU: 57
; Occupancy: 16
; WaveLimiterHint : 1
; COMPUTE_PGM_RSRC2:SCRATCH_EN: 0
; COMPUTE_PGM_RSRC2:USER_SGPR: 2
; COMPUTE_PGM_RSRC2:TRAP_HANDLER: 0
; COMPUTE_PGM_RSRC2:TGID_X_EN: 1
; COMPUTE_PGM_RSRC2:TGID_Y_EN: 1
; COMPUTE_PGM_RSRC2:TGID_Z_EN: 1
; COMPUTE_PGM_RSRC2:TIDIG_COMP_CNT: 1
	.section	.text._ZN12_GLOBAL__N_135rocblas_gemm_batched_general_kernelIfLi16ELi16ELi32ELi32ELi8ELi32ELi8ELi8ELi32ELc67ELc78EKPKfS3_KPfEEvlllT_PT11_llS8_llS6_PT12_llPT13_lli,"axG",@progbits,_ZN12_GLOBAL__N_135rocblas_gemm_batched_general_kernelIfLi16ELi16ELi32ELi32ELi8ELi32ELi8ELi8ELi32ELc67ELc78EKPKfS3_KPfEEvlllT_PT11_llS8_llS6_PT12_llPT13_lli,comdat
	.globl	_ZN12_GLOBAL__N_135rocblas_gemm_batched_general_kernelIfLi16ELi16ELi32ELi32ELi8ELi32ELi8ELi8ELi32ELc67ELc78EKPKfS3_KPfEEvlllT_PT11_llS8_llS6_PT12_llPT13_lli ; -- Begin function _ZN12_GLOBAL__N_135rocblas_gemm_batched_general_kernelIfLi16ELi16ELi32ELi32ELi8ELi32ELi8ELi8ELi32ELc67ELc78EKPKfS3_KPfEEvlllT_PT11_llS8_llS6_PT12_llPT13_lli
	.p2align	8
	.type	_ZN12_GLOBAL__N_135rocblas_gemm_batched_general_kernelIfLi16ELi16ELi32ELi32ELi8ELi32ELi8ELi8ELi32ELc67ELc78EKPKfS3_KPfEEvlllT_PT11_llS8_llS6_PT12_llPT13_lli,@function
_ZN12_GLOBAL__N_135rocblas_gemm_batched_general_kernelIfLi16ELi16ELi32ELi32ELi8ELi32ELi8ELi8ELi32ELc67ELc78EKPKfS3_KPfEEvlllT_PT11_llS8_llS6_PT12_llPT13_lli: ; @_ZN12_GLOBAL__N_135rocblas_gemm_batched_general_kernelIfLi16ELi16ELi32ELi32ELi8ELi32ELi8ELi8ELi32ELc67ELc78EKPKfS3_KPfEEvlllT_PT11_llS8_llS6_PT12_llPT13_lli
; %bb.0:
	s_load_b32 s33, s[0:1], 0x88
	s_lshr_b32 s34, ttmp7, 16
	s_wait_kmcnt 0x0
	s_cmp_ge_i32 s34, s33
	s_cbranch_scc1 .LBB199_34
; %bb.1:
	s_mov_b32 s2, ttmp9
	s_ashr_i32 s3, ttmp9, 31
	v_bfe_u32 v1, v0, 10, 10
	s_lshl_b64 s[40:41], s[2:3], 5
	s_delay_alu instid0(SALU_CYCLE_1)
	v_dual_mov_b32 v5, s41 :: v_dual_and_b32 v2, 0x3ff, v0
	s_clause 0x6
	s_load_b128 s[28:31], s[0:1], 0x0
	s_load_b96 s[36:38], s[0:1], 0x10
	s_load_b256 s[8:15], s[0:1], 0x20
	s_load_b128 s[4:7], s[0:1], 0x40
	s_load_b32 s39, s[0:1], 0x50
	s_load_b128 s[24:27], s[0:1], 0x78
	s_load_b256 s[16:23], s[0:1], 0x58
	v_dual_mov_b32 v16, 0 :: v_dual_and_b32 v15, 7, v0
	v_lshl_add_u32 v3, v1, 4, v2
	s_and_b32 s0, ttmp7, 0xffff
	v_lshlrev_b32_e32 v19, 2, v2
	s_lshl_b32 s2, s0, 5
	v_lshlrev_b32_e32 v13, 2, v15
	v_and_b32_e32 v6, 31, v3
	v_lshrrev_b32_e32 v0, 3, v3
	v_lshrrev_b32_e32 v14, 5, v3
	v_lshl_add_u32 v20, v1, 5, 0x400
	s_mov_b32 s35, 0
	v_or_b32_e32 v4, s40, v6
	v_lshlrev_b32_e32 v3, 2, v6
	v_add_co_u32 v6, s0, v0, s2
	s_delay_alu instid0(VALU_DEP_1) | instskip(SKIP_1) | instid1(VALU_DEP_4)
	v_add_co_ci_u32_e64 v7, null, 0, 0, s0
	v_lshl_or_b32 v0, v0, 5, v13
	v_lshl_or_b32 v17, v14, 7, v3
	s_wait_kmcnt 0x0
	v_mad_co_u64_u32 v[11:12], null, s4, v6, 0
	v_cmp_gt_i64_e64 s1, s[30:31], v[6:7]
	v_add_co_u32 v7, s2, s2, v1
	s_wait_alu 0xf1ff
	v_add_co_ci_u32_e64 v8, null, 0, 0, s2
	v_add_co_u32 v2, s2, s40, v2
	s_wait_alu 0xf1ff
	v_add_co_ci_u32_e64 v3, null, s41, 0, s2
	v_mad_co_u64_u32 v[25:26], null, v7, s18, 0
	v_add_nc_u32_e32 v18, 0x400, v0
	v_mad_co_u64_u32 v[0:1], null, v7, s24, 0
	v_add_co_u32 v9, vcc_lo, v2, 16
	s_delay_alu instid0(VALU_DEP_1) | instskip(SKIP_2) | instid1(VALU_DEP_3)
	v_add_co_ci_u32_e64 v10, null, 0, v3, vcc_lo
	v_cmp_gt_i64_e64 s0, s[28:29], v[4:5]
	v_add_co_u32 v21, vcc_lo, v7, 16
	v_cmp_gt_i64_e64 s4, s[28:29], v[9:10]
	v_mad_co_u64_u32 v[9:10], null, v7, s25, v[1:2]
	v_mov_b32_e32 v1, v12
	v_cmp_gt_i64_e64 s2, s[30:31], v[7:8]
	s_wait_alu 0xfffd
	v_add_co_ci_u32_e64 v22, null, 0, v8, vcc_lo
	v_mul_lo_u32 v8, s11, v4
	v_mad_co_u64_u32 v[5:6], null, s5, v6, v[1:2]
	v_mov_b32_e32 v1, v26
	v_mad_co_u64_u32 v[23:24], null, s10, v4, 0
	s_mul_i32 s10, s10, s41
	s_cmp_eq_f32 s39, 0
	v_mad_co_u64_u32 v[6:7], null, v7, s19, v[1:2]
	v_mov_b32_e32 v12, v5
	s_cselect_b32 s40, -1, 0
	s_wait_alu 0xfffe
	v_add3_u32 v24, v24, s10, v8
	s_lshl_b64 s[6:7], s[6:7], 2
	v_dual_mov_b32 v1, v9 :: v_dual_lshlrev_b32 v8, 2, v14
	v_lshlrev_b64_e32 v[4:5], 2, v[11:12]
	v_mov_b32_e32 v26, v6
	v_lshlrev_b64_e32 v[6:7], 2, v[23:24]
	v_cmp_gt_i64_e64 s5, s[30:31], v[21:22]
	v_cmp_gt_i64_e64 s3, s[28:29], v[2:3]
	s_lshl_b64 s[28:29], s[24:25], 4
	v_add_co_u32 v4, vcc_lo, v4, s6
	s_wait_alu 0xfffd
	v_add_co_ci_u32_e64 v5, null, s7, v5, vcc_lo
	s_lshl_b64 s[6:7], s[12:13], 2
	v_cmp_gt_i64_e64 s24, s[36:37], 0
	s_wait_alu 0xfffe
	v_add_co_u32 v6, vcc_lo, v6, s6
	s_wait_alu 0xfffd
	v_add_co_ci_u32_e64 v7, null, s7, v7, vcc_lo
	v_add_co_u32 v21, vcc_lo, v4, v13
	s_wait_alu 0xfffd
	v_add_co_ci_u32_e64 v22, null, 0, v5, vcc_lo
	v_add_co_u32 v23, vcc_lo, v6, v8
	v_lshlrev_b64_e32 v[4:5], 2, v[25:26]
	s_wait_alu 0xfffd
	v_add_co_ci_u32_e64 v24, null, 0, v7, vcc_lo
	s_lshl_b64 s[18:19], s[18:19], 4
	s_lshl_b64 s[6:7], s[26:27], 2
	;; [unrolled: 1-line block ×3, first 2 shown]
	s_wait_alu 0xfffe
	s_lshl_b64 s[12:13], s[18:19], 2
	s_lshl_b64 s[18:19], s[28:29], 2
	s_branch .LBB199_4
.LBB199_2:                              ;   in Loop: Header=BB199_4 Depth=1
	s_wait_alu 0xfffe
	s_or_b32 exec_lo, exec_lo, s20
.LBB199_3:                              ;   in Loop: Header=BB199_4 Depth=1
	s_add_co_i32 s34, s34, 0x10000
	s_delay_alu instid0(SALU_CYCLE_1)
	s_cmp_lt_i32 s34, s33
	s_cbranch_scc0 .LBB199_34
.LBB199_4:                              ; =>This Loop Header: Depth=1
                                        ;     Child Loop BB199_7 Depth 2
	s_lshl_b64 s[20:21], s[34:35], 3
	v_dual_mov_b32 v28, 0 :: v_dual_mov_b32 v27, 0
	s_wait_alu 0xfffe
	s_add_nc_u64 s[26:27], s[16:17], s[20:21]
	s_add_nc_u64 s[28:29], s[22:23], s[20:21]
	s_clause 0x1
	global_load_b64 v[6:7], v16, s[26:27]
	global_load_b64 v[8:9], v16, s[28:29]
	v_dual_mov_b32 v26, 0 :: v_dual_mov_b32 v25, 0
	s_and_not1_b32 vcc_lo, exec_lo, s24
	s_wait_alu 0xfffe
	s_cbranch_vccnz .LBB199_11
; %bb.5:                                ;   in Loop: Header=BB199_4 Depth=1
	s_add_nc_u64 s[26:27], s[14:15], s[20:21]
	s_add_nc_u64 s[20:21], s[8:9], s[20:21]
	s_clause 0x1
	global_load_b64 v[10:11], v16, s[26:27]
	global_load_b64 v[12:13], v16, s[20:21]
	v_dual_mov_b32 v25, 0 :: v_dual_mov_b32 v26, 0
	v_dual_mov_b32 v27, 0 :: v_dual_mov_b32 v28, 0
	s_mov_b64 s[20:21], 0
	s_wait_loadcnt 0x1
	v_add_co_u32 v10, vcc_lo, v10, v21
	s_wait_alu 0xfffd
	v_add_co_ci_u32_e64 v11, null, v11, v22, vcc_lo
	s_wait_loadcnt 0x0
	v_add_co_u32 v12, vcc_lo, v12, v23
	s_wait_alu 0xfffd
	v_add_co_ci_u32_e64 v13, null, v13, v24, vcc_lo
	s_branch .LBB199_7
.LBB199_6:                              ;   in Loop: Header=BB199_7 Depth=2
	s_wait_alu 0xfffe
	s_or_b32 exec_lo, exec_lo, s25
	s_wait_loadcnt_dscnt 0x0
	ds_store_b32 v18, v30
	s_wait_dscnt 0x0
	s_barrier_signal -1
	s_barrier_wait -1
	global_inv scope:SCOPE_SE
	ds_load_b128 v[29:32], v20
	ds_load_2addr_b32 v[45:46], v19 offset1:16
	ds_load_b128 v[33:36], v20 offset:512
	ds_load_2addr_b32 v[47:48], v19 offset0:32 offset1:48
	ds_load_2addr_b32 v[49:50], v19 offset0:64 offset1:80
	ds_load_2addr_b32 v[51:52], v19 offset0:96 offset1:112
	ds_load_b128 v[37:40], v20 offset:16
	ds_load_2addr_b32 v[53:54], v19 offset0:128 offset1:144
	ds_load_b128 v[41:44], v20 offset:528
	ds_load_2addr_b32 v[55:56], v19 offset0:160 offset1:176
	s_add_nc_u64 s[20:21], s[20:21], 8
	v_add_co_u32 v10, vcc_lo, v10, 32
	s_wait_alu 0xfffe
	v_cmp_lt_i64_e64 s25, s[20:21], s[36:37]
	s_wait_alu 0xfffd
	v_add_co_ci_u32_e64 v11, null, 0, v11, vcc_lo
	v_add_co_u32 v12, vcc_lo, v12, 32
	s_wait_alu 0xfffd
	v_add_co_ci_u32_e64 v13, null, 0, v13, vcc_lo
	s_and_b32 vcc_lo, exec_lo, s25
	s_wait_dscnt 0x8
	v_fmac_f32_e32 v27, v46, v29
	v_fmac_f32_e32 v28, v45, v29
	s_wait_dscnt 0x7
	v_fmac_f32_e32 v25, v46, v33
	v_fmac_f32_e32 v26, v45, v33
	ds_load_2addr_b32 v[45:46], v19 offset0:192 offset1:208
	s_wait_dscnt 0x7
	v_fmac_f32_e32 v27, v48, v30
	v_fmac_f32_e32 v28, v47, v30
	;; [unrolled: 1-line block ×4, first 2 shown]
	ds_load_2addr_b32 v[29:30], v19 offset0:224 offset1:240
	s_wait_dscnt 0x7
	v_fmac_f32_e32 v27, v50, v31
	v_fmac_f32_e32 v28, v49, v31
	;; [unrolled: 1-line block ×4, first 2 shown]
	s_wait_loadcnt_dscnt 0x0
	v_fmac_f32_e32 v27, v52, v32
	v_fmac_f32_e32 v28, v51, v32
	;; [unrolled: 1-line block ×4, first 2 shown]
	s_barrier_signal -1
	v_fmac_f32_e32 v27, v54, v37
	v_fmac_f32_e32 v28, v53, v37
	v_fmac_f32_e32 v25, v54, v41
	v_fmac_f32_e32 v26, v53, v41
	s_barrier_wait -1
	v_fmac_f32_e32 v27, v56, v38
	v_fmac_f32_e32 v28, v55, v38
	;; [unrolled: 1-line block ×4, first 2 shown]
	global_inv scope:SCOPE_SE
	v_fmac_f32_e32 v27, v46, v39
	v_fmac_f32_e32 v28, v45, v39
	;; [unrolled: 1-line block ×3, first 2 shown]
	s_delay_alu instid0(VALU_DEP_3) | instskip(NEXT) | instid1(VALU_DEP_3)
	v_dual_fmac_f32 v26, v45, v43 :: v_dual_fmac_f32 v27, v30, v40
	v_fmac_f32_e32 v28, v29, v40
	s_delay_alu instid0(VALU_DEP_3) | instskip(NEXT) | instid1(VALU_DEP_3)
	v_fmac_f32_e32 v25, v30, v44
	v_fmac_f32_e32 v26, v29, v44
	s_wait_alu 0xfffe
	s_cbranch_vccz .LBB199_11
.LBB199_7:                              ;   Parent Loop BB199_4 Depth=1
                                        ; =>  This Inner Loop Header: Depth=2
	s_wait_alu 0xfffe
	v_add_co_u32 v29, s25, v14, s20
	s_wait_alu 0xf1ff
	v_add_co_ci_u32_e64 v30, null, 0, s21, s25
	s_delay_alu instid0(VALU_DEP_1) | instskip(SKIP_2) | instid1(SALU_CYCLE_1)
	v_cmp_gt_i64_e32 vcc_lo, s[36:37], v[29:30]
	v_mov_b32_e32 v29, 0
	s_and_b32 s26, s0, vcc_lo
	s_and_saveexec_b32 s25, s26
	s_cbranch_execz .LBB199_9
; %bb.8:                                ;   in Loop: Header=BB199_7 Depth=2
	flat_load_b32 v29, v[12:13]
.LBB199_9:                              ;   in Loop: Header=BB199_7 Depth=2
	s_wait_alu 0xfffe
	s_or_b32 exec_lo, exec_lo, s25
	v_add_co_u32 v30, s25, v15, s20
	s_wait_alu 0xf1ff
	v_add_co_ci_u32_e64 v31, null, 0, s21, s25
	s_wait_loadcnt_dscnt 0x0
	ds_store_b32 v17, v29
	v_cmp_gt_i64_e32 vcc_lo, s[36:37], v[30:31]
	v_mov_b32_e32 v30, 0
	s_and_b32 s26, vcc_lo, s1
	s_delay_alu instid0(SALU_CYCLE_1)
	s_and_saveexec_b32 s25, s26
	s_cbranch_execz .LBB199_6
; %bb.10:                               ;   in Loop: Header=BB199_7 Depth=2
	flat_load_b32 v30, v[10:11]
	s_branch .LBB199_6
.LBB199_11:                             ;   in Loop: Header=BB199_4 Depth=1
	s_wait_loadcnt 0x0
	v_add_co_u32 v10, vcc_lo, v8, s6
	s_wait_alu 0xfffd
	v_add_co_ci_u32_e64 v11, null, s7, v9, vcc_lo
	s_and_not1_b32 vcc_lo, exec_lo, s40
	s_wait_alu 0xfffe
	s_cbranch_vccnz .LBB199_16
; %bb.12:                               ;   in Loop: Header=BB199_4 Depth=1
	s_and_saveexec_b32 s20, s2
	s_cbranch_execz .LBB199_23
; %bb.13:                               ;   in Loop: Header=BB199_4 Depth=1
	v_lshlrev_b64_e32 v[8:9], 2, v[0:1]
	s_delay_alu instid0(VALU_DEP_1) | instskip(SKIP_1) | instid1(VALU_DEP_2)
	v_add_co_u32 v8, vcc_lo, v10, v8
	s_wait_alu 0xfffd
	v_add_co_ci_u32_e64 v9, null, v11, v9, vcc_lo
	s_and_saveexec_b32 s21, s3
	s_cbranch_execnz .LBB199_17
; %bb.14:                               ;   in Loop: Header=BB199_4 Depth=1
	s_wait_alu 0xfffe
	s_or_b32 exec_lo, exec_lo, s21
	s_and_saveexec_b32 s21, s4
	s_cbranch_execnz .LBB199_18
.LBB199_15:                             ;   in Loop: Header=BB199_4 Depth=1
	s_wait_alu 0xfffe
	s_or_b32 exec_lo, exec_lo, s21
	s_delay_alu instid0(SALU_CYCLE_1)
	s_and_b32 exec_lo, exec_lo, s5
	s_cbranch_execnz .LBB199_19
	s_branch .LBB199_23
.LBB199_16:                             ;   in Loop: Header=BB199_4 Depth=1
	s_branch .LBB199_24
.LBB199_17:                             ;   in Loop: Header=BB199_4 Depth=1
	v_lshlrev_b64_e32 v[12:13], 2, v[2:3]
	v_mul_f32_e32 v29, s38, v28
	s_delay_alu instid0(VALU_DEP_2) | instskip(SKIP_1) | instid1(VALU_DEP_3)
	v_add_co_u32 v12, vcc_lo, v8, v12
	s_wait_alu 0xfffd
	v_add_co_ci_u32_e64 v13, null, v9, v13, vcc_lo
	flat_store_b32 v[12:13], v29
	s_wait_alu 0xfffe
	s_or_b32 exec_lo, exec_lo, s21
	s_and_saveexec_b32 s21, s4
	s_cbranch_execz .LBB199_15
.LBB199_18:                             ;   in Loop: Header=BB199_4 Depth=1
	v_lshlrev_b64_e32 v[12:13], 2, v[2:3]
	v_mul_f32_e32 v29, s38, v27
	s_delay_alu instid0(VALU_DEP_2) | instskip(SKIP_1) | instid1(VALU_DEP_3)
	v_add_co_u32 v12, vcc_lo, v8, v12
	s_wait_alu 0xfffd
	v_add_co_ci_u32_e64 v13, null, v9, v13, vcc_lo
	flat_store_b32 v[12:13], v29 offset:64
	s_wait_alu 0xfffe
	s_or_b32 exec_lo, exec_lo, s21
	s_delay_alu instid0(SALU_CYCLE_1)
	s_and_b32 exec_lo, exec_lo, s5
	s_cbranch_execz .LBB199_23
.LBB199_19:                             ;   in Loop: Header=BB199_4 Depth=1
	v_lshlrev_b64_e32 v[12:13], 2, v[2:3]
	v_add_co_u32 v8, vcc_lo, v8, s18
	s_wait_alu 0xfffd
	v_add_co_ci_u32_e64 v9, null, s19, v9, vcc_lo
	s_delay_alu instid0(VALU_DEP_2) | instskip(SKIP_1) | instid1(VALU_DEP_2)
	v_add_co_u32 v8, vcc_lo, v8, v12
	s_wait_alu 0xfffd
	v_add_co_ci_u32_e64 v9, null, v9, v13, vcc_lo
	s_and_saveexec_b32 s21, s3
	s_cbranch_execz .LBB199_21
; %bb.20:                               ;   in Loop: Header=BB199_4 Depth=1
	v_mul_f32_e32 v12, s38, v26
	flat_store_b32 v[8:9], v12
.LBB199_21:                             ;   in Loop: Header=BB199_4 Depth=1
	s_wait_alu 0xfffe
	s_or_b32 exec_lo, exec_lo, s21
	s_delay_alu instid0(SALU_CYCLE_1)
	s_and_b32 exec_lo, exec_lo, s4
	s_cbranch_execz .LBB199_23
; %bb.22:                               ;   in Loop: Header=BB199_4 Depth=1
	v_mul_f32_e32 v12, s38, v25
	flat_store_b32 v[8:9], v12 offset:64
.LBB199_23:                             ;   in Loop: Header=BB199_4 Depth=1
	s_wait_alu 0xfffe
	s_or_b32 exec_lo, exec_lo, s20
	s_cbranch_execnz .LBB199_3
.LBB199_24:                             ;   in Loop: Header=BB199_4 Depth=1
	s_and_saveexec_b32 s20, s2
	s_cbranch_execz .LBB199_2
; %bb.25:                               ;   in Loop: Header=BB199_4 Depth=1
	v_add_co_u32 v6, vcc_lo, v6, s10
	v_lshlrev_b64_e32 v[12:13], 2, v[0:1]
	s_wait_alu 0xfffd
	v_add_co_ci_u32_e64 v7, null, s11, v7, vcc_lo
	s_delay_alu instid0(VALU_DEP_3) | instskip(SKIP_1) | instid1(VALU_DEP_2)
	v_add_co_u32 v8, vcc_lo, v6, v4
	s_wait_alu 0xfffd
	v_add_co_ci_u32_e64 v9, null, v7, v5, vcc_lo
	v_add_co_u32 v10, vcc_lo, v10, v12
	v_lshlrev_b64_e32 v[6:7], 2, v[2:3]
	s_wait_alu 0xfffd
	v_add_co_ci_u32_e64 v11, null, v11, v13, vcc_lo
	s_and_saveexec_b32 s21, s3
	s_cbranch_execnz .LBB199_28
; %bb.26:                               ;   in Loop: Header=BB199_4 Depth=1
	s_wait_alu 0xfffe
	s_or_b32 exec_lo, exec_lo, s21
	s_and_saveexec_b32 s21, s4
	s_cbranch_execnz .LBB199_29
.LBB199_27:                             ;   in Loop: Header=BB199_4 Depth=1
	s_wait_alu 0xfffe
	s_or_b32 exec_lo, exec_lo, s21
	s_delay_alu instid0(SALU_CYCLE_1)
	s_and_b32 exec_lo, exec_lo, s5
	s_cbranch_execz .LBB199_2
	s_branch .LBB199_30
.LBB199_28:                             ;   in Loop: Header=BB199_4 Depth=1
	v_add_co_u32 v12, vcc_lo, v8, v6
	s_wait_alu 0xfffd
	v_add_co_ci_u32_e64 v13, null, v9, v7, vcc_lo
	flat_load_b32 v12, v[12:13]
	s_wait_loadcnt_dscnt 0x0
	v_mul_f32_e32 v29, s39, v12
	v_add_co_u32 v12, vcc_lo, v10, v6
	s_wait_alu 0xfffd
	v_add_co_ci_u32_e64 v13, null, v11, v7, vcc_lo
	s_delay_alu instid0(VALU_DEP_3)
	v_fmac_f32_e32 v29, s38, v28
	flat_store_b32 v[12:13], v29
	s_wait_alu 0xfffe
	s_or_b32 exec_lo, exec_lo, s21
	s_and_saveexec_b32 s21, s4
	s_cbranch_execz .LBB199_27
.LBB199_29:                             ;   in Loop: Header=BB199_4 Depth=1
	v_add_co_u32 v12, vcc_lo, v8, v6
	s_wait_alu 0xfffd
	v_add_co_ci_u32_e64 v13, null, v9, v7, vcc_lo
	flat_load_b32 v12, v[12:13] offset:64
	s_wait_loadcnt_dscnt 0x0
	v_mul_f32_e32 v28, s39, v12
	v_add_co_u32 v12, vcc_lo, v10, v6
	s_wait_alu 0xfffd
	v_add_co_ci_u32_e64 v13, null, v11, v7, vcc_lo
	s_delay_alu instid0(VALU_DEP_3) | instskip(SKIP_3) | instid1(SALU_CYCLE_1)
	v_fmac_f32_e32 v28, s38, v27
	flat_store_b32 v[12:13], v28 offset:64
	s_wait_alu 0xfffe
	s_or_b32 exec_lo, exec_lo, s21
	s_and_b32 exec_lo, exec_lo, s5
	s_cbranch_execz .LBB199_2
.LBB199_30:                             ;   in Loop: Header=BB199_4 Depth=1
	v_add_co_u32 v8, vcc_lo, v8, s12
	s_wait_alu 0xfffd
	v_add_co_ci_u32_e64 v9, null, s13, v9, vcc_lo
	v_add_co_u32 v10, vcc_lo, v10, s18
	s_wait_alu 0xfffd
	v_add_co_ci_u32_e64 v11, null, s19, v11, vcc_lo
	;; [unrolled: 3-line block ×4, first 2 shown]
	s_and_saveexec_b32 s21, s3
	s_cbranch_execz .LBB199_32
; %bb.31:                               ;   in Loop: Header=BB199_4 Depth=1
	flat_load_b32 v10, v[8:9]
	s_wait_loadcnt_dscnt 0x0
	v_mul_f32_e32 v10, s39, v10
	s_delay_alu instid0(VALU_DEP_1)
	v_fmac_f32_e32 v10, s38, v26
	flat_store_b32 v[6:7], v10
.LBB199_32:                             ;   in Loop: Header=BB199_4 Depth=1
	s_wait_alu 0xfffe
	s_or_b32 exec_lo, exec_lo, s21
	s_delay_alu instid0(SALU_CYCLE_1)
	s_and_b32 exec_lo, exec_lo, s4
	s_cbranch_execz .LBB199_2
; %bb.33:                               ;   in Loop: Header=BB199_4 Depth=1
	flat_load_b32 v8, v[8:9] offset:64
	s_wait_loadcnt_dscnt 0x0
	v_mul_f32_e32 v8, s39, v8
	s_delay_alu instid0(VALU_DEP_1)
	v_fmac_f32_e32 v8, s38, v25
	flat_store_b32 v[6:7], v8 offset:64
	s_branch .LBB199_2
.LBB199_34:
	s_endpgm
	.section	.rodata,"a",@progbits
	.p2align	6, 0x0
	.amdhsa_kernel _ZN12_GLOBAL__N_135rocblas_gemm_batched_general_kernelIfLi16ELi16ELi32ELi32ELi8ELi32ELi8ELi8ELi32ELc67ELc78EKPKfS3_KPfEEvlllT_PT11_llS8_llS6_PT12_llPT13_lli
		.amdhsa_group_segment_fixed_size 2048
		.amdhsa_private_segment_fixed_size 0
		.amdhsa_kernarg_size 140
		.amdhsa_user_sgpr_count 2
		.amdhsa_user_sgpr_dispatch_ptr 0
		.amdhsa_user_sgpr_queue_ptr 0
		.amdhsa_user_sgpr_kernarg_segment_ptr 1
		.amdhsa_user_sgpr_dispatch_id 0
		.amdhsa_user_sgpr_private_segment_size 0
		.amdhsa_wavefront_size32 1
		.amdhsa_uses_dynamic_stack 0
		.amdhsa_enable_private_segment 0
		.amdhsa_system_sgpr_workgroup_id_x 1
		.amdhsa_system_sgpr_workgroup_id_y 1
		.amdhsa_system_sgpr_workgroup_id_z 1
		.amdhsa_system_sgpr_workgroup_info 0
		.amdhsa_system_vgpr_workitem_id 1
		.amdhsa_next_free_vgpr 57
		.amdhsa_next_free_sgpr 42
		.amdhsa_reserve_vcc 1
		.amdhsa_float_round_mode_32 0
		.amdhsa_float_round_mode_16_64 0
		.amdhsa_float_denorm_mode_32 3
		.amdhsa_float_denorm_mode_16_64 3
		.amdhsa_fp16_overflow 0
		.amdhsa_workgroup_processor_mode 1
		.amdhsa_memory_ordered 1
		.amdhsa_forward_progress 1
		.amdhsa_inst_pref_size 18
		.amdhsa_round_robin_scheduling 0
		.amdhsa_exception_fp_ieee_invalid_op 0
		.amdhsa_exception_fp_denorm_src 0
		.amdhsa_exception_fp_ieee_div_zero 0
		.amdhsa_exception_fp_ieee_overflow 0
		.amdhsa_exception_fp_ieee_underflow 0
		.amdhsa_exception_fp_ieee_inexact 0
		.amdhsa_exception_int_div_zero 0
	.end_amdhsa_kernel
	.section	.text._ZN12_GLOBAL__N_135rocblas_gemm_batched_general_kernelIfLi16ELi16ELi32ELi32ELi8ELi32ELi8ELi8ELi32ELc67ELc78EKPKfS3_KPfEEvlllT_PT11_llS8_llS6_PT12_llPT13_lli,"axG",@progbits,_ZN12_GLOBAL__N_135rocblas_gemm_batched_general_kernelIfLi16ELi16ELi32ELi32ELi8ELi32ELi8ELi8ELi32ELc67ELc78EKPKfS3_KPfEEvlllT_PT11_llS8_llS6_PT12_llPT13_lli,comdat
.Lfunc_end199:
	.size	_ZN12_GLOBAL__N_135rocblas_gemm_batched_general_kernelIfLi16ELi16ELi32ELi32ELi8ELi32ELi8ELi8ELi32ELc67ELc78EKPKfS3_KPfEEvlllT_PT11_llS8_llS6_PT12_llPT13_lli, .Lfunc_end199-_ZN12_GLOBAL__N_135rocblas_gemm_batched_general_kernelIfLi16ELi16ELi32ELi32ELi8ELi32ELi8ELi8ELi32ELc67ELc78EKPKfS3_KPfEEvlllT_PT11_llS8_llS6_PT12_llPT13_lli
                                        ; -- End function
	.set _ZN12_GLOBAL__N_135rocblas_gemm_batched_general_kernelIfLi16ELi16ELi32ELi32ELi8ELi32ELi8ELi8ELi32ELc67ELc78EKPKfS3_KPfEEvlllT_PT11_llS8_llS6_PT12_llPT13_lli.num_vgpr, 57
	.set _ZN12_GLOBAL__N_135rocblas_gemm_batched_general_kernelIfLi16ELi16ELi32ELi32ELi8ELi32ELi8ELi8ELi32ELc67ELc78EKPKfS3_KPfEEvlllT_PT11_llS8_llS6_PT12_llPT13_lli.num_agpr, 0
	.set _ZN12_GLOBAL__N_135rocblas_gemm_batched_general_kernelIfLi16ELi16ELi32ELi32ELi8ELi32ELi8ELi8ELi32ELc67ELc78EKPKfS3_KPfEEvlllT_PT11_llS8_llS6_PT12_llPT13_lli.numbered_sgpr, 42
	.set _ZN12_GLOBAL__N_135rocblas_gemm_batched_general_kernelIfLi16ELi16ELi32ELi32ELi8ELi32ELi8ELi8ELi32ELc67ELc78EKPKfS3_KPfEEvlllT_PT11_llS8_llS6_PT12_llPT13_lli.num_named_barrier, 0
	.set _ZN12_GLOBAL__N_135rocblas_gemm_batched_general_kernelIfLi16ELi16ELi32ELi32ELi8ELi32ELi8ELi8ELi32ELc67ELc78EKPKfS3_KPfEEvlllT_PT11_llS8_llS6_PT12_llPT13_lli.private_seg_size, 0
	.set _ZN12_GLOBAL__N_135rocblas_gemm_batched_general_kernelIfLi16ELi16ELi32ELi32ELi8ELi32ELi8ELi8ELi32ELc67ELc78EKPKfS3_KPfEEvlllT_PT11_llS8_llS6_PT12_llPT13_lli.uses_vcc, 1
	.set _ZN12_GLOBAL__N_135rocblas_gemm_batched_general_kernelIfLi16ELi16ELi32ELi32ELi8ELi32ELi8ELi8ELi32ELc67ELc78EKPKfS3_KPfEEvlllT_PT11_llS8_llS6_PT12_llPT13_lli.uses_flat_scratch, 0
	.set _ZN12_GLOBAL__N_135rocblas_gemm_batched_general_kernelIfLi16ELi16ELi32ELi32ELi8ELi32ELi8ELi8ELi32ELc67ELc78EKPKfS3_KPfEEvlllT_PT11_llS8_llS6_PT12_llPT13_lli.has_dyn_sized_stack, 0
	.set _ZN12_GLOBAL__N_135rocblas_gemm_batched_general_kernelIfLi16ELi16ELi32ELi32ELi8ELi32ELi8ELi8ELi32ELc67ELc78EKPKfS3_KPfEEvlllT_PT11_llS8_llS6_PT12_llPT13_lli.has_recursion, 0
	.set _ZN12_GLOBAL__N_135rocblas_gemm_batched_general_kernelIfLi16ELi16ELi32ELi32ELi8ELi32ELi8ELi8ELi32ELc67ELc78EKPKfS3_KPfEEvlllT_PT11_llS8_llS6_PT12_llPT13_lli.has_indirect_call, 0
	.section	.AMDGPU.csdata,"",@progbits
; Kernel info:
; codeLenInByte = 2240
; TotalNumSgprs: 44
; NumVgprs: 57
; ScratchSize: 0
; MemoryBound: 0
; FloatMode: 240
; IeeeMode: 1
; LDSByteSize: 2048 bytes/workgroup (compile time only)
; SGPRBlocks: 0
; VGPRBlocks: 7
; NumSGPRsForWavesPerEU: 44
; NumVGPRsForWavesPerEU: 57
; Occupancy: 16
; WaveLimiterHint : 1
; COMPUTE_PGM_RSRC2:SCRATCH_EN: 0
; COMPUTE_PGM_RSRC2:USER_SGPR: 2
; COMPUTE_PGM_RSRC2:TRAP_HANDLER: 0
; COMPUTE_PGM_RSRC2:TGID_X_EN: 1
; COMPUTE_PGM_RSRC2:TGID_Y_EN: 1
; COMPUTE_PGM_RSRC2:TGID_Z_EN: 1
; COMPUTE_PGM_RSRC2:TIDIG_COMP_CNT: 1
	.section	.text._ZN12_GLOBAL__N_135rocblas_gemm_batched_general_kernelIfLi16ELi16ELi32ELi32ELi8ELi32ELi8ELi8ELi32ELc67ELc84EKPKfS3_KPfEEvlllT_PT11_llS8_llS6_PT12_llPT13_lli,"axG",@progbits,_ZN12_GLOBAL__N_135rocblas_gemm_batched_general_kernelIfLi16ELi16ELi32ELi32ELi8ELi32ELi8ELi8ELi32ELc67ELc84EKPKfS3_KPfEEvlllT_PT11_llS8_llS6_PT12_llPT13_lli,comdat
	.globl	_ZN12_GLOBAL__N_135rocblas_gemm_batched_general_kernelIfLi16ELi16ELi32ELi32ELi8ELi32ELi8ELi8ELi32ELc67ELc84EKPKfS3_KPfEEvlllT_PT11_llS8_llS6_PT12_llPT13_lli ; -- Begin function _ZN12_GLOBAL__N_135rocblas_gemm_batched_general_kernelIfLi16ELi16ELi32ELi32ELi8ELi32ELi8ELi8ELi32ELc67ELc84EKPKfS3_KPfEEvlllT_PT11_llS8_llS6_PT12_llPT13_lli
	.p2align	8
	.type	_ZN12_GLOBAL__N_135rocblas_gemm_batched_general_kernelIfLi16ELi16ELi32ELi32ELi8ELi32ELi8ELi8ELi32ELc67ELc84EKPKfS3_KPfEEvlllT_PT11_llS8_llS6_PT12_llPT13_lli,@function
_ZN12_GLOBAL__N_135rocblas_gemm_batched_general_kernelIfLi16ELi16ELi32ELi32ELi8ELi32ELi8ELi8ELi32ELc67ELc84EKPKfS3_KPfEEvlllT_PT11_llS8_llS6_PT12_llPT13_lli: ; @_ZN12_GLOBAL__N_135rocblas_gemm_batched_general_kernelIfLi16ELi16ELi32ELi32ELi8ELi32ELi8ELi8ELi32ELc67ELc84EKPKfS3_KPfEEvlllT_PT11_llS8_llS6_PT12_llPT13_lli
; %bb.0:
	s_load_b32 s33, s[0:1], 0x88
	s_lshr_b32 s34, ttmp7, 16
	s_wait_kmcnt 0x0
	s_cmp_ge_i32 s34, s33
	s_cbranch_scc1 .LBB200_34
; %bb.1:
	v_bfe_u32 v2, v0, 10, 10
	v_dual_mov_b32 v16, 0 :: v_dual_and_b32 v3, 0x3ff, v0
	s_clause 0x6
	s_load_b128 s[4:7], s[0:1], 0x0
	s_load_b96 s[36:38], s[0:1], 0x10
	s_load_b256 s[8:15], s[0:1], 0x20
	s_load_b128 s[28:31], s[0:1], 0x40
	s_load_b32 s39, s[0:1], 0x50
	s_load_b128 s[24:27], s[0:1], 0x78
	s_load_b256 s[16:23], s[0:1], 0x58
	s_mov_b32 s2, ttmp9
	v_lshl_add_u32 v1, v2, 4, v3
	s_ashr_i32 s3, ttmp9, 31
	s_and_b32 s43, ttmp7, 0xffff
	s_lshl_b64 s[40:41], s[2:3], 5
	s_lshl_b32 s2, s43, 5
	v_dual_mov_b32 v5, s41 :: v_dual_and_b32 v6, 31, v1
	v_lshrrev_b32_e32 v13, 3, v1
	v_and_b32_e32 v15, 7, v0
	v_lshrrev_b32_e32 v14, 5, v1
	s_delay_alu instid0(VALU_DEP_4) | instskip(SKIP_2) | instid1(VALU_DEP_1)
	v_or_b32_e32 v4, s40, v6
	v_lshl_add_u32 v20, v2, 5, 0x400
	v_add_co_u32 v0, s0, v13, s2
	v_add_co_ci_u32_e64 v1, null, 0, 0, s0
	s_wait_kmcnt 0x0
	v_cmp_gt_i64_e64 s0, s[4:5], v[4:5]
	v_add_co_u32 v5, s2, s2, v2
	v_lshlrev_b32_e32 v7, 2, v15
	v_cmp_gt_i64_e64 s1, s[6:7], v[0:1]
	v_add_co_u32 v2, s3, s40, v3
	s_delay_alu instid0(VALU_DEP_4) | instskip(NEXT) | instid1(VALU_DEP_4)
	v_mad_co_u64_u32 v[0:1], null, v5, s24, 0
	v_lshl_or_b32 v7, v13, 5, v7
	v_mad_co_u64_u32 v[9:10], null, s28, v15, 0
	s_delay_alu instid0(VALU_DEP_4)
	v_add_co_u32 v11, vcc_lo, v2, 16
	s_cmp_eq_f32 s39, 0
	v_mad_co_u64_u32 v[21:22], null, v5, s25, v[1:2]
	v_add_nc_u32_e32 v18, 0x400, v7
	v_mad_co_u64_u32 v[7:8], null, v5, s18, 0
	v_lshlrev_b32_e32 v6, 2, v6
	s_mov_b32 s35, 0
	s_cselect_b32 s42, -1, 0
	s_lshl_b64 s[30:31], s[30:31], 2
	s_delay_alu instid0(VALU_DEP_2) | instskip(SKIP_3) | instid1(VALU_DEP_3)
	v_dual_mov_b32 v1, v8 :: v_dual_mov_b32 v8, v10
	v_lshl_or_b32 v17, v14, 7, v6
	s_wait_alu 0xf1ff
	v_add_co_ci_u32_e64 v6, null, 0, 0, s2
	v_mad_co_u64_u32 v[24:25], null, s29, v15, v[8:9]
	v_lshlrev_b32_e32 v19, 2, v3
	v_add_co_ci_u32_e64 v3, null, s41, 0, s3
	s_delay_alu instid0(VALU_DEP_4) | instskip(NEXT) | instid1(VALU_DEP_2)
	v_cmp_gt_i64_e64 s2, s[6:7], v[5:6]
	v_add_co_ci_u32_e64 v12, null, 0, v3, vcc_lo
	v_add_co_u32 v22, vcc_lo, v5, 16
	s_wait_alu 0xfffd
	v_add_co_ci_u32_e64 v23, null, 0, v6, vcc_lo
	v_mad_co_u64_u32 v[5:6], null, v5, s19, v[1:2]
	v_mul_lo_u32 v6, s11, v4
	v_mov_b32_e32 v10, v24
	v_cmp_gt_i64_e64 s3, s[4:5], v[2:3]
	v_cmp_gt_i64_e64 s4, s[4:5], v[11:12]
	;; [unrolled: 1-line block ×3, first 2 shown]
	s_lshl_b64 s[6:7], s[24:25], 4
	v_mov_b32_e32 v8, v5
	v_mad_co_u64_u32 v[4:5], null, s10, v4, 0
	v_lshlrev_b64_e32 v[9:10], 2, v[9:10]
	s_mul_i32 s10, s10, s41
	s_lshl_b64 s[24:25], s[18:19], 4
	s_lshl_b32 s18, s43, 7
	s_mov_b32 s19, s35
	v_lshlrev_b32_e32 v11, 2, v13
	s_wait_alu 0xfffe
	v_add3_u32 v5, v5, s10, v6
	s_add_nc_u64 s[18:19], s[30:31], s[18:19]
	v_mov_b32_e32 v1, v21
	s_wait_alu 0xfffe
	v_add_co_u32 v6, vcc_lo, s18, v9
	v_lshlrev_b64_e32 v[4:5], 2, v[4:5]
	s_wait_alu 0xfffd
	v_add_co_ci_u32_e64 v9, null, s19, v10, vcc_lo
	s_delay_alu instid0(VALU_DEP_3)
	v_add_co_u32 v21, vcc_lo, v6, v11
	s_lshl_b64 s[10:11], s[12:13], 2
	s_wait_alu 0xfffd
	v_add_co_ci_u32_e64 v22, null, 0, v9, vcc_lo
	v_lshlrev_b32_e32 v6, 2, v14
	s_wait_alu 0xfffe
	v_add_co_u32 v4, vcc_lo, v4, s10
	s_wait_alu 0xfffd
	v_add_co_ci_u32_e64 v5, null, s11, v5, vcc_lo
	s_lshl_b64 s[10:11], s[28:29], 5
	v_add_co_u32 v23, vcc_lo, v4, v6
	s_wait_alu 0xfffd
	v_add_co_ci_u32_e64 v24, null, 0, v5, vcc_lo
	v_lshlrev_b64_e32 v[4:5], 2, v[7:8]
	v_cmp_gt_i64_e64 s28, s[36:37], 0
	s_lshl_b64 s[12:13], s[26:27], 2
	s_lshl_b64 s[18:19], s[20:21], 2
	;; [unrolled: 1-line block ×3, first 2 shown]
	s_branch .LBB200_4
.LBB200_2:                              ;   in Loop: Header=BB200_4 Depth=1
	s_wait_alu 0xfffe
	s_or_b32 exec_lo, exec_lo, s24
.LBB200_3:                              ;   in Loop: Header=BB200_4 Depth=1
	s_add_co_i32 s34, s34, 0x10000
	s_delay_alu instid0(SALU_CYCLE_1)
	s_cmp_lt_i32 s34, s33
	s_cbranch_scc0 .LBB200_34
.LBB200_4:                              ; =>This Loop Header: Depth=1
                                        ;     Child Loop BB200_7 Depth 2
	s_lshl_b64 s[24:25], s[34:35], 3
	v_dual_mov_b32 v28, 0 :: v_dual_mov_b32 v27, 0
	s_wait_alu 0xfffe
	s_add_nc_u64 s[26:27], s[16:17], s[24:25]
	s_add_nc_u64 s[30:31], s[22:23], s[24:25]
	s_clause 0x1
	global_load_b64 v[6:7], v16, s[26:27]
	global_load_b64 v[8:9], v16, s[30:31]
	v_dual_mov_b32 v26, 0 :: v_dual_mov_b32 v25, 0
	s_and_not1_b32 vcc_lo, exec_lo, s28
	s_wait_alu 0xfffe
	s_cbranch_vccnz .LBB200_11
; %bb.5:                                ;   in Loop: Header=BB200_4 Depth=1
	s_add_nc_u64 s[26:27], s[14:15], s[24:25]
	s_add_nc_u64 s[24:25], s[8:9], s[24:25]
	s_clause 0x1
	global_load_b64 v[10:11], v16, s[26:27]
	global_load_b64 v[12:13], v16, s[24:25]
	v_dual_mov_b32 v25, 0 :: v_dual_mov_b32 v26, 0
	v_dual_mov_b32 v27, 0 :: v_dual_mov_b32 v28, 0
	s_mov_b64 s[24:25], 0
	s_wait_loadcnt 0x1
	v_add_co_u32 v10, vcc_lo, v10, v21
	s_wait_alu 0xfffd
	v_add_co_ci_u32_e64 v11, null, v11, v22, vcc_lo
	s_wait_loadcnt 0x0
	v_add_co_u32 v12, vcc_lo, v12, v23
	s_wait_alu 0xfffd
	v_add_co_ci_u32_e64 v13, null, v13, v24, vcc_lo
	s_branch .LBB200_7
.LBB200_6:                              ;   in Loop: Header=BB200_7 Depth=2
	s_wait_alu 0xfffe
	s_or_b32 exec_lo, exec_lo, s26
	s_wait_loadcnt_dscnt 0x0
	ds_store_b32 v18, v30
	s_wait_dscnt 0x0
	s_barrier_signal -1
	s_barrier_wait -1
	global_inv scope:SCOPE_SE
	ds_load_b128 v[29:32], v20
	ds_load_2addr_b32 v[45:46], v19 offset1:16
	ds_load_b128 v[33:36], v20 offset:512
	ds_load_2addr_b32 v[47:48], v19 offset0:32 offset1:48
	ds_load_2addr_b32 v[49:50], v19 offset0:64 offset1:80
	ds_load_2addr_b32 v[51:52], v19 offset0:96 offset1:112
	ds_load_b128 v[37:40], v20 offset:16
	ds_load_2addr_b32 v[53:54], v19 offset0:128 offset1:144
	ds_load_b128 v[41:44], v20 offset:528
	ds_load_2addr_b32 v[55:56], v19 offset0:160 offset1:176
	s_add_nc_u64 s[24:25], s[24:25], 8
	v_add_co_u32 v10, vcc_lo, v10, s10
	s_wait_alu 0xfffe
	v_cmp_lt_i64_e64 s26, s[24:25], s[36:37]
	s_wait_alu 0xfffd
	v_add_co_ci_u32_e64 v11, null, s11, v11, vcc_lo
	v_add_co_u32 v12, vcc_lo, v12, 32
	s_wait_alu 0xfffd
	v_add_co_ci_u32_e64 v13, null, 0, v13, vcc_lo
	s_and_b32 vcc_lo, exec_lo, s26
	s_wait_dscnt 0x8
	v_fmac_f32_e32 v27, v46, v29
	v_fmac_f32_e32 v28, v45, v29
	s_wait_dscnt 0x7
	v_fmac_f32_e32 v25, v46, v33
	v_fmac_f32_e32 v26, v45, v33
	ds_load_2addr_b32 v[45:46], v19 offset0:192 offset1:208
	s_wait_dscnt 0x7
	v_fmac_f32_e32 v27, v48, v30
	v_fmac_f32_e32 v28, v47, v30
	v_fmac_f32_e32 v25, v48, v34
	v_fmac_f32_e32 v26, v47, v34
	ds_load_2addr_b32 v[29:30], v19 offset0:224 offset1:240
	s_wait_dscnt 0x7
	v_fmac_f32_e32 v27, v50, v31
	v_fmac_f32_e32 v28, v49, v31
	;; [unrolled: 1-line block ×4, first 2 shown]
	s_wait_loadcnt_dscnt 0x0
	v_fmac_f32_e32 v27, v52, v32
	v_fmac_f32_e32 v28, v51, v32
	;; [unrolled: 1-line block ×4, first 2 shown]
	s_barrier_signal -1
	v_fmac_f32_e32 v27, v54, v37
	v_fmac_f32_e32 v28, v53, v37
	;; [unrolled: 1-line block ×4, first 2 shown]
	s_barrier_wait -1
	v_fmac_f32_e32 v27, v56, v38
	v_fmac_f32_e32 v28, v55, v38
	;; [unrolled: 1-line block ×4, first 2 shown]
	global_inv scope:SCOPE_SE
	v_fmac_f32_e32 v27, v46, v39
	v_fmac_f32_e32 v28, v45, v39
	;; [unrolled: 1-line block ×3, first 2 shown]
	s_delay_alu instid0(VALU_DEP_3) | instskip(NEXT) | instid1(VALU_DEP_3)
	v_dual_fmac_f32 v26, v45, v43 :: v_dual_fmac_f32 v27, v30, v40
	v_fmac_f32_e32 v28, v29, v40
	s_delay_alu instid0(VALU_DEP_3) | instskip(NEXT) | instid1(VALU_DEP_3)
	v_fmac_f32_e32 v25, v30, v44
	v_fmac_f32_e32 v26, v29, v44
	s_wait_alu 0xfffe
	s_cbranch_vccz .LBB200_11
.LBB200_7:                              ;   Parent Loop BB200_4 Depth=1
                                        ; =>  This Inner Loop Header: Depth=2
	s_wait_alu 0xfffe
	v_add_co_u32 v29, s26, v14, s24
	s_wait_alu 0xf1ff
	v_add_co_ci_u32_e64 v30, null, 0, s25, s26
	s_delay_alu instid0(VALU_DEP_1)
	v_cmp_gt_i64_e32 vcc_lo, s[36:37], v[29:30]
	v_mov_b32_e32 v29, 0
	s_and_b32 s27, s0, vcc_lo
	s_wait_alu 0xfffe
	s_and_saveexec_b32 s26, s27
	s_cbranch_execz .LBB200_9
; %bb.8:                                ;   in Loop: Header=BB200_7 Depth=2
	flat_load_b32 v29, v[12:13]
.LBB200_9:                              ;   in Loop: Header=BB200_7 Depth=2
	s_wait_alu 0xfffe
	s_or_b32 exec_lo, exec_lo, s26
	v_add_co_u32 v30, s26, v15, s24
	s_wait_alu 0xf1ff
	v_add_co_ci_u32_e64 v31, null, 0, s25, s26
	s_wait_loadcnt_dscnt 0x0
	ds_store_b32 v17, v29
	v_cmp_gt_i64_e32 vcc_lo, s[36:37], v[30:31]
	v_mov_b32_e32 v30, 0
	s_and_b32 s27, vcc_lo, s1
	s_wait_alu 0xfffe
	s_and_saveexec_b32 s26, s27
	s_cbranch_execz .LBB200_6
; %bb.10:                               ;   in Loop: Header=BB200_7 Depth=2
	flat_load_b32 v30, v[10:11]
	s_branch .LBB200_6
.LBB200_11:                             ;   in Loop: Header=BB200_4 Depth=1
	s_wait_loadcnt 0x0
	v_add_co_u32 v10, vcc_lo, v8, s12
	s_wait_alu 0xfffd
	v_add_co_ci_u32_e64 v11, null, s13, v9, vcc_lo
	s_and_not1_b32 vcc_lo, exec_lo, s42
	s_wait_alu 0xfffe
	s_cbranch_vccnz .LBB200_16
; %bb.12:                               ;   in Loop: Header=BB200_4 Depth=1
	s_and_saveexec_b32 s24, s2
	s_cbranch_execz .LBB200_23
; %bb.13:                               ;   in Loop: Header=BB200_4 Depth=1
	v_lshlrev_b64_e32 v[8:9], 2, v[0:1]
	s_delay_alu instid0(VALU_DEP_1) | instskip(SKIP_1) | instid1(VALU_DEP_2)
	v_add_co_u32 v8, vcc_lo, v10, v8
	s_wait_alu 0xfffd
	v_add_co_ci_u32_e64 v9, null, v11, v9, vcc_lo
	s_and_saveexec_b32 s25, s3
	s_cbranch_execnz .LBB200_17
; %bb.14:                               ;   in Loop: Header=BB200_4 Depth=1
	s_wait_alu 0xfffe
	s_or_b32 exec_lo, exec_lo, s25
	s_and_saveexec_b32 s25, s4
	s_cbranch_execnz .LBB200_18
.LBB200_15:                             ;   in Loop: Header=BB200_4 Depth=1
	s_wait_alu 0xfffe
	s_or_b32 exec_lo, exec_lo, s25
	s_delay_alu instid0(SALU_CYCLE_1)
	s_and_b32 exec_lo, exec_lo, s5
	s_cbranch_execnz .LBB200_19
	s_branch .LBB200_23
.LBB200_16:                             ;   in Loop: Header=BB200_4 Depth=1
	s_branch .LBB200_24
.LBB200_17:                             ;   in Loop: Header=BB200_4 Depth=1
	v_lshlrev_b64_e32 v[12:13], 2, v[2:3]
	v_mul_f32_e32 v29, s38, v28
	s_delay_alu instid0(VALU_DEP_2) | instskip(SKIP_1) | instid1(VALU_DEP_3)
	v_add_co_u32 v12, vcc_lo, v8, v12
	s_wait_alu 0xfffd
	v_add_co_ci_u32_e64 v13, null, v9, v13, vcc_lo
	flat_store_b32 v[12:13], v29
	s_wait_alu 0xfffe
	s_or_b32 exec_lo, exec_lo, s25
	s_and_saveexec_b32 s25, s4
	s_cbranch_execz .LBB200_15
.LBB200_18:                             ;   in Loop: Header=BB200_4 Depth=1
	v_lshlrev_b64_e32 v[12:13], 2, v[2:3]
	v_mul_f32_e32 v29, s38, v27
	s_delay_alu instid0(VALU_DEP_2) | instskip(SKIP_1) | instid1(VALU_DEP_3)
	v_add_co_u32 v12, vcc_lo, v8, v12
	s_wait_alu 0xfffd
	v_add_co_ci_u32_e64 v13, null, v9, v13, vcc_lo
	flat_store_b32 v[12:13], v29 offset:64
	s_wait_alu 0xfffe
	s_or_b32 exec_lo, exec_lo, s25
	s_delay_alu instid0(SALU_CYCLE_1)
	s_and_b32 exec_lo, exec_lo, s5
	s_cbranch_execz .LBB200_23
.LBB200_19:                             ;   in Loop: Header=BB200_4 Depth=1
	s_lshl_b64 s[26:27], s[6:7], 2
	v_lshlrev_b64_e32 v[12:13], 2, v[2:3]
	s_wait_alu 0xfffe
	v_add_co_u32 v8, vcc_lo, v8, s26
	s_wait_alu 0xfffd
	v_add_co_ci_u32_e64 v9, null, s27, v9, vcc_lo
	s_delay_alu instid0(VALU_DEP_2) | instskip(SKIP_1) | instid1(VALU_DEP_2)
	v_add_co_u32 v8, vcc_lo, v8, v12
	s_wait_alu 0xfffd
	v_add_co_ci_u32_e64 v9, null, v9, v13, vcc_lo
	s_and_saveexec_b32 s25, s3
	s_cbranch_execz .LBB200_21
; %bb.20:                               ;   in Loop: Header=BB200_4 Depth=1
	v_mul_f32_e32 v12, s38, v26
	flat_store_b32 v[8:9], v12
.LBB200_21:                             ;   in Loop: Header=BB200_4 Depth=1
	s_wait_alu 0xfffe
	s_or_b32 exec_lo, exec_lo, s25
	s_delay_alu instid0(SALU_CYCLE_1)
	s_and_b32 exec_lo, exec_lo, s4
	s_cbranch_execz .LBB200_23
; %bb.22:                               ;   in Loop: Header=BB200_4 Depth=1
	v_mul_f32_e32 v12, s38, v25
	flat_store_b32 v[8:9], v12 offset:64
.LBB200_23:                             ;   in Loop: Header=BB200_4 Depth=1
	s_wait_alu 0xfffe
	s_or_b32 exec_lo, exec_lo, s24
	s_cbranch_execnz .LBB200_3
.LBB200_24:                             ;   in Loop: Header=BB200_4 Depth=1
	s_and_saveexec_b32 s24, s2
	s_cbranch_execz .LBB200_2
; %bb.25:                               ;   in Loop: Header=BB200_4 Depth=1
	v_add_co_u32 v6, vcc_lo, v6, s18
	v_lshlrev_b64_e32 v[12:13], 2, v[0:1]
	s_wait_alu 0xfffd
	v_add_co_ci_u32_e64 v7, null, s19, v7, vcc_lo
	s_delay_alu instid0(VALU_DEP_3) | instskip(SKIP_1) | instid1(VALU_DEP_2)
	v_add_co_u32 v8, vcc_lo, v6, v4
	s_wait_alu 0xfffd
	v_add_co_ci_u32_e64 v9, null, v7, v5, vcc_lo
	v_add_co_u32 v10, vcc_lo, v10, v12
	v_lshlrev_b64_e32 v[6:7], 2, v[2:3]
	s_wait_alu 0xfffd
	v_add_co_ci_u32_e64 v11, null, v11, v13, vcc_lo
	s_and_saveexec_b32 s25, s3
	s_cbranch_execnz .LBB200_28
; %bb.26:                               ;   in Loop: Header=BB200_4 Depth=1
	s_wait_alu 0xfffe
	s_or_b32 exec_lo, exec_lo, s25
	s_and_saveexec_b32 s25, s4
	s_cbranch_execnz .LBB200_29
.LBB200_27:                             ;   in Loop: Header=BB200_4 Depth=1
	s_wait_alu 0xfffe
	s_or_b32 exec_lo, exec_lo, s25
	s_delay_alu instid0(SALU_CYCLE_1)
	s_and_b32 exec_lo, exec_lo, s5
	s_cbranch_execz .LBB200_2
	s_branch .LBB200_30
.LBB200_28:                             ;   in Loop: Header=BB200_4 Depth=1
	v_add_co_u32 v12, vcc_lo, v8, v6
	s_wait_alu 0xfffd
	v_add_co_ci_u32_e64 v13, null, v9, v7, vcc_lo
	flat_load_b32 v12, v[12:13]
	s_wait_loadcnt_dscnt 0x0
	v_mul_f32_e32 v29, s39, v12
	v_add_co_u32 v12, vcc_lo, v10, v6
	s_wait_alu 0xfffd
	v_add_co_ci_u32_e64 v13, null, v11, v7, vcc_lo
	s_delay_alu instid0(VALU_DEP_3)
	v_fmac_f32_e32 v29, s38, v28
	flat_store_b32 v[12:13], v29
	s_wait_alu 0xfffe
	s_or_b32 exec_lo, exec_lo, s25
	s_and_saveexec_b32 s25, s4
	s_cbranch_execz .LBB200_27
.LBB200_29:                             ;   in Loop: Header=BB200_4 Depth=1
	v_add_co_u32 v12, vcc_lo, v8, v6
	s_wait_alu 0xfffd
	v_add_co_ci_u32_e64 v13, null, v9, v7, vcc_lo
	flat_load_b32 v12, v[12:13] offset:64
	s_wait_loadcnt_dscnt 0x0
	v_mul_f32_e32 v28, s39, v12
	v_add_co_u32 v12, vcc_lo, v10, v6
	s_wait_alu 0xfffd
	v_add_co_ci_u32_e64 v13, null, v11, v7, vcc_lo
	s_delay_alu instid0(VALU_DEP_3) | instskip(SKIP_3) | instid1(SALU_CYCLE_1)
	v_fmac_f32_e32 v28, s38, v27
	flat_store_b32 v[12:13], v28 offset:64
	s_wait_alu 0xfffe
	s_or_b32 exec_lo, exec_lo, s25
	s_and_b32 exec_lo, exec_lo, s5
	s_cbranch_execz .LBB200_2
.LBB200_30:                             ;   in Loop: Header=BB200_4 Depth=1
	v_add_co_u32 v8, vcc_lo, v8, s20
	s_lshl_b64 s[26:27], s[6:7], 2
	s_wait_alu 0xfffd
	v_add_co_ci_u32_e64 v9, null, s21, v9, vcc_lo
	s_wait_alu 0xfffe
	v_add_co_u32 v10, vcc_lo, v10, s26
	s_wait_alu 0xfffd
	v_add_co_ci_u32_e64 v11, null, s27, v11, vcc_lo
	v_add_co_u32 v8, vcc_lo, v8, v6
	s_wait_alu 0xfffd
	v_add_co_ci_u32_e64 v9, null, v9, v7, vcc_lo
	;; [unrolled: 3-line block ×3, first 2 shown]
	s_and_saveexec_b32 s25, s3
	s_cbranch_execz .LBB200_32
; %bb.31:                               ;   in Loop: Header=BB200_4 Depth=1
	flat_load_b32 v10, v[8:9]
	s_wait_loadcnt_dscnt 0x0
	v_mul_f32_e32 v10, s39, v10
	s_delay_alu instid0(VALU_DEP_1)
	v_fmac_f32_e32 v10, s38, v26
	flat_store_b32 v[6:7], v10
.LBB200_32:                             ;   in Loop: Header=BB200_4 Depth=1
	s_wait_alu 0xfffe
	s_or_b32 exec_lo, exec_lo, s25
	s_delay_alu instid0(SALU_CYCLE_1)
	s_and_b32 exec_lo, exec_lo, s4
	s_cbranch_execz .LBB200_2
; %bb.33:                               ;   in Loop: Header=BB200_4 Depth=1
	flat_load_b32 v8, v[8:9] offset:64
	s_wait_loadcnt_dscnt 0x0
	v_mul_f32_e32 v8, s39, v8
	s_delay_alu instid0(VALU_DEP_1)
	v_fmac_f32_e32 v8, s38, v25
	flat_store_b32 v[6:7], v8 offset:64
	s_branch .LBB200_2
.LBB200_34:
	s_endpgm
	.section	.rodata,"a",@progbits
	.p2align	6, 0x0
	.amdhsa_kernel _ZN12_GLOBAL__N_135rocblas_gemm_batched_general_kernelIfLi16ELi16ELi32ELi32ELi8ELi32ELi8ELi8ELi32ELc67ELc84EKPKfS3_KPfEEvlllT_PT11_llS8_llS6_PT12_llPT13_lli
		.amdhsa_group_segment_fixed_size 2048
		.amdhsa_private_segment_fixed_size 0
		.amdhsa_kernarg_size 140
		.amdhsa_user_sgpr_count 2
		.amdhsa_user_sgpr_dispatch_ptr 0
		.amdhsa_user_sgpr_queue_ptr 0
		.amdhsa_user_sgpr_kernarg_segment_ptr 1
		.amdhsa_user_sgpr_dispatch_id 0
		.amdhsa_user_sgpr_private_segment_size 0
		.amdhsa_wavefront_size32 1
		.amdhsa_uses_dynamic_stack 0
		.amdhsa_enable_private_segment 0
		.amdhsa_system_sgpr_workgroup_id_x 1
		.amdhsa_system_sgpr_workgroup_id_y 1
		.amdhsa_system_sgpr_workgroup_id_z 1
		.amdhsa_system_sgpr_workgroup_info 0
		.amdhsa_system_vgpr_workitem_id 1
		.amdhsa_next_free_vgpr 57
		.amdhsa_next_free_sgpr 44
		.amdhsa_reserve_vcc 1
		.amdhsa_float_round_mode_32 0
		.amdhsa_float_round_mode_16_64 0
		.amdhsa_float_denorm_mode_32 3
		.amdhsa_float_denorm_mode_16_64 3
		.amdhsa_fp16_overflow 0
		.amdhsa_workgroup_processor_mode 1
		.amdhsa_memory_ordered 1
		.amdhsa_forward_progress 1
		.amdhsa_inst_pref_size 18
		.amdhsa_round_robin_scheduling 0
		.amdhsa_exception_fp_ieee_invalid_op 0
		.amdhsa_exception_fp_denorm_src 0
		.amdhsa_exception_fp_ieee_div_zero 0
		.amdhsa_exception_fp_ieee_overflow 0
		.amdhsa_exception_fp_ieee_underflow 0
		.amdhsa_exception_fp_ieee_inexact 0
		.amdhsa_exception_int_div_zero 0
	.end_amdhsa_kernel
	.section	.text._ZN12_GLOBAL__N_135rocblas_gemm_batched_general_kernelIfLi16ELi16ELi32ELi32ELi8ELi32ELi8ELi8ELi32ELc67ELc84EKPKfS3_KPfEEvlllT_PT11_llS8_llS6_PT12_llPT13_lli,"axG",@progbits,_ZN12_GLOBAL__N_135rocblas_gemm_batched_general_kernelIfLi16ELi16ELi32ELi32ELi8ELi32ELi8ELi8ELi32ELc67ELc84EKPKfS3_KPfEEvlllT_PT11_llS8_llS6_PT12_llPT13_lli,comdat
.Lfunc_end200:
	.size	_ZN12_GLOBAL__N_135rocblas_gemm_batched_general_kernelIfLi16ELi16ELi32ELi32ELi8ELi32ELi8ELi8ELi32ELc67ELc84EKPKfS3_KPfEEvlllT_PT11_llS8_llS6_PT12_llPT13_lli, .Lfunc_end200-_ZN12_GLOBAL__N_135rocblas_gemm_batched_general_kernelIfLi16ELi16ELi32ELi32ELi8ELi32ELi8ELi8ELi32ELc67ELc84EKPKfS3_KPfEEvlllT_PT11_llS8_llS6_PT12_llPT13_lli
                                        ; -- End function
	.set _ZN12_GLOBAL__N_135rocblas_gemm_batched_general_kernelIfLi16ELi16ELi32ELi32ELi8ELi32ELi8ELi8ELi32ELc67ELc84EKPKfS3_KPfEEvlllT_PT11_llS8_llS6_PT12_llPT13_lli.num_vgpr, 57
	.set _ZN12_GLOBAL__N_135rocblas_gemm_batched_general_kernelIfLi16ELi16ELi32ELi32ELi8ELi32ELi8ELi8ELi32ELc67ELc84EKPKfS3_KPfEEvlllT_PT11_llS8_llS6_PT12_llPT13_lli.num_agpr, 0
	.set _ZN12_GLOBAL__N_135rocblas_gemm_batched_general_kernelIfLi16ELi16ELi32ELi32ELi8ELi32ELi8ELi8ELi32ELc67ELc84EKPKfS3_KPfEEvlllT_PT11_llS8_llS6_PT12_llPT13_lli.numbered_sgpr, 44
	.set _ZN12_GLOBAL__N_135rocblas_gemm_batched_general_kernelIfLi16ELi16ELi32ELi32ELi8ELi32ELi8ELi8ELi32ELc67ELc84EKPKfS3_KPfEEvlllT_PT11_llS8_llS6_PT12_llPT13_lli.num_named_barrier, 0
	.set _ZN12_GLOBAL__N_135rocblas_gemm_batched_general_kernelIfLi16ELi16ELi32ELi32ELi8ELi32ELi8ELi8ELi32ELc67ELc84EKPKfS3_KPfEEvlllT_PT11_llS8_llS6_PT12_llPT13_lli.private_seg_size, 0
	.set _ZN12_GLOBAL__N_135rocblas_gemm_batched_general_kernelIfLi16ELi16ELi32ELi32ELi8ELi32ELi8ELi8ELi32ELc67ELc84EKPKfS3_KPfEEvlllT_PT11_llS8_llS6_PT12_llPT13_lli.uses_vcc, 1
	.set _ZN12_GLOBAL__N_135rocblas_gemm_batched_general_kernelIfLi16ELi16ELi32ELi32ELi8ELi32ELi8ELi8ELi32ELc67ELc84EKPKfS3_KPfEEvlllT_PT11_llS8_llS6_PT12_llPT13_lli.uses_flat_scratch, 0
	.set _ZN12_GLOBAL__N_135rocblas_gemm_batched_general_kernelIfLi16ELi16ELi32ELi32ELi8ELi32ELi8ELi8ELi32ELc67ELc84EKPKfS3_KPfEEvlllT_PT11_llS8_llS6_PT12_llPT13_lli.has_dyn_sized_stack, 0
	.set _ZN12_GLOBAL__N_135rocblas_gemm_batched_general_kernelIfLi16ELi16ELi32ELi32ELi8ELi32ELi8ELi8ELi32ELc67ELc84EKPKfS3_KPfEEvlllT_PT11_llS8_llS6_PT12_llPT13_lli.has_recursion, 0
	.set _ZN12_GLOBAL__N_135rocblas_gemm_batched_general_kernelIfLi16ELi16ELi32ELi32ELi8ELi32ELi8ELi8ELi32ELc67ELc84EKPKfS3_KPfEEvlllT_PT11_llS8_llS6_PT12_llPT13_lli.has_indirect_call, 0
	.section	.AMDGPU.csdata,"",@progbits
; Kernel info:
; codeLenInByte = 2284
; TotalNumSgprs: 46
; NumVgprs: 57
; ScratchSize: 0
; MemoryBound: 0
; FloatMode: 240
; IeeeMode: 1
; LDSByteSize: 2048 bytes/workgroup (compile time only)
; SGPRBlocks: 0
; VGPRBlocks: 7
; NumSGPRsForWavesPerEU: 46
; NumVGPRsForWavesPerEU: 57
; Occupancy: 16
; WaveLimiterHint : 1
; COMPUTE_PGM_RSRC2:SCRATCH_EN: 0
; COMPUTE_PGM_RSRC2:USER_SGPR: 2
; COMPUTE_PGM_RSRC2:TRAP_HANDLER: 0
; COMPUTE_PGM_RSRC2:TGID_X_EN: 1
; COMPUTE_PGM_RSRC2:TGID_Y_EN: 1
; COMPUTE_PGM_RSRC2:TGID_Z_EN: 1
; COMPUTE_PGM_RSRC2:TIDIG_COMP_CNT: 1
	.section	.text._ZN12_GLOBAL__N_135rocblas_gemm_batched_general_kernelIfLi16ELi16ELi32ELi32ELi8ELi32ELi8ELi8ELi32ELc78ELc67EKPKfS3_KPfEEvlllT_PT11_llS8_llS6_PT12_llPT13_lli,"axG",@progbits,_ZN12_GLOBAL__N_135rocblas_gemm_batched_general_kernelIfLi16ELi16ELi32ELi32ELi8ELi32ELi8ELi8ELi32ELc78ELc67EKPKfS3_KPfEEvlllT_PT11_llS8_llS6_PT12_llPT13_lli,comdat
	.globl	_ZN12_GLOBAL__N_135rocblas_gemm_batched_general_kernelIfLi16ELi16ELi32ELi32ELi8ELi32ELi8ELi8ELi32ELc78ELc67EKPKfS3_KPfEEvlllT_PT11_llS8_llS6_PT12_llPT13_lli ; -- Begin function _ZN12_GLOBAL__N_135rocblas_gemm_batched_general_kernelIfLi16ELi16ELi32ELi32ELi8ELi32ELi8ELi8ELi32ELc78ELc67EKPKfS3_KPfEEvlllT_PT11_llS8_llS6_PT12_llPT13_lli
	.p2align	8
	.type	_ZN12_GLOBAL__N_135rocblas_gemm_batched_general_kernelIfLi16ELi16ELi32ELi32ELi8ELi32ELi8ELi8ELi32ELc78ELc67EKPKfS3_KPfEEvlllT_PT11_llS8_llS6_PT12_llPT13_lli,@function
_ZN12_GLOBAL__N_135rocblas_gemm_batched_general_kernelIfLi16ELi16ELi32ELi32ELi8ELi32ELi8ELi8ELi32ELc78ELc67EKPKfS3_KPfEEvlllT_PT11_llS8_llS6_PT12_llPT13_lli: ; @_ZN12_GLOBAL__N_135rocblas_gemm_batched_general_kernelIfLi16ELi16ELi32ELi32ELi8ELi32ELi8ELi8ELi32ELc78ELc67EKPKfS3_KPfEEvlllT_PT11_llS8_llS6_PT12_llPT13_lli
; %bb.0:
	s_load_b32 s33, s[0:1], 0x88
	s_lshr_b32 s34, ttmp7, 16
	s_wait_kmcnt 0x0
	s_cmp_ge_i32 s34, s33
	s_cbranch_scc1 .LBB201_34
; %bb.1:
	s_mov_b32 s40, ttmp9
	s_ashr_i32 s41, ttmp9, 31
	v_bfe_u32 v4, v0, 10, 10
	s_lshl_b64 s[2:3], s[40:41], 5
	v_and_b32_e32 v6, 0x3ff, v0
	s_clause 0x6
	s_load_b128 s[4:7], s[0:1], 0x0
	s_load_b96 s[36:38], s[0:1], 0x10
	s_load_b256 s[8:15], s[0:1], 0x20
	s_load_b128 s[28:31], s[0:1], 0x40
	s_load_b32 s39, s[0:1], 0x50
	s_load_b128 s[24:27], s[0:1], 0x78
	s_load_b256 s[16:23], s[0:1], 0x58
	s_and_b32 s43, ttmp7, 0xffff
	v_dual_mov_b32 v16, 0 :: v_dual_and_b32 v15, 7, v0
	v_lshl_add_u32 v1, v4, 4, v6
	s_lshl_b32 s42, s43, 5
	v_lshl_add_u32 v20, v4, 5, 0x400
	s_delay_alu instid0(VALU_DEP_3)
	v_lshlrev_b32_e32 v5, 2, v15
	s_mov_b32 s35, 0
	v_and_b32_e32 v2, 31, v1
	v_lshrrev_b32_e32 v23, 3, v1
	v_lshrrev_b32_e32 v14, 5, v1
	v_mov_b32_e32 v1, s3
	v_lshlrev_b32_e32 v19, 2, v6
	v_or_b32_e32 v0, s2, v2
	v_lshlrev_b32_e32 v24, 2, v2
	v_add_co_u32 v2, s0, v23, s42
	s_delay_alu instid0(VALU_DEP_1)
	v_add_co_ci_u32_e64 v3, null, 0, 0, s0
	v_add_co_u32 v4, s42, s42, v4
	s_wait_kmcnt 0x0
	v_cmp_gt_i64_e64 s0, s[4:5], v[0:1]
	v_add_co_u32 v0, s2, s2, v6
	s_wait_alu 0xf1ff
	v_add_co_ci_u32_e64 v1, null, s3, 0, s2
	v_cmp_gt_i64_e64 s1, s[6:7], v[2:3]
	v_mad_co_u64_u32 v[2:3], null, v4, s24, 0
	v_add_co_u32 v8, vcc_lo, v0, 16
	s_delay_alu instid0(VALU_DEP_1) | instskip(SKIP_3) | instid1(VALU_DEP_4)
	v_add_co_ci_u32_e64 v9, null, 0, v1, vcc_lo
	v_mad_co_u64_u32 v[6:7], null, s28, v15, 0
	v_mad_co_u64_u32 v[10:11], null, v4, s18, 0
	v_cmp_gt_i64_e64 s3, s[4:5], v[0:1]
	v_cmp_gt_i64_e64 s4, s[4:5], v[8:9]
	v_mad_co_u64_u32 v[8:9], null, v4, s25, v[3:4]
	v_lshl_or_b32 v5, v23, 5, v5
	v_add_co_u32 v21, vcc_lo, v4, 16
	v_mov_b32_e32 v3, v11
	s_cmp_eq_f32 s39, 0
	s_delay_alu instid0(VALU_DEP_4)
	v_mad_co_u64_u32 v[11:12], null, s29, v15, v[7:8]
	v_mad_co_u64_u32 v[12:13], null, s10, v14, 0
	v_add_nc_u32_e32 v18, 0x400, v5
	v_add_co_ci_u32_e64 v5, null, 0, 0, s42
	s_cselect_b32 s42, -1, 0
	v_mov_b32_e32 v7, v11
	s_lshl_b64 s[30:31], s[30:31], 2
	v_cmp_gt_i64_e64 s2, s[6:7], v[4:5]
	s_wait_alu 0xfffd
	v_add_co_ci_u32_e64 v22, null, 0, v5, vcc_lo
	v_mad_co_u64_u32 v[4:5], null, v4, s19, v[3:4]
	v_mov_b32_e32 v5, v13
	v_mov_b32_e32 v3, v8
	s_delay_alu instid0(VALU_DEP_4)
	v_cmp_gt_i64_e64 s5, s[6:7], v[21:22]
	s_lshl_b64 s[6:7], s[24:25], 4
	s_lshl_b32 s24, s43, 7
	v_mad_co_u64_u32 v[8:9], null, s11, v14, v[5:6]
	v_mov_b32_e32 v11, v4
	s_mov_b32 s25, s35
	s_lshl_b64 s[44:45], s[18:19], 4
	s_wait_alu 0xfffe
	s_add_nc_u64 s[18:19], s[30:31], s[24:25]
	s_lshl_b64 s[12:13], s[12:13], 2
	v_lshl_or_b32 v17, v14, 7, v24
	v_dual_mov_b32 v13, v8 :: v_dual_lshlrev_b32 v8, 2, v23
	v_lshlrev_b64_e32 v[4:5], 2, v[6:7]
	s_lshl_b64 s[10:11], s[10:11], 5
	s_lshl_b64 s[20:21], s[20:21], 2
	;; [unrolled: 1-line block ×3, first 2 shown]
	s_wait_alu 0xfffe
	s_delay_alu instid0(VALU_DEP_1)
	v_add_co_u32 v6, vcc_lo, s18, v4
	s_wait_alu 0xfffd
	v_add_co_ci_u32_e64 v7, null, s19, v5, vcc_lo
	v_lshlrev_b64_e32 v[4:5], 2, v[12:13]
	s_lshl_b64 s[18:19], s[40:41], 7
	v_add_co_u32 v21, vcc_lo, v6, v8
	s_wait_alu 0xfffe
	s_add_nc_u64 s[12:13], s[12:13], s[18:19]
	s_wait_alu 0xfffd
	v_add_co_ci_u32_e64 v22, null, 0, v7, vcc_lo
	v_add_co_u32 v4, vcc_lo, s12, v4
	s_wait_alu 0xfffd
	v_add_co_ci_u32_e64 v5, null, s13, v5, vcc_lo
	s_lshl_b64 s[12:13], s[28:29], 5
	v_add_co_u32 v23, vcc_lo, v4, v24
	s_wait_alu 0xfffd
	v_add_co_ci_u32_e64 v24, null, 0, v5, vcc_lo
	v_lshlrev_b64_e32 v[4:5], 2, v[10:11]
	v_cmp_gt_i64_e64 s28, s[36:37], 0
	s_lshl_b64 s[18:19], s[26:27], 2
	s_branch .LBB201_4
.LBB201_2:                              ;   in Loop: Header=BB201_4 Depth=1
	s_wait_alu 0xfffe
	s_or_b32 exec_lo, exec_lo, s26
.LBB201_3:                              ;   in Loop: Header=BB201_4 Depth=1
	s_add_co_i32 s34, s34, 0x10000
	s_delay_alu instid0(SALU_CYCLE_1)
	s_cmp_lt_i32 s34, s33
	s_cbranch_scc0 .LBB201_34
.LBB201_4:                              ; =>This Loop Header: Depth=1
                                        ;     Child Loop BB201_7 Depth 2
	s_lshl_b64 s[26:27], s[34:35], 3
	v_dual_mov_b32 v28, 0 :: v_dual_mov_b32 v27, 0
	s_wait_alu 0xfffe
	s_add_nc_u64 s[30:31], s[16:17], s[26:27]
	s_add_nc_u64 s[40:41], s[22:23], s[26:27]
	s_clause 0x1
	global_load_b64 v[6:7], v16, s[30:31]
	global_load_b64 v[8:9], v16, s[40:41]
	v_dual_mov_b32 v26, 0 :: v_dual_mov_b32 v25, 0
	s_and_not1_b32 vcc_lo, exec_lo, s28
	s_wait_alu 0xfffe
	s_cbranch_vccnz .LBB201_11
; %bb.5:                                ;   in Loop: Header=BB201_4 Depth=1
	s_add_nc_u64 s[30:31], s[14:15], s[26:27]
	s_add_nc_u64 s[26:27], s[8:9], s[26:27]
	s_clause 0x1
	global_load_b64 v[10:11], v16, s[30:31]
	global_load_b64 v[12:13], v16, s[26:27]
	v_dual_mov_b32 v25, 0 :: v_dual_mov_b32 v26, 0
	v_dual_mov_b32 v27, 0 :: v_dual_mov_b32 v28, 0
	s_mov_b64 s[26:27], 0
	s_wait_loadcnt 0x1
	v_add_co_u32 v10, vcc_lo, v10, v21
	s_wait_alu 0xfffd
	v_add_co_ci_u32_e64 v11, null, v11, v22, vcc_lo
	s_wait_loadcnt 0x0
	v_add_co_u32 v12, vcc_lo, v12, v23
	s_wait_alu 0xfffd
	v_add_co_ci_u32_e64 v13, null, v13, v24, vcc_lo
	s_branch .LBB201_7
.LBB201_6:                              ;   in Loop: Header=BB201_7 Depth=2
	s_wait_alu 0xfffe
	s_or_b32 exec_lo, exec_lo, s29
	s_wait_loadcnt_dscnt 0x0
	ds_store_b32 v18, v30
	s_wait_dscnt 0x0
	s_barrier_signal -1
	s_barrier_wait -1
	global_inv scope:SCOPE_SE
	ds_load_b128 v[29:32], v20
	ds_load_2addr_b32 v[45:46], v19 offset1:16
	ds_load_b128 v[33:36], v20 offset:512
	ds_load_2addr_b32 v[47:48], v19 offset0:32 offset1:48
	ds_load_2addr_b32 v[49:50], v19 offset0:64 offset1:80
	;; [unrolled: 1-line block ×3, first 2 shown]
	ds_load_b128 v[37:40], v20 offset:16
	ds_load_2addr_b32 v[53:54], v19 offset0:128 offset1:144
	ds_load_b128 v[41:44], v20 offset:528
	ds_load_2addr_b32 v[55:56], v19 offset0:160 offset1:176
	s_add_nc_u64 s[26:27], s[26:27], 8
	v_add_co_u32 v10, vcc_lo, v10, s12
	s_wait_alu 0xfffe
	v_cmp_lt_i64_e64 s29, s[26:27], s[36:37]
	s_wait_alu 0xfffd
	v_add_co_ci_u32_e64 v11, null, s13, v11, vcc_lo
	v_add_co_u32 v12, vcc_lo, v12, s10
	s_wait_alu 0xfffd
	v_add_co_ci_u32_e64 v13, null, s11, v13, vcc_lo
	s_and_b32 vcc_lo, exec_lo, s29
	s_wait_dscnt 0x8
	v_fmac_f32_e32 v27, v46, v29
	v_fmac_f32_e32 v28, v45, v29
	s_wait_dscnt 0x7
	v_fmac_f32_e32 v25, v46, v33
	v_fmac_f32_e32 v26, v45, v33
	ds_load_2addr_b32 v[45:46], v19 offset0:192 offset1:208
	s_wait_dscnt 0x7
	v_fmac_f32_e32 v27, v48, v30
	v_fmac_f32_e32 v28, v47, v30
	;; [unrolled: 1-line block ×4, first 2 shown]
	ds_load_2addr_b32 v[29:30], v19 offset0:224 offset1:240
	s_wait_dscnt 0x7
	v_fmac_f32_e32 v27, v50, v31
	v_fmac_f32_e32 v28, v49, v31
	;; [unrolled: 1-line block ×4, first 2 shown]
	s_wait_loadcnt_dscnt 0x0
	v_fmac_f32_e32 v27, v52, v32
	v_fmac_f32_e32 v28, v51, v32
	v_fmac_f32_e32 v25, v52, v36
	v_fmac_f32_e32 v26, v51, v36
	s_barrier_signal -1
	v_fmac_f32_e32 v27, v54, v37
	v_fmac_f32_e32 v28, v53, v37
	;; [unrolled: 1-line block ×4, first 2 shown]
	s_barrier_wait -1
	v_fmac_f32_e32 v27, v56, v38
	v_fmac_f32_e32 v28, v55, v38
	;; [unrolled: 1-line block ×4, first 2 shown]
	global_inv scope:SCOPE_SE
	v_fmac_f32_e32 v27, v46, v39
	v_fmac_f32_e32 v28, v45, v39
	;; [unrolled: 1-line block ×3, first 2 shown]
	s_delay_alu instid0(VALU_DEP_3) | instskip(NEXT) | instid1(VALU_DEP_3)
	v_dual_fmac_f32 v26, v45, v43 :: v_dual_fmac_f32 v27, v30, v40
	v_fmac_f32_e32 v28, v29, v40
	s_delay_alu instid0(VALU_DEP_3) | instskip(NEXT) | instid1(VALU_DEP_3)
	v_fmac_f32_e32 v25, v30, v44
	v_fmac_f32_e32 v26, v29, v44
	s_wait_alu 0xfffe
	s_cbranch_vccz .LBB201_11
.LBB201_7:                              ;   Parent Loop BB201_4 Depth=1
                                        ; =>  This Inner Loop Header: Depth=2
	s_wait_alu 0xfffe
	v_add_co_u32 v29, s29, v14, s26
	s_wait_alu 0xf1ff
	v_add_co_ci_u32_e64 v30, null, 0, s27, s29
	s_delay_alu instid0(VALU_DEP_1)
	v_cmp_gt_i64_e32 vcc_lo, s[36:37], v[29:30]
	v_mov_b32_e32 v29, 0
	s_and_b32 s30, s0, vcc_lo
	s_wait_alu 0xfffe
	s_and_saveexec_b32 s29, s30
	s_cbranch_execz .LBB201_9
; %bb.8:                                ;   in Loop: Header=BB201_7 Depth=2
	flat_load_b32 v29, v[12:13]
.LBB201_9:                              ;   in Loop: Header=BB201_7 Depth=2
	s_wait_alu 0xfffe
	s_or_b32 exec_lo, exec_lo, s29
	v_add_co_u32 v30, s29, v15, s26
	s_wait_alu 0xf1ff
	v_add_co_ci_u32_e64 v31, null, 0, s27, s29
	s_wait_loadcnt_dscnt 0x0
	ds_store_b32 v17, v29
	v_cmp_gt_i64_e32 vcc_lo, s[36:37], v[30:31]
	v_mov_b32_e32 v30, 0
	s_and_b32 s30, vcc_lo, s1
	s_wait_alu 0xfffe
	s_and_saveexec_b32 s29, s30
	s_cbranch_execz .LBB201_6
; %bb.10:                               ;   in Loop: Header=BB201_7 Depth=2
	flat_load_b32 v30, v[10:11]
	s_branch .LBB201_6
.LBB201_11:                             ;   in Loop: Header=BB201_4 Depth=1
	s_wait_loadcnt 0x0
	v_add_co_u32 v10, vcc_lo, v8, s18
	s_wait_alu 0xfffd
	v_add_co_ci_u32_e64 v11, null, s19, v9, vcc_lo
	s_and_not1_b32 vcc_lo, exec_lo, s42
	s_wait_alu 0xfffe
	s_cbranch_vccnz .LBB201_16
; %bb.12:                               ;   in Loop: Header=BB201_4 Depth=1
	s_and_saveexec_b32 s26, s2
	s_cbranch_execz .LBB201_23
; %bb.13:                               ;   in Loop: Header=BB201_4 Depth=1
	v_lshlrev_b64_e32 v[8:9], 2, v[2:3]
	s_delay_alu instid0(VALU_DEP_1) | instskip(SKIP_1) | instid1(VALU_DEP_2)
	v_add_co_u32 v8, vcc_lo, v10, v8
	s_wait_alu 0xfffd
	v_add_co_ci_u32_e64 v9, null, v11, v9, vcc_lo
	s_and_saveexec_b32 s27, s3
	s_cbranch_execnz .LBB201_17
; %bb.14:                               ;   in Loop: Header=BB201_4 Depth=1
	s_wait_alu 0xfffe
	s_or_b32 exec_lo, exec_lo, s27
	s_and_saveexec_b32 s27, s4
	s_cbranch_execnz .LBB201_18
.LBB201_15:                             ;   in Loop: Header=BB201_4 Depth=1
	s_wait_alu 0xfffe
	s_or_b32 exec_lo, exec_lo, s27
	s_delay_alu instid0(SALU_CYCLE_1)
	s_and_b32 exec_lo, exec_lo, s5
	s_cbranch_execnz .LBB201_19
	s_branch .LBB201_23
.LBB201_16:                             ;   in Loop: Header=BB201_4 Depth=1
	s_branch .LBB201_24
.LBB201_17:                             ;   in Loop: Header=BB201_4 Depth=1
	v_lshlrev_b64_e32 v[12:13], 2, v[0:1]
	v_mul_f32_e32 v29, s38, v28
	s_delay_alu instid0(VALU_DEP_2) | instskip(SKIP_1) | instid1(VALU_DEP_3)
	v_add_co_u32 v12, vcc_lo, v8, v12
	s_wait_alu 0xfffd
	v_add_co_ci_u32_e64 v13, null, v9, v13, vcc_lo
	flat_store_b32 v[12:13], v29
	s_wait_alu 0xfffe
	s_or_b32 exec_lo, exec_lo, s27
	s_and_saveexec_b32 s27, s4
	s_cbranch_execz .LBB201_15
.LBB201_18:                             ;   in Loop: Header=BB201_4 Depth=1
	v_lshlrev_b64_e32 v[12:13], 2, v[0:1]
	v_mul_f32_e32 v29, s38, v27
	s_delay_alu instid0(VALU_DEP_2) | instskip(SKIP_1) | instid1(VALU_DEP_3)
	v_add_co_u32 v12, vcc_lo, v8, v12
	s_wait_alu 0xfffd
	v_add_co_ci_u32_e64 v13, null, v9, v13, vcc_lo
	flat_store_b32 v[12:13], v29 offset:64
	s_wait_alu 0xfffe
	s_or_b32 exec_lo, exec_lo, s27
	s_delay_alu instid0(SALU_CYCLE_1)
	s_and_b32 exec_lo, exec_lo, s5
	s_cbranch_execz .LBB201_23
.LBB201_19:                             ;   in Loop: Header=BB201_4 Depth=1
	s_lshl_b64 s[30:31], s[6:7], 2
	v_lshlrev_b64_e32 v[12:13], 2, v[0:1]
	s_wait_alu 0xfffe
	v_add_co_u32 v8, vcc_lo, v8, s30
	s_wait_alu 0xfffd
	v_add_co_ci_u32_e64 v9, null, s31, v9, vcc_lo
	s_delay_alu instid0(VALU_DEP_2) | instskip(SKIP_1) | instid1(VALU_DEP_2)
	v_add_co_u32 v8, vcc_lo, v8, v12
	s_wait_alu 0xfffd
	v_add_co_ci_u32_e64 v9, null, v9, v13, vcc_lo
	s_and_saveexec_b32 s27, s3
	s_cbranch_execz .LBB201_21
; %bb.20:                               ;   in Loop: Header=BB201_4 Depth=1
	v_mul_f32_e32 v12, s38, v26
	flat_store_b32 v[8:9], v12
.LBB201_21:                             ;   in Loop: Header=BB201_4 Depth=1
	s_wait_alu 0xfffe
	s_or_b32 exec_lo, exec_lo, s27
	s_delay_alu instid0(SALU_CYCLE_1)
	s_and_b32 exec_lo, exec_lo, s4
	s_cbranch_execz .LBB201_23
; %bb.22:                               ;   in Loop: Header=BB201_4 Depth=1
	v_mul_f32_e32 v12, s38, v25
	flat_store_b32 v[8:9], v12 offset:64
.LBB201_23:                             ;   in Loop: Header=BB201_4 Depth=1
	s_wait_alu 0xfffe
	s_or_b32 exec_lo, exec_lo, s26
	s_cbranch_execnz .LBB201_3
.LBB201_24:                             ;   in Loop: Header=BB201_4 Depth=1
	s_and_saveexec_b32 s26, s2
	s_cbranch_execz .LBB201_2
; %bb.25:                               ;   in Loop: Header=BB201_4 Depth=1
	v_add_co_u32 v6, vcc_lo, v6, s20
	v_lshlrev_b64_e32 v[12:13], 2, v[2:3]
	s_wait_alu 0xfffd
	v_add_co_ci_u32_e64 v7, null, s21, v7, vcc_lo
	s_delay_alu instid0(VALU_DEP_3) | instskip(SKIP_1) | instid1(VALU_DEP_2)
	v_add_co_u32 v8, vcc_lo, v6, v4
	s_wait_alu 0xfffd
	v_add_co_ci_u32_e64 v9, null, v7, v5, vcc_lo
	v_add_co_u32 v10, vcc_lo, v10, v12
	v_lshlrev_b64_e32 v[6:7], 2, v[0:1]
	s_wait_alu 0xfffd
	v_add_co_ci_u32_e64 v11, null, v11, v13, vcc_lo
	s_and_saveexec_b32 s27, s3
	s_cbranch_execnz .LBB201_28
; %bb.26:                               ;   in Loop: Header=BB201_4 Depth=1
	s_wait_alu 0xfffe
	s_or_b32 exec_lo, exec_lo, s27
	s_and_saveexec_b32 s27, s4
	s_cbranch_execnz .LBB201_29
.LBB201_27:                             ;   in Loop: Header=BB201_4 Depth=1
	s_wait_alu 0xfffe
	s_or_b32 exec_lo, exec_lo, s27
	s_delay_alu instid0(SALU_CYCLE_1)
	s_and_b32 exec_lo, exec_lo, s5
	s_cbranch_execz .LBB201_2
	s_branch .LBB201_30
.LBB201_28:                             ;   in Loop: Header=BB201_4 Depth=1
	v_add_co_u32 v12, vcc_lo, v8, v6
	s_wait_alu 0xfffd
	v_add_co_ci_u32_e64 v13, null, v9, v7, vcc_lo
	flat_load_b32 v12, v[12:13]
	s_wait_loadcnt_dscnt 0x0
	v_mul_f32_e32 v29, s39, v12
	v_add_co_u32 v12, vcc_lo, v10, v6
	s_wait_alu 0xfffd
	v_add_co_ci_u32_e64 v13, null, v11, v7, vcc_lo
	s_delay_alu instid0(VALU_DEP_3)
	v_fmac_f32_e32 v29, s38, v28
	flat_store_b32 v[12:13], v29
	s_wait_alu 0xfffe
	s_or_b32 exec_lo, exec_lo, s27
	s_and_saveexec_b32 s27, s4
	s_cbranch_execz .LBB201_27
.LBB201_29:                             ;   in Loop: Header=BB201_4 Depth=1
	v_add_co_u32 v12, vcc_lo, v8, v6
	s_wait_alu 0xfffd
	v_add_co_ci_u32_e64 v13, null, v9, v7, vcc_lo
	flat_load_b32 v12, v[12:13] offset:64
	s_wait_loadcnt_dscnt 0x0
	v_mul_f32_e32 v28, s39, v12
	v_add_co_u32 v12, vcc_lo, v10, v6
	s_wait_alu 0xfffd
	v_add_co_ci_u32_e64 v13, null, v11, v7, vcc_lo
	s_delay_alu instid0(VALU_DEP_3) | instskip(SKIP_3) | instid1(SALU_CYCLE_1)
	v_fmac_f32_e32 v28, s38, v27
	flat_store_b32 v[12:13], v28 offset:64
	s_wait_alu 0xfffe
	s_or_b32 exec_lo, exec_lo, s27
	s_and_b32 exec_lo, exec_lo, s5
	s_cbranch_execz .LBB201_2
.LBB201_30:                             ;   in Loop: Header=BB201_4 Depth=1
	v_add_co_u32 v8, vcc_lo, v8, s24
	s_lshl_b64 s[30:31], s[6:7], 2
	s_wait_alu 0xfffd
	v_add_co_ci_u32_e64 v9, null, s25, v9, vcc_lo
	s_wait_alu 0xfffe
	v_add_co_u32 v10, vcc_lo, v10, s30
	s_wait_alu 0xfffd
	v_add_co_ci_u32_e64 v11, null, s31, v11, vcc_lo
	v_add_co_u32 v8, vcc_lo, v8, v6
	s_wait_alu 0xfffd
	v_add_co_ci_u32_e64 v9, null, v9, v7, vcc_lo
	;; [unrolled: 3-line block ×3, first 2 shown]
	s_and_saveexec_b32 s27, s3
	s_cbranch_execz .LBB201_32
; %bb.31:                               ;   in Loop: Header=BB201_4 Depth=1
	flat_load_b32 v10, v[8:9]
	s_wait_loadcnt_dscnt 0x0
	v_mul_f32_e32 v10, s39, v10
	s_delay_alu instid0(VALU_DEP_1)
	v_fmac_f32_e32 v10, s38, v26
	flat_store_b32 v[6:7], v10
.LBB201_32:                             ;   in Loop: Header=BB201_4 Depth=1
	s_wait_alu 0xfffe
	s_or_b32 exec_lo, exec_lo, s27
	s_delay_alu instid0(SALU_CYCLE_1)
	s_and_b32 exec_lo, exec_lo, s4
	s_cbranch_execz .LBB201_2
; %bb.33:                               ;   in Loop: Header=BB201_4 Depth=1
	flat_load_b32 v8, v[8:9] offset:64
	s_wait_loadcnt_dscnt 0x0
	v_mul_f32_e32 v8, s39, v8
	s_delay_alu instid0(VALU_DEP_1)
	v_fmac_f32_e32 v8, s38, v25
	flat_store_b32 v[6:7], v8 offset:64
	s_branch .LBB201_2
.LBB201_34:
	s_endpgm
	.section	.rodata,"a",@progbits
	.p2align	6, 0x0
	.amdhsa_kernel _ZN12_GLOBAL__N_135rocblas_gemm_batched_general_kernelIfLi16ELi16ELi32ELi32ELi8ELi32ELi8ELi8ELi32ELc78ELc67EKPKfS3_KPfEEvlllT_PT11_llS8_llS6_PT12_llPT13_lli
		.amdhsa_group_segment_fixed_size 2048
		.amdhsa_private_segment_fixed_size 0
		.amdhsa_kernarg_size 140
		.amdhsa_user_sgpr_count 2
		.amdhsa_user_sgpr_dispatch_ptr 0
		.amdhsa_user_sgpr_queue_ptr 0
		.amdhsa_user_sgpr_kernarg_segment_ptr 1
		.amdhsa_user_sgpr_dispatch_id 0
		.amdhsa_user_sgpr_private_segment_size 0
		.amdhsa_wavefront_size32 1
		.amdhsa_uses_dynamic_stack 0
		.amdhsa_enable_private_segment 0
		.amdhsa_system_sgpr_workgroup_id_x 1
		.amdhsa_system_sgpr_workgroup_id_y 1
		.amdhsa_system_sgpr_workgroup_id_z 1
		.amdhsa_system_sgpr_workgroup_info 0
		.amdhsa_system_vgpr_workitem_id 1
		.amdhsa_next_free_vgpr 57
		.amdhsa_next_free_sgpr 46
		.amdhsa_reserve_vcc 1
		.amdhsa_float_round_mode_32 0
		.amdhsa_float_round_mode_16_64 0
		.amdhsa_float_denorm_mode_32 3
		.amdhsa_float_denorm_mode_16_64 3
		.amdhsa_fp16_overflow 0
		.amdhsa_workgroup_processor_mode 1
		.amdhsa_memory_ordered 1
		.amdhsa_forward_progress 1
		.amdhsa_inst_pref_size 18
		.amdhsa_round_robin_scheduling 0
		.amdhsa_exception_fp_ieee_invalid_op 0
		.amdhsa_exception_fp_denorm_src 0
		.amdhsa_exception_fp_ieee_div_zero 0
		.amdhsa_exception_fp_ieee_overflow 0
		.amdhsa_exception_fp_ieee_underflow 0
		.amdhsa_exception_fp_ieee_inexact 0
		.amdhsa_exception_int_div_zero 0
	.end_amdhsa_kernel
	.section	.text._ZN12_GLOBAL__N_135rocblas_gemm_batched_general_kernelIfLi16ELi16ELi32ELi32ELi8ELi32ELi8ELi8ELi32ELc78ELc67EKPKfS3_KPfEEvlllT_PT11_llS8_llS6_PT12_llPT13_lli,"axG",@progbits,_ZN12_GLOBAL__N_135rocblas_gemm_batched_general_kernelIfLi16ELi16ELi32ELi32ELi8ELi32ELi8ELi8ELi32ELc78ELc67EKPKfS3_KPfEEvlllT_PT11_llS8_llS6_PT12_llPT13_lli,comdat
.Lfunc_end201:
	.size	_ZN12_GLOBAL__N_135rocblas_gemm_batched_general_kernelIfLi16ELi16ELi32ELi32ELi8ELi32ELi8ELi8ELi32ELc78ELc67EKPKfS3_KPfEEvlllT_PT11_llS8_llS6_PT12_llPT13_lli, .Lfunc_end201-_ZN12_GLOBAL__N_135rocblas_gemm_batched_general_kernelIfLi16ELi16ELi32ELi32ELi8ELi32ELi8ELi8ELi32ELc78ELc67EKPKfS3_KPfEEvlllT_PT11_llS8_llS6_PT12_llPT13_lli
                                        ; -- End function
	.set _ZN12_GLOBAL__N_135rocblas_gemm_batched_general_kernelIfLi16ELi16ELi32ELi32ELi8ELi32ELi8ELi8ELi32ELc78ELc67EKPKfS3_KPfEEvlllT_PT11_llS8_llS6_PT12_llPT13_lli.num_vgpr, 57
	.set _ZN12_GLOBAL__N_135rocblas_gemm_batched_general_kernelIfLi16ELi16ELi32ELi32ELi8ELi32ELi8ELi8ELi32ELc78ELc67EKPKfS3_KPfEEvlllT_PT11_llS8_llS6_PT12_llPT13_lli.num_agpr, 0
	.set _ZN12_GLOBAL__N_135rocblas_gemm_batched_general_kernelIfLi16ELi16ELi32ELi32ELi8ELi32ELi8ELi8ELi32ELc78ELc67EKPKfS3_KPfEEvlllT_PT11_llS8_llS6_PT12_llPT13_lli.numbered_sgpr, 46
	.set _ZN12_GLOBAL__N_135rocblas_gemm_batched_general_kernelIfLi16ELi16ELi32ELi32ELi8ELi32ELi8ELi8ELi32ELc78ELc67EKPKfS3_KPfEEvlllT_PT11_llS8_llS6_PT12_llPT13_lli.num_named_barrier, 0
	.set _ZN12_GLOBAL__N_135rocblas_gemm_batched_general_kernelIfLi16ELi16ELi32ELi32ELi8ELi32ELi8ELi8ELi32ELc78ELc67EKPKfS3_KPfEEvlllT_PT11_llS8_llS6_PT12_llPT13_lli.private_seg_size, 0
	.set _ZN12_GLOBAL__N_135rocblas_gemm_batched_general_kernelIfLi16ELi16ELi32ELi32ELi8ELi32ELi8ELi8ELi32ELc78ELc67EKPKfS3_KPfEEvlllT_PT11_llS8_llS6_PT12_llPT13_lli.uses_vcc, 1
	.set _ZN12_GLOBAL__N_135rocblas_gemm_batched_general_kernelIfLi16ELi16ELi32ELi32ELi8ELi32ELi8ELi8ELi32ELc78ELc67EKPKfS3_KPfEEvlllT_PT11_llS8_llS6_PT12_llPT13_lli.uses_flat_scratch, 0
	.set _ZN12_GLOBAL__N_135rocblas_gemm_batched_general_kernelIfLi16ELi16ELi32ELi32ELi8ELi32ELi8ELi8ELi32ELc78ELc67EKPKfS3_KPfEEvlllT_PT11_llS8_llS6_PT12_llPT13_lli.has_dyn_sized_stack, 0
	.set _ZN12_GLOBAL__N_135rocblas_gemm_batched_general_kernelIfLi16ELi16ELi32ELi32ELi8ELi32ELi8ELi8ELi32ELc78ELc67EKPKfS3_KPfEEvlllT_PT11_llS8_llS6_PT12_llPT13_lli.has_recursion, 0
	.set _ZN12_GLOBAL__N_135rocblas_gemm_batched_general_kernelIfLi16ELi16ELi32ELi32ELi8ELi32ELi8ELi8ELi32ELc78ELc67EKPKfS3_KPfEEvlllT_PT11_llS8_llS6_PT12_llPT13_lli.has_indirect_call, 0
	.section	.AMDGPU.csdata,"",@progbits
; Kernel info:
; codeLenInByte = 2284
; TotalNumSgprs: 48
; NumVgprs: 57
; ScratchSize: 0
; MemoryBound: 0
; FloatMode: 240
; IeeeMode: 1
; LDSByteSize: 2048 bytes/workgroup (compile time only)
; SGPRBlocks: 0
; VGPRBlocks: 7
; NumSGPRsForWavesPerEU: 48
; NumVGPRsForWavesPerEU: 57
; Occupancy: 16
; WaveLimiterHint : 1
; COMPUTE_PGM_RSRC2:SCRATCH_EN: 0
; COMPUTE_PGM_RSRC2:USER_SGPR: 2
; COMPUTE_PGM_RSRC2:TRAP_HANDLER: 0
; COMPUTE_PGM_RSRC2:TGID_X_EN: 1
; COMPUTE_PGM_RSRC2:TGID_Y_EN: 1
; COMPUTE_PGM_RSRC2:TGID_Z_EN: 1
; COMPUTE_PGM_RSRC2:TIDIG_COMP_CNT: 1
	.section	.text._ZN12_GLOBAL__N_135rocblas_gemm_batched_general_kernelIfLi16ELi16ELi32ELi32ELi8ELi32ELi8ELi8ELi32ELc84ELc67EKPKfS3_KPfEEvlllT_PT11_llS8_llS6_PT12_llPT13_lli,"axG",@progbits,_ZN12_GLOBAL__N_135rocblas_gemm_batched_general_kernelIfLi16ELi16ELi32ELi32ELi8ELi32ELi8ELi8ELi32ELc84ELc67EKPKfS3_KPfEEvlllT_PT11_llS8_llS6_PT12_llPT13_lli,comdat
	.globl	_ZN12_GLOBAL__N_135rocblas_gemm_batched_general_kernelIfLi16ELi16ELi32ELi32ELi8ELi32ELi8ELi8ELi32ELc84ELc67EKPKfS3_KPfEEvlllT_PT11_llS8_llS6_PT12_llPT13_lli ; -- Begin function _ZN12_GLOBAL__N_135rocblas_gemm_batched_general_kernelIfLi16ELi16ELi32ELi32ELi8ELi32ELi8ELi8ELi32ELc84ELc67EKPKfS3_KPfEEvlllT_PT11_llS8_llS6_PT12_llPT13_lli
	.p2align	8
	.type	_ZN12_GLOBAL__N_135rocblas_gemm_batched_general_kernelIfLi16ELi16ELi32ELi32ELi8ELi32ELi8ELi8ELi32ELc84ELc67EKPKfS3_KPfEEvlllT_PT11_llS8_llS6_PT12_llPT13_lli,@function
_ZN12_GLOBAL__N_135rocblas_gemm_batched_general_kernelIfLi16ELi16ELi32ELi32ELi8ELi32ELi8ELi8ELi32ELc84ELc67EKPKfS3_KPfEEvlllT_PT11_llS8_llS6_PT12_llPT13_lli: ; @_ZN12_GLOBAL__N_135rocblas_gemm_batched_general_kernelIfLi16ELi16ELi32ELi32ELi8ELi32ELi8ELi8ELi32ELc84ELc67EKPKfS3_KPfEEvlllT_PT11_llS8_llS6_PT12_llPT13_lli
; %bb.0:
	s_load_b32 s33, s[0:1], 0x88
	s_lshr_b32 s34, ttmp7, 16
	s_wait_kmcnt 0x0
	s_cmp_ge_i32 s34, s33
	s_cbranch_scc1 .LBB202_34
; %bb.1:
	v_bfe_u32 v2, v0, 10, 10
	v_dual_mov_b32 v16, 0 :: v_dual_and_b32 v3, 0x3ff, v0
	s_clause 0x6
	s_load_b128 s[4:7], s[0:1], 0x0
	s_load_b96 s[36:38], s[0:1], 0x10
	s_load_b256 s[8:15], s[0:1], 0x20
	s_load_b128 s[28:31], s[0:1], 0x40
	s_load_b32 s39, s[0:1], 0x50
	s_load_b128 s[24:27], s[0:1], 0x78
	s_load_b256 s[16:23], s[0:1], 0x58
	s_mov_b32 s2, ttmp9
	v_lshl_add_u32 v1, v2, 4, v3
	s_ashr_i32 s3, ttmp9, 31
	s_and_b32 s43, ttmp7, 0xffff
	s_lshl_b64 s[40:41], s[2:3], 5
	s_lshl_b32 s2, s43, 5
	v_dual_mov_b32 v5, s41 :: v_dual_and_b32 v6, 31, v1
	v_lshrrev_b32_e32 v13, 3, v1
	v_and_b32_e32 v15, 7, v0
	v_lshrrev_b32_e32 v14, 5, v1
	s_delay_alu instid0(VALU_DEP_4) | instskip(SKIP_2) | instid1(VALU_DEP_1)
	v_or_b32_e32 v4, s40, v6
	v_lshl_add_u32 v20, v2, 5, 0x400
	v_add_co_u32 v0, s0, v13, s2
	v_add_co_ci_u32_e64 v1, null, 0, 0, s0
	s_wait_kmcnt 0x0
	v_cmp_gt_i64_e64 s0, s[4:5], v[4:5]
	v_add_co_u32 v5, s2, s2, v2
	v_lshlrev_b32_e32 v7, 2, v15
	v_cmp_gt_i64_e64 s1, s[6:7], v[0:1]
	v_add_co_u32 v2, s3, s40, v3
	s_delay_alu instid0(VALU_DEP_4) | instskip(NEXT) | instid1(VALU_DEP_4)
	v_mad_co_u64_u32 v[0:1], null, v5, s24, 0
	v_lshl_or_b32 v7, v13, 5, v7
	v_mad_co_u64_u32 v[9:10], null, s28, v15, 0
	s_delay_alu instid0(VALU_DEP_4)
	v_add_co_u32 v11, vcc_lo, v2, 16
	s_cmp_eq_f32 s39, 0
	v_mad_co_u64_u32 v[21:22], null, v5, s25, v[1:2]
	v_add_nc_u32_e32 v18, 0x400, v7
	v_mad_co_u64_u32 v[7:8], null, v5, s18, 0
	v_lshlrev_b32_e32 v6, 2, v6
	s_mov_b32 s35, 0
	s_cselect_b32 s42, -1, 0
	s_lshl_b64 s[30:31], s[30:31], 2
	s_delay_alu instid0(VALU_DEP_2) | instskip(SKIP_3) | instid1(VALU_DEP_3)
	v_dual_mov_b32 v1, v8 :: v_dual_mov_b32 v8, v10
	v_lshl_or_b32 v17, v14, 7, v6
	s_wait_alu 0xf1ff
	v_add_co_ci_u32_e64 v6, null, 0, 0, s2
	v_mad_co_u64_u32 v[24:25], null, s29, v15, v[8:9]
	v_lshlrev_b32_e32 v19, 2, v3
	v_add_co_ci_u32_e64 v3, null, s41, 0, s3
	s_delay_alu instid0(VALU_DEP_4) | instskip(NEXT) | instid1(VALU_DEP_2)
	v_cmp_gt_i64_e64 s2, s[6:7], v[5:6]
	v_add_co_ci_u32_e64 v12, null, 0, v3, vcc_lo
	v_add_co_u32 v22, vcc_lo, v5, 16
	s_wait_alu 0xfffd
	v_add_co_ci_u32_e64 v23, null, 0, v6, vcc_lo
	v_mad_co_u64_u32 v[5:6], null, v5, s19, v[1:2]
	v_mul_lo_u32 v6, s11, v4
	v_mov_b32_e32 v10, v24
	v_cmp_gt_i64_e64 s3, s[4:5], v[2:3]
	v_cmp_gt_i64_e64 s4, s[4:5], v[11:12]
	v_cmp_gt_i64_e64 s5, s[6:7], v[22:23]
	s_lshl_b64 s[6:7], s[24:25], 4
	v_mov_b32_e32 v8, v5
	v_mad_co_u64_u32 v[4:5], null, s10, v4, 0
	v_lshlrev_b64_e32 v[9:10], 2, v[9:10]
	s_mul_i32 s10, s10, s41
	s_lshl_b64 s[24:25], s[18:19], 4
	s_lshl_b32 s18, s43, 7
	s_mov_b32 s19, s35
	v_lshlrev_b32_e32 v11, 2, v13
	s_wait_alu 0xfffe
	v_add3_u32 v5, v5, s10, v6
	s_add_nc_u64 s[18:19], s[30:31], s[18:19]
	v_mov_b32_e32 v1, v21
	s_wait_alu 0xfffe
	v_add_co_u32 v6, vcc_lo, s18, v9
	v_lshlrev_b64_e32 v[4:5], 2, v[4:5]
	s_wait_alu 0xfffd
	v_add_co_ci_u32_e64 v9, null, s19, v10, vcc_lo
	s_delay_alu instid0(VALU_DEP_3)
	v_add_co_u32 v21, vcc_lo, v6, v11
	s_lshl_b64 s[10:11], s[12:13], 2
	s_wait_alu 0xfffd
	v_add_co_ci_u32_e64 v22, null, 0, v9, vcc_lo
	v_lshlrev_b32_e32 v6, 2, v14
	s_wait_alu 0xfffe
	v_add_co_u32 v4, vcc_lo, v4, s10
	s_wait_alu 0xfffd
	v_add_co_ci_u32_e64 v5, null, s11, v5, vcc_lo
	s_lshl_b64 s[10:11], s[28:29], 5
	v_add_co_u32 v23, vcc_lo, v4, v6
	s_wait_alu 0xfffd
	v_add_co_ci_u32_e64 v24, null, 0, v5, vcc_lo
	v_lshlrev_b64_e32 v[4:5], 2, v[7:8]
	v_cmp_gt_i64_e64 s28, s[36:37], 0
	s_lshl_b64 s[12:13], s[26:27], 2
	s_lshl_b64 s[18:19], s[20:21], 2
	;; [unrolled: 1-line block ×3, first 2 shown]
	s_branch .LBB202_4
.LBB202_2:                              ;   in Loop: Header=BB202_4 Depth=1
	s_wait_alu 0xfffe
	s_or_b32 exec_lo, exec_lo, s24
.LBB202_3:                              ;   in Loop: Header=BB202_4 Depth=1
	s_add_co_i32 s34, s34, 0x10000
	s_delay_alu instid0(SALU_CYCLE_1)
	s_cmp_lt_i32 s34, s33
	s_cbranch_scc0 .LBB202_34
.LBB202_4:                              ; =>This Loop Header: Depth=1
                                        ;     Child Loop BB202_7 Depth 2
	s_lshl_b64 s[24:25], s[34:35], 3
	v_dual_mov_b32 v28, 0 :: v_dual_mov_b32 v27, 0
	s_wait_alu 0xfffe
	s_add_nc_u64 s[26:27], s[16:17], s[24:25]
	s_add_nc_u64 s[30:31], s[22:23], s[24:25]
	s_clause 0x1
	global_load_b64 v[6:7], v16, s[26:27]
	global_load_b64 v[8:9], v16, s[30:31]
	v_dual_mov_b32 v26, 0 :: v_dual_mov_b32 v25, 0
	s_and_not1_b32 vcc_lo, exec_lo, s28
	s_wait_alu 0xfffe
	s_cbranch_vccnz .LBB202_11
; %bb.5:                                ;   in Loop: Header=BB202_4 Depth=1
	s_add_nc_u64 s[26:27], s[14:15], s[24:25]
	s_add_nc_u64 s[24:25], s[8:9], s[24:25]
	s_clause 0x1
	global_load_b64 v[10:11], v16, s[26:27]
	global_load_b64 v[12:13], v16, s[24:25]
	v_dual_mov_b32 v25, 0 :: v_dual_mov_b32 v26, 0
	v_dual_mov_b32 v27, 0 :: v_dual_mov_b32 v28, 0
	s_mov_b64 s[24:25], 0
	s_wait_loadcnt 0x1
	v_add_co_u32 v10, vcc_lo, v10, v21
	s_wait_alu 0xfffd
	v_add_co_ci_u32_e64 v11, null, v11, v22, vcc_lo
	s_wait_loadcnt 0x0
	v_add_co_u32 v12, vcc_lo, v12, v23
	s_wait_alu 0xfffd
	v_add_co_ci_u32_e64 v13, null, v13, v24, vcc_lo
	s_branch .LBB202_7
.LBB202_6:                              ;   in Loop: Header=BB202_7 Depth=2
	s_wait_alu 0xfffe
	s_or_b32 exec_lo, exec_lo, s26
	s_wait_loadcnt_dscnt 0x0
	ds_store_b32 v18, v30
	s_wait_dscnt 0x0
	s_barrier_signal -1
	s_barrier_wait -1
	global_inv scope:SCOPE_SE
	ds_load_b128 v[29:32], v20
	ds_load_2addr_b32 v[45:46], v19 offset1:16
	ds_load_b128 v[33:36], v20 offset:512
	ds_load_2addr_b32 v[47:48], v19 offset0:32 offset1:48
	ds_load_2addr_b32 v[49:50], v19 offset0:64 offset1:80
	;; [unrolled: 1-line block ×3, first 2 shown]
	ds_load_b128 v[37:40], v20 offset:16
	ds_load_2addr_b32 v[53:54], v19 offset0:128 offset1:144
	ds_load_b128 v[41:44], v20 offset:528
	ds_load_2addr_b32 v[55:56], v19 offset0:160 offset1:176
	s_add_nc_u64 s[24:25], s[24:25], 8
	v_add_co_u32 v10, vcc_lo, v10, s10
	s_wait_alu 0xfffe
	v_cmp_lt_i64_e64 s26, s[24:25], s[36:37]
	s_wait_alu 0xfffd
	v_add_co_ci_u32_e64 v11, null, s11, v11, vcc_lo
	v_add_co_u32 v12, vcc_lo, v12, 32
	s_wait_alu 0xfffd
	v_add_co_ci_u32_e64 v13, null, 0, v13, vcc_lo
	s_and_b32 vcc_lo, exec_lo, s26
	s_wait_dscnt 0x8
	v_fmac_f32_e32 v27, v46, v29
	v_fmac_f32_e32 v28, v45, v29
	s_wait_dscnt 0x7
	v_fmac_f32_e32 v25, v46, v33
	v_fmac_f32_e32 v26, v45, v33
	ds_load_2addr_b32 v[45:46], v19 offset0:192 offset1:208
	s_wait_dscnt 0x7
	v_fmac_f32_e32 v27, v48, v30
	v_fmac_f32_e32 v28, v47, v30
	;; [unrolled: 1-line block ×4, first 2 shown]
	ds_load_2addr_b32 v[29:30], v19 offset0:224 offset1:240
	s_wait_dscnt 0x7
	v_fmac_f32_e32 v27, v50, v31
	v_fmac_f32_e32 v28, v49, v31
	;; [unrolled: 1-line block ×4, first 2 shown]
	s_wait_loadcnt_dscnt 0x0
	v_fmac_f32_e32 v27, v52, v32
	v_fmac_f32_e32 v28, v51, v32
	;; [unrolled: 1-line block ×4, first 2 shown]
	s_barrier_signal -1
	v_fmac_f32_e32 v27, v54, v37
	v_fmac_f32_e32 v28, v53, v37
	;; [unrolled: 1-line block ×4, first 2 shown]
	s_barrier_wait -1
	v_fmac_f32_e32 v27, v56, v38
	v_fmac_f32_e32 v28, v55, v38
	;; [unrolled: 1-line block ×4, first 2 shown]
	global_inv scope:SCOPE_SE
	v_fmac_f32_e32 v27, v46, v39
	v_fmac_f32_e32 v28, v45, v39
	;; [unrolled: 1-line block ×3, first 2 shown]
	s_delay_alu instid0(VALU_DEP_3) | instskip(NEXT) | instid1(VALU_DEP_3)
	v_dual_fmac_f32 v26, v45, v43 :: v_dual_fmac_f32 v27, v30, v40
	v_fmac_f32_e32 v28, v29, v40
	s_delay_alu instid0(VALU_DEP_3) | instskip(NEXT) | instid1(VALU_DEP_3)
	v_fmac_f32_e32 v25, v30, v44
	v_fmac_f32_e32 v26, v29, v44
	s_wait_alu 0xfffe
	s_cbranch_vccz .LBB202_11
.LBB202_7:                              ;   Parent Loop BB202_4 Depth=1
                                        ; =>  This Inner Loop Header: Depth=2
	s_wait_alu 0xfffe
	v_add_co_u32 v29, s26, v14, s24
	s_wait_alu 0xf1ff
	v_add_co_ci_u32_e64 v30, null, 0, s25, s26
	s_delay_alu instid0(VALU_DEP_1)
	v_cmp_gt_i64_e32 vcc_lo, s[36:37], v[29:30]
	v_mov_b32_e32 v29, 0
	s_and_b32 s27, s0, vcc_lo
	s_wait_alu 0xfffe
	s_and_saveexec_b32 s26, s27
	s_cbranch_execz .LBB202_9
; %bb.8:                                ;   in Loop: Header=BB202_7 Depth=2
	flat_load_b32 v29, v[12:13]
.LBB202_9:                              ;   in Loop: Header=BB202_7 Depth=2
	s_wait_alu 0xfffe
	s_or_b32 exec_lo, exec_lo, s26
	v_add_co_u32 v30, s26, v15, s24
	s_wait_alu 0xf1ff
	v_add_co_ci_u32_e64 v31, null, 0, s25, s26
	s_wait_loadcnt_dscnt 0x0
	ds_store_b32 v17, v29
	v_cmp_gt_i64_e32 vcc_lo, s[36:37], v[30:31]
	v_mov_b32_e32 v30, 0
	s_and_b32 s27, vcc_lo, s1
	s_wait_alu 0xfffe
	s_and_saveexec_b32 s26, s27
	s_cbranch_execz .LBB202_6
; %bb.10:                               ;   in Loop: Header=BB202_7 Depth=2
	flat_load_b32 v30, v[10:11]
	s_branch .LBB202_6
.LBB202_11:                             ;   in Loop: Header=BB202_4 Depth=1
	s_wait_loadcnt 0x0
	v_add_co_u32 v10, vcc_lo, v8, s12
	s_wait_alu 0xfffd
	v_add_co_ci_u32_e64 v11, null, s13, v9, vcc_lo
	s_and_not1_b32 vcc_lo, exec_lo, s42
	s_wait_alu 0xfffe
	s_cbranch_vccnz .LBB202_16
; %bb.12:                               ;   in Loop: Header=BB202_4 Depth=1
	s_and_saveexec_b32 s24, s2
	s_cbranch_execz .LBB202_23
; %bb.13:                               ;   in Loop: Header=BB202_4 Depth=1
	v_lshlrev_b64_e32 v[8:9], 2, v[0:1]
	s_delay_alu instid0(VALU_DEP_1) | instskip(SKIP_1) | instid1(VALU_DEP_2)
	v_add_co_u32 v8, vcc_lo, v10, v8
	s_wait_alu 0xfffd
	v_add_co_ci_u32_e64 v9, null, v11, v9, vcc_lo
	s_and_saveexec_b32 s25, s3
	s_cbranch_execnz .LBB202_17
; %bb.14:                               ;   in Loop: Header=BB202_4 Depth=1
	s_wait_alu 0xfffe
	s_or_b32 exec_lo, exec_lo, s25
	s_and_saveexec_b32 s25, s4
	s_cbranch_execnz .LBB202_18
.LBB202_15:                             ;   in Loop: Header=BB202_4 Depth=1
	s_wait_alu 0xfffe
	s_or_b32 exec_lo, exec_lo, s25
	s_delay_alu instid0(SALU_CYCLE_1)
	s_and_b32 exec_lo, exec_lo, s5
	s_cbranch_execnz .LBB202_19
	s_branch .LBB202_23
.LBB202_16:                             ;   in Loop: Header=BB202_4 Depth=1
	s_branch .LBB202_24
.LBB202_17:                             ;   in Loop: Header=BB202_4 Depth=1
	v_lshlrev_b64_e32 v[12:13], 2, v[2:3]
	v_mul_f32_e32 v29, s38, v28
	s_delay_alu instid0(VALU_DEP_2) | instskip(SKIP_1) | instid1(VALU_DEP_3)
	v_add_co_u32 v12, vcc_lo, v8, v12
	s_wait_alu 0xfffd
	v_add_co_ci_u32_e64 v13, null, v9, v13, vcc_lo
	flat_store_b32 v[12:13], v29
	s_wait_alu 0xfffe
	s_or_b32 exec_lo, exec_lo, s25
	s_and_saveexec_b32 s25, s4
	s_cbranch_execz .LBB202_15
.LBB202_18:                             ;   in Loop: Header=BB202_4 Depth=1
	v_lshlrev_b64_e32 v[12:13], 2, v[2:3]
	v_mul_f32_e32 v29, s38, v27
	s_delay_alu instid0(VALU_DEP_2) | instskip(SKIP_1) | instid1(VALU_DEP_3)
	v_add_co_u32 v12, vcc_lo, v8, v12
	s_wait_alu 0xfffd
	v_add_co_ci_u32_e64 v13, null, v9, v13, vcc_lo
	flat_store_b32 v[12:13], v29 offset:64
	s_wait_alu 0xfffe
	s_or_b32 exec_lo, exec_lo, s25
	s_delay_alu instid0(SALU_CYCLE_1)
	s_and_b32 exec_lo, exec_lo, s5
	s_cbranch_execz .LBB202_23
.LBB202_19:                             ;   in Loop: Header=BB202_4 Depth=1
	s_lshl_b64 s[26:27], s[6:7], 2
	v_lshlrev_b64_e32 v[12:13], 2, v[2:3]
	s_wait_alu 0xfffe
	v_add_co_u32 v8, vcc_lo, v8, s26
	s_wait_alu 0xfffd
	v_add_co_ci_u32_e64 v9, null, s27, v9, vcc_lo
	s_delay_alu instid0(VALU_DEP_2) | instskip(SKIP_1) | instid1(VALU_DEP_2)
	v_add_co_u32 v8, vcc_lo, v8, v12
	s_wait_alu 0xfffd
	v_add_co_ci_u32_e64 v9, null, v9, v13, vcc_lo
	s_and_saveexec_b32 s25, s3
	s_cbranch_execz .LBB202_21
; %bb.20:                               ;   in Loop: Header=BB202_4 Depth=1
	v_mul_f32_e32 v12, s38, v26
	flat_store_b32 v[8:9], v12
.LBB202_21:                             ;   in Loop: Header=BB202_4 Depth=1
	s_wait_alu 0xfffe
	s_or_b32 exec_lo, exec_lo, s25
	s_delay_alu instid0(SALU_CYCLE_1)
	s_and_b32 exec_lo, exec_lo, s4
	s_cbranch_execz .LBB202_23
; %bb.22:                               ;   in Loop: Header=BB202_4 Depth=1
	v_mul_f32_e32 v12, s38, v25
	flat_store_b32 v[8:9], v12 offset:64
.LBB202_23:                             ;   in Loop: Header=BB202_4 Depth=1
	s_wait_alu 0xfffe
	s_or_b32 exec_lo, exec_lo, s24
	s_cbranch_execnz .LBB202_3
.LBB202_24:                             ;   in Loop: Header=BB202_4 Depth=1
	s_and_saveexec_b32 s24, s2
	s_cbranch_execz .LBB202_2
; %bb.25:                               ;   in Loop: Header=BB202_4 Depth=1
	v_add_co_u32 v6, vcc_lo, v6, s18
	v_lshlrev_b64_e32 v[12:13], 2, v[0:1]
	s_wait_alu 0xfffd
	v_add_co_ci_u32_e64 v7, null, s19, v7, vcc_lo
	s_delay_alu instid0(VALU_DEP_3) | instskip(SKIP_1) | instid1(VALU_DEP_2)
	v_add_co_u32 v8, vcc_lo, v6, v4
	s_wait_alu 0xfffd
	v_add_co_ci_u32_e64 v9, null, v7, v5, vcc_lo
	v_add_co_u32 v10, vcc_lo, v10, v12
	v_lshlrev_b64_e32 v[6:7], 2, v[2:3]
	s_wait_alu 0xfffd
	v_add_co_ci_u32_e64 v11, null, v11, v13, vcc_lo
	s_and_saveexec_b32 s25, s3
	s_cbranch_execnz .LBB202_28
; %bb.26:                               ;   in Loop: Header=BB202_4 Depth=1
	s_wait_alu 0xfffe
	s_or_b32 exec_lo, exec_lo, s25
	s_and_saveexec_b32 s25, s4
	s_cbranch_execnz .LBB202_29
.LBB202_27:                             ;   in Loop: Header=BB202_4 Depth=1
	s_wait_alu 0xfffe
	s_or_b32 exec_lo, exec_lo, s25
	s_delay_alu instid0(SALU_CYCLE_1)
	s_and_b32 exec_lo, exec_lo, s5
	s_cbranch_execz .LBB202_2
	s_branch .LBB202_30
.LBB202_28:                             ;   in Loop: Header=BB202_4 Depth=1
	v_add_co_u32 v12, vcc_lo, v8, v6
	s_wait_alu 0xfffd
	v_add_co_ci_u32_e64 v13, null, v9, v7, vcc_lo
	flat_load_b32 v12, v[12:13]
	s_wait_loadcnt_dscnt 0x0
	v_mul_f32_e32 v29, s39, v12
	v_add_co_u32 v12, vcc_lo, v10, v6
	s_wait_alu 0xfffd
	v_add_co_ci_u32_e64 v13, null, v11, v7, vcc_lo
	s_delay_alu instid0(VALU_DEP_3)
	v_fmac_f32_e32 v29, s38, v28
	flat_store_b32 v[12:13], v29
	s_wait_alu 0xfffe
	s_or_b32 exec_lo, exec_lo, s25
	s_and_saveexec_b32 s25, s4
	s_cbranch_execz .LBB202_27
.LBB202_29:                             ;   in Loop: Header=BB202_4 Depth=1
	v_add_co_u32 v12, vcc_lo, v8, v6
	s_wait_alu 0xfffd
	v_add_co_ci_u32_e64 v13, null, v9, v7, vcc_lo
	flat_load_b32 v12, v[12:13] offset:64
	s_wait_loadcnt_dscnt 0x0
	v_mul_f32_e32 v28, s39, v12
	v_add_co_u32 v12, vcc_lo, v10, v6
	s_wait_alu 0xfffd
	v_add_co_ci_u32_e64 v13, null, v11, v7, vcc_lo
	s_delay_alu instid0(VALU_DEP_3) | instskip(SKIP_3) | instid1(SALU_CYCLE_1)
	v_fmac_f32_e32 v28, s38, v27
	flat_store_b32 v[12:13], v28 offset:64
	s_wait_alu 0xfffe
	s_or_b32 exec_lo, exec_lo, s25
	s_and_b32 exec_lo, exec_lo, s5
	s_cbranch_execz .LBB202_2
.LBB202_30:                             ;   in Loop: Header=BB202_4 Depth=1
	v_add_co_u32 v8, vcc_lo, v8, s20
	s_lshl_b64 s[26:27], s[6:7], 2
	s_wait_alu 0xfffd
	v_add_co_ci_u32_e64 v9, null, s21, v9, vcc_lo
	s_wait_alu 0xfffe
	v_add_co_u32 v10, vcc_lo, v10, s26
	s_wait_alu 0xfffd
	v_add_co_ci_u32_e64 v11, null, s27, v11, vcc_lo
	v_add_co_u32 v8, vcc_lo, v8, v6
	s_wait_alu 0xfffd
	v_add_co_ci_u32_e64 v9, null, v9, v7, vcc_lo
	;; [unrolled: 3-line block ×3, first 2 shown]
	s_and_saveexec_b32 s25, s3
	s_cbranch_execz .LBB202_32
; %bb.31:                               ;   in Loop: Header=BB202_4 Depth=1
	flat_load_b32 v10, v[8:9]
	s_wait_loadcnt_dscnt 0x0
	v_mul_f32_e32 v10, s39, v10
	s_delay_alu instid0(VALU_DEP_1)
	v_fmac_f32_e32 v10, s38, v26
	flat_store_b32 v[6:7], v10
.LBB202_32:                             ;   in Loop: Header=BB202_4 Depth=1
	s_wait_alu 0xfffe
	s_or_b32 exec_lo, exec_lo, s25
	s_delay_alu instid0(SALU_CYCLE_1)
	s_and_b32 exec_lo, exec_lo, s4
	s_cbranch_execz .LBB202_2
; %bb.33:                               ;   in Loop: Header=BB202_4 Depth=1
	flat_load_b32 v8, v[8:9] offset:64
	s_wait_loadcnt_dscnt 0x0
	v_mul_f32_e32 v8, s39, v8
	s_delay_alu instid0(VALU_DEP_1)
	v_fmac_f32_e32 v8, s38, v25
	flat_store_b32 v[6:7], v8 offset:64
	s_branch .LBB202_2
.LBB202_34:
	s_endpgm
	.section	.rodata,"a",@progbits
	.p2align	6, 0x0
	.amdhsa_kernel _ZN12_GLOBAL__N_135rocblas_gemm_batched_general_kernelIfLi16ELi16ELi32ELi32ELi8ELi32ELi8ELi8ELi32ELc84ELc67EKPKfS3_KPfEEvlllT_PT11_llS8_llS6_PT12_llPT13_lli
		.amdhsa_group_segment_fixed_size 2048
		.amdhsa_private_segment_fixed_size 0
		.amdhsa_kernarg_size 140
		.amdhsa_user_sgpr_count 2
		.amdhsa_user_sgpr_dispatch_ptr 0
		.amdhsa_user_sgpr_queue_ptr 0
		.amdhsa_user_sgpr_kernarg_segment_ptr 1
		.amdhsa_user_sgpr_dispatch_id 0
		.amdhsa_user_sgpr_private_segment_size 0
		.amdhsa_wavefront_size32 1
		.amdhsa_uses_dynamic_stack 0
		.amdhsa_enable_private_segment 0
		.amdhsa_system_sgpr_workgroup_id_x 1
		.amdhsa_system_sgpr_workgroup_id_y 1
		.amdhsa_system_sgpr_workgroup_id_z 1
		.amdhsa_system_sgpr_workgroup_info 0
		.amdhsa_system_vgpr_workitem_id 1
		.amdhsa_next_free_vgpr 57
		.amdhsa_next_free_sgpr 44
		.amdhsa_reserve_vcc 1
		.amdhsa_float_round_mode_32 0
		.amdhsa_float_round_mode_16_64 0
		.amdhsa_float_denorm_mode_32 3
		.amdhsa_float_denorm_mode_16_64 3
		.amdhsa_fp16_overflow 0
		.amdhsa_workgroup_processor_mode 1
		.amdhsa_memory_ordered 1
		.amdhsa_forward_progress 1
		.amdhsa_inst_pref_size 18
		.amdhsa_round_robin_scheduling 0
		.amdhsa_exception_fp_ieee_invalid_op 0
		.amdhsa_exception_fp_denorm_src 0
		.amdhsa_exception_fp_ieee_div_zero 0
		.amdhsa_exception_fp_ieee_overflow 0
		.amdhsa_exception_fp_ieee_underflow 0
		.amdhsa_exception_fp_ieee_inexact 0
		.amdhsa_exception_int_div_zero 0
	.end_amdhsa_kernel
	.section	.text._ZN12_GLOBAL__N_135rocblas_gemm_batched_general_kernelIfLi16ELi16ELi32ELi32ELi8ELi32ELi8ELi8ELi32ELc84ELc67EKPKfS3_KPfEEvlllT_PT11_llS8_llS6_PT12_llPT13_lli,"axG",@progbits,_ZN12_GLOBAL__N_135rocblas_gemm_batched_general_kernelIfLi16ELi16ELi32ELi32ELi8ELi32ELi8ELi8ELi32ELc84ELc67EKPKfS3_KPfEEvlllT_PT11_llS8_llS6_PT12_llPT13_lli,comdat
.Lfunc_end202:
	.size	_ZN12_GLOBAL__N_135rocblas_gemm_batched_general_kernelIfLi16ELi16ELi32ELi32ELi8ELi32ELi8ELi8ELi32ELc84ELc67EKPKfS3_KPfEEvlllT_PT11_llS8_llS6_PT12_llPT13_lli, .Lfunc_end202-_ZN12_GLOBAL__N_135rocblas_gemm_batched_general_kernelIfLi16ELi16ELi32ELi32ELi8ELi32ELi8ELi8ELi32ELc84ELc67EKPKfS3_KPfEEvlllT_PT11_llS8_llS6_PT12_llPT13_lli
                                        ; -- End function
	.set _ZN12_GLOBAL__N_135rocblas_gemm_batched_general_kernelIfLi16ELi16ELi32ELi32ELi8ELi32ELi8ELi8ELi32ELc84ELc67EKPKfS3_KPfEEvlllT_PT11_llS8_llS6_PT12_llPT13_lli.num_vgpr, 57
	.set _ZN12_GLOBAL__N_135rocblas_gemm_batched_general_kernelIfLi16ELi16ELi32ELi32ELi8ELi32ELi8ELi8ELi32ELc84ELc67EKPKfS3_KPfEEvlllT_PT11_llS8_llS6_PT12_llPT13_lli.num_agpr, 0
	.set _ZN12_GLOBAL__N_135rocblas_gemm_batched_general_kernelIfLi16ELi16ELi32ELi32ELi8ELi32ELi8ELi8ELi32ELc84ELc67EKPKfS3_KPfEEvlllT_PT11_llS8_llS6_PT12_llPT13_lli.numbered_sgpr, 44
	.set _ZN12_GLOBAL__N_135rocblas_gemm_batched_general_kernelIfLi16ELi16ELi32ELi32ELi8ELi32ELi8ELi8ELi32ELc84ELc67EKPKfS3_KPfEEvlllT_PT11_llS8_llS6_PT12_llPT13_lli.num_named_barrier, 0
	.set _ZN12_GLOBAL__N_135rocblas_gemm_batched_general_kernelIfLi16ELi16ELi32ELi32ELi8ELi32ELi8ELi8ELi32ELc84ELc67EKPKfS3_KPfEEvlllT_PT11_llS8_llS6_PT12_llPT13_lli.private_seg_size, 0
	.set _ZN12_GLOBAL__N_135rocblas_gemm_batched_general_kernelIfLi16ELi16ELi32ELi32ELi8ELi32ELi8ELi8ELi32ELc84ELc67EKPKfS3_KPfEEvlllT_PT11_llS8_llS6_PT12_llPT13_lli.uses_vcc, 1
	.set _ZN12_GLOBAL__N_135rocblas_gemm_batched_general_kernelIfLi16ELi16ELi32ELi32ELi8ELi32ELi8ELi8ELi32ELc84ELc67EKPKfS3_KPfEEvlllT_PT11_llS8_llS6_PT12_llPT13_lli.uses_flat_scratch, 0
	.set _ZN12_GLOBAL__N_135rocblas_gemm_batched_general_kernelIfLi16ELi16ELi32ELi32ELi8ELi32ELi8ELi8ELi32ELc84ELc67EKPKfS3_KPfEEvlllT_PT11_llS8_llS6_PT12_llPT13_lli.has_dyn_sized_stack, 0
	.set _ZN12_GLOBAL__N_135rocblas_gemm_batched_general_kernelIfLi16ELi16ELi32ELi32ELi8ELi32ELi8ELi8ELi32ELc84ELc67EKPKfS3_KPfEEvlllT_PT11_llS8_llS6_PT12_llPT13_lli.has_recursion, 0
	.set _ZN12_GLOBAL__N_135rocblas_gemm_batched_general_kernelIfLi16ELi16ELi32ELi32ELi8ELi32ELi8ELi8ELi32ELc84ELc67EKPKfS3_KPfEEvlllT_PT11_llS8_llS6_PT12_llPT13_lli.has_indirect_call, 0
	.section	.AMDGPU.csdata,"",@progbits
; Kernel info:
; codeLenInByte = 2284
; TotalNumSgprs: 46
; NumVgprs: 57
; ScratchSize: 0
; MemoryBound: 0
; FloatMode: 240
; IeeeMode: 1
; LDSByteSize: 2048 bytes/workgroup (compile time only)
; SGPRBlocks: 0
; VGPRBlocks: 7
; NumSGPRsForWavesPerEU: 46
; NumVGPRsForWavesPerEU: 57
; Occupancy: 16
; WaveLimiterHint : 1
; COMPUTE_PGM_RSRC2:SCRATCH_EN: 0
; COMPUTE_PGM_RSRC2:USER_SGPR: 2
; COMPUTE_PGM_RSRC2:TRAP_HANDLER: 0
; COMPUTE_PGM_RSRC2:TGID_X_EN: 1
; COMPUTE_PGM_RSRC2:TGID_Y_EN: 1
; COMPUTE_PGM_RSRC2:TGID_Z_EN: 1
; COMPUTE_PGM_RSRC2:TIDIG_COMP_CNT: 1
	.section	.text._ZN12_GLOBAL__N_125rocblas_gemm_scale_kernelILi32ELi32EdPKPdEEviiT1_T2_llli,"axG",@progbits,_ZN12_GLOBAL__N_125rocblas_gemm_scale_kernelILi32ELi32EdPKPdEEviiT1_T2_llli,comdat
	.globl	_ZN12_GLOBAL__N_125rocblas_gemm_scale_kernelILi32ELi32EdPKPdEEviiT1_T2_llli ; -- Begin function _ZN12_GLOBAL__N_125rocblas_gemm_scale_kernelILi32ELi32EdPKPdEEviiT1_T2_llli
	.p2align	8
	.type	_ZN12_GLOBAL__N_125rocblas_gemm_scale_kernelILi32ELi32EdPKPdEEviiT1_T2_llli,@function
_ZN12_GLOBAL__N_125rocblas_gemm_scale_kernelILi32ELi32EdPKPdEEviiT1_T2_llli: ; @_ZN12_GLOBAL__N_125rocblas_gemm_scale_kernelILi32ELi32EdPKPdEEviiT1_T2_llli
; %bb.0:
	s_load_b32 s12, s[0:1], 0x30
	s_lshr_b32 s2, ttmp7, 16
	s_wait_kmcnt 0x0
	s_cmp_ge_u32 s2, s12
	s_cbranch_scc1 .LBB203_8
; %bb.1:
	s_load_b256 s[4:11], s[0:1], 0x8
	v_bfe_u32 v1, v0, 10, 10
	s_and_b32 s3, ttmp7, 0xffff
	s_load_b64 s[0:1], s[0:1], 0x0
	v_and_b32_e32 v0, 0x3ff, v0
	s_delay_alu instid0(VALU_DEP_2) | instskip(SKIP_1) | instid1(VALU_DEP_2)
	v_lshl_add_u32 v5, s3, 5, v1
	s_mov_b32 s3, 0
	v_lshl_add_u32 v0, ttmp9, 5, v0
	s_wait_kmcnt 0x0
	s_delay_alu instid0(VALU_DEP_2) | instskip(SKIP_1) | instid1(VALU_DEP_3)
	v_mad_co_u64_u32 v[2:3], null, s10, v5, 0
	v_cmp_neq_f64_e64 s10, s[4:5], 0
	v_cmp_gt_u32_e32 vcc_lo, s0, v0
	v_cmp_gt_u32_e64 s0, s1, v5
	s_delay_alu instid0(VALU_DEP_4) | instskip(NEXT) | instid1(VALU_DEP_1)
	v_mov_b32_e32 v1, v3
	v_mad_co_u64_u32 v[3:4], null, s11, v5, v[1:2]
	v_mov_b32_e32 v1, 0
	s_delay_alu instid0(VALU_DEP_4) | instskip(SKIP_1) | instid1(VALU_DEP_1)
	s_and_b32 s11, vcc_lo, s0
	s_lshl_b64 s[0:1], s[8:9], 3
	v_lshlrev_b64_e32 v[0:1], 3, v[0:1]
	s_delay_alu instid0(VALU_DEP_3)
	v_lshlrev_b64_e32 v[2:3], 3, v[2:3]
	s_branch .LBB203_5
.LBB203_2:                              ;   in Loop: Header=BB203_5 Depth=1
	s_wait_alu 0xfffe
	v_add_co_u32 v4, vcc_lo, s8, v2
	s_wait_alu 0xfffd
	v_add_co_ci_u32_e64 v5, null, s9, v3, vcc_lo
	s_delay_alu instid0(VALU_DEP_2) | instskip(SKIP_1) | instid1(VALU_DEP_2)
	v_add_co_u32 v4, vcc_lo, v4, v0
	s_wait_alu 0xfffd
	v_add_co_ci_u32_e64 v5, null, v5, v1, vcc_lo
	flat_load_b64 v[4:5], v[4:5]
	s_wait_loadcnt_dscnt 0x0
	v_mul_f64_e32 v[4:5], s[4:5], v[4:5]
.LBB203_3:                              ;   in Loop: Header=BB203_5 Depth=1
	s_wait_alu 0xfffe
	v_add_co_u32 v6, vcc_lo, s8, v2
	s_wait_alu 0xfffd
	v_add_co_ci_u32_e64 v7, null, s9, v3, vcc_lo
	s_delay_alu instid0(VALU_DEP_2) | instskip(SKIP_1) | instid1(VALU_DEP_2)
	v_add_co_u32 v6, vcc_lo, v6, v0
	s_wait_alu 0xfffd
	v_add_co_ci_u32_e64 v7, null, v7, v1, vcc_lo
	flat_store_b64 v[6:7], v[4:5]
.LBB203_4:                              ;   in Loop: Header=BB203_5 Depth=1
	s_or_b32 exec_lo, exec_lo, s13
	s_add_co_i32 s2, s2, 0x10000
	s_wait_alu 0xfffe
	s_cmp_lt_u32 s2, s12
	s_cbranch_scc0 .LBB203_8
.LBB203_5:                              ; =>This Inner Loop Header: Depth=1
	s_wait_alu 0xfffe
	s_and_saveexec_b32 s13, s11
	s_cbranch_execz .LBB203_4
; %bb.6:                                ;   in Loop: Header=BB203_5 Depth=1
	s_lshl_b64 s[8:9], s[2:3], 3
	s_and_not1_b32 vcc_lo, exec_lo, s10
	s_wait_alu 0xfffe
	s_add_nc_u64 s[8:9], s[6:7], s[8:9]
	s_load_b64 s[8:9], s[8:9], 0x0
	s_wait_kmcnt 0x0
	s_add_nc_u64 s[8:9], s[8:9], s[0:1]
	s_cbranch_vccz .LBB203_2
; %bb.7:                                ;   in Loop: Header=BB203_5 Depth=1
	v_mov_b32_e32 v4, 0
	v_mov_b32_e32 v5, 0
	s_branch .LBB203_3
.LBB203_8:
	s_endpgm
	.section	.rodata,"a",@progbits
	.p2align	6, 0x0
	.amdhsa_kernel _ZN12_GLOBAL__N_125rocblas_gemm_scale_kernelILi32ELi32EdPKPdEEviiT1_T2_llli
		.amdhsa_group_segment_fixed_size 0
		.amdhsa_private_segment_fixed_size 0
		.amdhsa_kernarg_size 52
		.amdhsa_user_sgpr_count 2
		.amdhsa_user_sgpr_dispatch_ptr 0
		.amdhsa_user_sgpr_queue_ptr 0
		.amdhsa_user_sgpr_kernarg_segment_ptr 1
		.amdhsa_user_sgpr_dispatch_id 0
		.amdhsa_user_sgpr_private_segment_size 0
		.amdhsa_wavefront_size32 1
		.amdhsa_uses_dynamic_stack 0
		.amdhsa_enable_private_segment 0
		.amdhsa_system_sgpr_workgroup_id_x 1
		.amdhsa_system_sgpr_workgroup_id_y 1
		.amdhsa_system_sgpr_workgroup_id_z 1
		.amdhsa_system_sgpr_workgroup_info 0
		.amdhsa_system_vgpr_workitem_id 1
		.amdhsa_next_free_vgpr 8
		.amdhsa_next_free_sgpr 14
		.amdhsa_reserve_vcc 1
		.amdhsa_float_round_mode_32 0
		.amdhsa_float_round_mode_16_64 0
		.amdhsa_float_denorm_mode_32 3
		.amdhsa_float_denorm_mode_16_64 3
		.amdhsa_fp16_overflow 0
		.amdhsa_workgroup_processor_mode 1
		.amdhsa_memory_ordered 1
		.amdhsa_forward_progress 1
		.amdhsa_inst_pref_size 4
		.amdhsa_round_robin_scheduling 0
		.amdhsa_exception_fp_ieee_invalid_op 0
		.amdhsa_exception_fp_denorm_src 0
		.amdhsa_exception_fp_ieee_div_zero 0
		.amdhsa_exception_fp_ieee_overflow 0
		.amdhsa_exception_fp_ieee_underflow 0
		.amdhsa_exception_fp_ieee_inexact 0
		.amdhsa_exception_int_div_zero 0
	.end_amdhsa_kernel
	.section	.text._ZN12_GLOBAL__N_125rocblas_gemm_scale_kernelILi32ELi32EdPKPdEEviiT1_T2_llli,"axG",@progbits,_ZN12_GLOBAL__N_125rocblas_gemm_scale_kernelILi32ELi32EdPKPdEEviiT1_T2_llli,comdat
.Lfunc_end203:
	.size	_ZN12_GLOBAL__N_125rocblas_gemm_scale_kernelILi32ELi32EdPKPdEEviiT1_T2_llli, .Lfunc_end203-_ZN12_GLOBAL__N_125rocblas_gemm_scale_kernelILi32ELi32EdPKPdEEviiT1_T2_llli
                                        ; -- End function
	.set _ZN12_GLOBAL__N_125rocblas_gemm_scale_kernelILi32ELi32EdPKPdEEviiT1_T2_llli.num_vgpr, 8
	.set _ZN12_GLOBAL__N_125rocblas_gemm_scale_kernelILi32ELi32EdPKPdEEviiT1_T2_llli.num_agpr, 0
	.set _ZN12_GLOBAL__N_125rocblas_gemm_scale_kernelILi32ELi32EdPKPdEEviiT1_T2_llli.numbered_sgpr, 14
	.set _ZN12_GLOBAL__N_125rocblas_gemm_scale_kernelILi32ELi32EdPKPdEEviiT1_T2_llli.num_named_barrier, 0
	.set _ZN12_GLOBAL__N_125rocblas_gemm_scale_kernelILi32ELi32EdPKPdEEviiT1_T2_llli.private_seg_size, 0
	.set _ZN12_GLOBAL__N_125rocblas_gemm_scale_kernelILi32ELi32EdPKPdEEviiT1_T2_llli.uses_vcc, 1
	.set _ZN12_GLOBAL__N_125rocblas_gemm_scale_kernelILi32ELi32EdPKPdEEviiT1_T2_llli.uses_flat_scratch, 0
	.set _ZN12_GLOBAL__N_125rocblas_gemm_scale_kernelILi32ELi32EdPKPdEEviiT1_T2_llli.has_dyn_sized_stack, 0
	.set _ZN12_GLOBAL__N_125rocblas_gemm_scale_kernelILi32ELi32EdPKPdEEviiT1_T2_llli.has_recursion, 0
	.set _ZN12_GLOBAL__N_125rocblas_gemm_scale_kernelILi32ELi32EdPKPdEEviiT1_T2_llli.has_indirect_call, 0
	.section	.AMDGPU.csdata,"",@progbits
; Kernel info:
; codeLenInByte = 388
; TotalNumSgprs: 16
; NumVgprs: 8
; ScratchSize: 0
; MemoryBound: 0
; FloatMode: 240
; IeeeMode: 1
; LDSByteSize: 0 bytes/workgroup (compile time only)
; SGPRBlocks: 0
; VGPRBlocks: 0
; NumSGPRsForWavesPerEU: 16
; NumVGPRsForWavesPerEU: 8
; Occupancy: 16
; WaveLimiterHint : 1
; COMPUTE_PGM_RSRC2:SCRATCH_EN: 0
; COMPUTE_PGM_RSRC2:USER_SGPR: 2
; COMPUTE_PGM_RSRC2:TRAP_HANDLER: 0
; COMPUTE_PGM_RSRC2:TGID_X_EN: 1
; COMPUTE_PGM_RSRC2:TGID_Y_EN: 1
; COMPUTE_PGM_RSRC2:TGID_Z_EN: 1
; COMPUTE_PGM_RSRC2:TIDIG_COMP_CNT: 1
	.section	.text._ZN12_GLOBAL__N_120gemm_ex_scale_kernelILi32ELi32EdPKPKdPKPdEEviiT1_T2_lllT3_llli,"axG",@progbits,_ZN12_GLOBAL__N_120gemm_ex_scale_kernelILi32ELi32EdPKPKdPKPdEEviiT1_T2_lllT3_llli,comdat
	.globl	_ZN12_GLOBAL__N_120gemm_ex_scale_kernelILi32ELi32EdPKPKdPKPdEEviiT1_T2_lllT3_llli ; -- Begin function _ZN12_GLOBAL__N_120gemm_ex_scale_kernelILi32ELi32EdPKPKdPKPdEEviiT1_T2_lllT3_llli
	.p2align	8
	.type	_ZN12_GLOBAL__N_120gemm_ex_scale_kernelILi32ELi32EdPKPKdPKPdEEviiT1_T2_lllT3_llli,@function
_ZN12_GLOBAL__N_120gemm_ex_scale_kernelILi32ELi32EdPKPKdPKPdEEviiT1_T2_lllT3_llli: ; @_ZN12_GLOBAL__N_120gemm_ex_scale_kernelILi32ELi32EdPKPKdPKPdEEviiT1_T2_lllT3_llli
; %bb.0:
	s_load_b32 s16, s[0:1], 0x50
	s_lshr_b32 s2, ttmp7, 16
	s_wait_kmcnt 0x0
	s_cmp_ge_u32 s2, s16
	s_cbranch_scc1 .LBB204_10
; %bb.1:
	s_clause 0x1
	s_load_b256 s[4:11], s[0:1], 0x8
	s_load_b64 s[18:19], s[0:1], 0x40
	v_bfe_u32 v1, v0, 10, 10
	s_and_b32 s3, ttmp7, 0xffff
	s_clause 0x1
	s_load_b64 s[20:21], s[0:1], 0x0
	s_load_b128 s[12:15], s[0:1], 0x30
	v_and_b32_e32 v7, 0x3ff, v0
	v_lshl_add_u32 v8, s3, 5, v1
	s_mov_b32 s3, 0
	s_wait_kmcnt 0x0
	s_delay_alu instid0(VALU_DEP_1) | instskip(SKIP_3) | instid1(VALU_DEP_4)
	v_mad_co_u64_u32 v[2:3], null, s10, v8, 0
	v_mad_co_u64_u32 v[4:5], null, s18, v8, 0
	v_cmp_neq_f64_e64 s18, s[4:5], 0
	v_cmp_gt_u32_e64 s0, s21, v8
	v_mov_b32_e32 v1, v3
	s_delay_alu instid0(VALU_DEP_4) | instskip(NEXT) | instid1(VALU_DEP_2)
	v_mov_b32_e32 v3, v5
	v_mad_co_u64_u32 v[0:1], null, s11, v8, v[1:2]
	s_delay_alu instid0(VALU_DEP_2) | instskip(SKIP_2) | instid1(VALU_DEP_4)
	v_mad_co_u64_u32 v[5:6], null, s19, v8, v[3:4]
	v_lshl_add_u32 v6, ttmp9, 5, v7
	v_mov_b32_e32 v7, 0
	v_mov_b32_e32 v3, v0
	s_delay_alu instid0(VALU_DEP_3) | instskip(NEXT) | instid1(VALU_DEP_3)
	v_cmp_gt_u32_e32 vcc_lo, s20, v6
	v_lshlrev_b64_e32 v[0:1], 3, v[6:7]
	v_lshlrev_b64_e32 v[4:5], 3, v[4:5]
	s_delay_alu instid0(VALU_DEP_4)
	v_lshlrev_b64_e32 v[2:3], 3, v[2:3]
	s_and_b32 s17, vcc_lo, s0
	s_lshl_b64 s[0:1], s[8:9], 3
	s_lshl_b64 s[8:9], s[14:15], 3
	s_branch .LBB204_5
.LBB204_2:                              ;   in Loop: Header=BB204_5 Depth=1
	v_add_co_u32 v6, vcc_lo, s10, v2
	s_wait_alu 0xfffd
	v_add_co_ci_u32_e64 v7, null, s11, v3, vcc_lo
	s_delay_alu instid0(VALU_DEP_2) | instskip(SKIP_1) | instid1(VALU_DEP_2)
	v_add_co_u32 v6, vcc_lo, v6, v0
	s_wait_alu 0xfffd
	v_add_co_ci_u32_e64 v7, null, v7, v1, vcc_lo
	flat_load_b64 v[6:7], v[6:7]
	s_wait_loadcnt_dscnt 0x0
	v_mul_f64_e32 v[6:7], s[4:5], v[6:7]
.LBB204_3:                              ;   in Loop: Header=BB204_5 Depth=1
	s_lshl_b64 s[10:11], s[2:3], 3
	s_wait_alu 0xfffe
	s_add_nc_u64 s[10:11], s[12:13], s[10:11]
	s_load_b64 s[10:11], s[10:11], 0x0
	s_wait_kmcnt 0x0
	s_add_nc_u64 s[10:11], s[10:11], s[8:9]
	s_wait_alu 0xfffe
	v_add_co_u32 v8, vcc_lo, s10, v4
	s_wait_alu 0xfffd
	v_add_co_ci_u32_e64 v9, null, s11, v5, vcc_lo
	s_delay_alu instid0(VALU_DEP_2) | instskip(SKIP_1) | instid1(VALU_DEP_2)
	v_add_co_u32 v8, vcc_lo, v8, v0
	s_wait_alu 0xfffd
	v_add_co_ci_u32_e64 v9, null, v9, v1, vcc_lo
	flat_store_b64 v[8:9], v[6:7]
.LBB204_4:                              ;   in Loop: Header=BB204_5 Depth=1
	s_or_b32 exec_lo, exec_lo, s14
	s_add_co_i32 s2, s2, 0x10000
	s_wait_alu 0xfffe
	s_cmp_lt_u32 s2, s16
	s_cbranch_scc0 .LBB204_10
.LBB204_5:                              ; =>This Inner Loop Header: Depth=1
	s_and_not1_b32 vcc_lo, exec_lo, s18
	s_mov_b64 s[10:11], 0
	s_wait_alu 0xfffe
	s_cbranch_vccnz .LBB204_7
; %bb.6:                                ;   in Loop: Header=BB204_5 Depth=1
	s_lshl_b64 s[10:11], s[2:3], 3
	s_wait_alu 0xfffe
	s_add_nc_u64 s[10:11], s[6:7], s[10:11]
	s_load_b64 s[10:11], s[10:11], 0x0
	s_wait_kmcnt 0x0
	s_add_nc_u64 s[10:11], s[10:11], s[0:1]
.LBB204_7:                              ;   in Loop: Header=BB204_5 Depth=1
	s_and_saveexec_b32 s14, s17
	s_cbranch_execz .LBB204_4
; %bb.8:                                ;   in Loop: Header=BB204_5 Depth=1
	s_and_not1_b32 vcc_lo, exec_lo, s18
	s_wait_alu 0xfffe
	s_cbranch_vccz .LBB204_2
; %bb.9:                                ;   in Loop: Header=BB204_5 Depth=1
	v_mov_b32_e32 v6, 0
	v_mov_b32_e32 v7, 0
	s_branch .LBB204_3
.LBB204_10:
	s_endpgm
	.section	.rodata,"a",@progbits
	.p2align	6, 0x0
	.amdhsa_kernel _ZN12_GLOBAL__N_120gemm_ex_scale_kernelILi32ELi32EdPKPKdPKPdEEviiT1_T2_lllT3_llli
		.amdhsa_group_segment_fixed_size 0
		.amdhsa_private_segment_fixed_size 0
		.amdhsa_kernarg_size 84
		.amdhsa_user_sgpr_count 2
		.amdhsa_user_sgpr_dispatch_ptr 0
		.amdhsa_user_sgpr_queue_ptr 0
		.amdhsa_user_sgpr_kernarg_segment_ptr 1
		.amdhsa_user_sgpr_dispatch_id 0
		.amdhsa_user_sgpr_private_segment_size 0
		.amdhsa_wavefront_size32 1
		.amdhsa_uses_dynamic_stack 0
		.amdhsa_enable_private_segment 0
		.amdhsa_system_sgpr_workgroup_id_x 1
		.amdhsa_system_sgpr_workgroup_id_y 1
		.amdhsa_system_sgpr_workgroup_id_z 1
		.amdhsa_system_sgpr_workgroup_info 0
		.amdhsa_system_vgpr_workitem_id 1
		.amdhsa_next_free_vgpr 10
		.amdhsa_next_free_sgpr 22
		.amdhsa_reserve_vcc 1
		.amdhsa_float_round_mode_32 0
		.amdhsa_float_round_mode_16_64 0
		.amdhsa_float_denorm_mode_32 3
		.amdhsa_float_denorm_mode_16_64 3
		.amdhsa_fp16_overflow 0
		.amdhsa_workgroup_processor_mode 1
		.amdhsa_memory_ordered 1
		.amdhsa_forward_progress 1
		.amdhsa_inst_pref_size 4
		.amdhsa_round_robin_scheduling 0
		.amdhsa_exception_fp_ieee_invalid_op 0
		.amdhsa_exception_fp_denorm_src 0
		.amdhsa_exception_fp_ieee_div_zero 0
		.amdhsa_exception_fp_ieee_overflow 0
		.amdhsa_exception_fp_ieee_underflow 0
		.amdhsa_exception_fp_ieee_inexact 0
		.amdhsa_exception_int_div_zero 0
	.end_amdhsa_kernel
	.section	.text._ZN12_GLOBAL__N_120gemm_ex_scale_kernelILi32ELi32EdPKPKdPKPdEEviiT1_T2_lllT3_llli,"axG",@progbits,_ZN12_GLOBAL__N_120gemm_ex_scale_kernelILi32ELi32EdPKPKdPKPdEEviiT1_T2_lllT3_llli,comdat
.Lfunc_end204:
	.size	_ZN12_GLOBAL__N_120gemm_ex_scale_kernelILi32ELi32EdPKPKdPKPdEEviiT1_T2_lllT3_llli, .Lfunc_end204-_ZN12_GLOBAL__N_120gemm_ex_scale_kernelILi32ELi32EdPKPKdPKPdEEviiT1_T2_lllT3_llli
                                        ; -- End function
	.set _ZN12_GLOBAL__N_120gemm_ex_scale_kernelILi32ELi32EdPKPKdPKPdEEviiT1_T2_lllT3_llli.num_vgpr, 10
	.set _ZN12_GLOBAL__N_120gemm_ex_scale_kernelILi32ELi32EdPKPKdPKPdEEviiT1_T2_lllT3_llli.num_agpr, 0
	.set _ZN12_GLOBAL__N_120gemm_ex_scale_kernelILi32ELi32EdPKPKdPKPdEEviiT1_T2_lllT3_llli.numbered_sgpr, 22
	.set _ZN12_GLOBAL__N_120gemm_ex_scale_kernelILi32ELi32EdPKPKdPKPdEEviiT1_T2_lllT3_llli.num_named_barrier, 0
	.set _ZN12_GLOBAL__N_120gemm_ex_scale_kernelILi32ELi32EdPKPKdPKPdEEviiT1_T2_lllT3_llli.private_seg_size, 0
	.set _ZN12_GLOBAL__N_120gemm_ex_scale_kernelILi32ELi32EdPKPKdPKPdEEviiT1_T2_lllT3_llli.uses_vcc, 1
	.set _ZN12_GLOBAL__N_120gemm_ex_scale_kernelILi32ELi32EdPKPKdPKPdEEviiT1_T2_lllT3_llli.uses_flat_scratch, 0
	.set _ZN12_GLOBAL__N_120gemm_ex_scale_kernelILi32ELi32EdPKPKdPKPdEEviiT1_T2_lllT3_llli.has_dyn_sized_stack, 0
	.set _ZN12_GLOBAL__N_120gemm_ex_scale_kernelILi32ELi32EdPKPKdPKPdEEviiT1_T2_lllT3_llli.has_recursion, 0
	.set _ZN12_GLOBAL__N_120gemm_ex_scale_kernelILi32ELi32EdPKPKdPKPdEEviiT1_T2_lllT3_llli.has_indirect_call, 0
	.section	.AMDGPU.csdata,"",@progbits
; Kernel info:
; codeLenInByte = 484
; TotalNumSgprs: 24
; NumVgprs: 10
; ScratchSize: 0
; MemoryBound: 0
; FloatMode: 240
; IeeeMode: 1
; LDSByteSize: 0 bytes/workgroup (compile time only)
; SGPRBlocks: 0
; VGPRBlocks: 1
; NumSGPRsForWavesPerEU: 24
; NumVGPRsForWavesPerEU: 10
; Occupancy: 16
; WaveLimiterHint : 1
; COMPUTE_PGM_RSRC2:SCRATCH_EN: 0
; COMPUTE_PGM_RSRC2:USER_SGPR: 2
; COMPUTE_PGM_RSRC2:TRAP_HANDLER: 0
; COMPUTE_PGM_RSRC2:TGID_X_EN: 1
; COMPUTE_PGM_RSRC2:TGID_Y_EN: 1
; COMPUTE_PGM_RSRC2:TGID_Z_EN: 1
; COMPUTE_PGM_RSRC2:TIDIG_COMP_CNT: 1
	.section	.text._ZN12_GLOBAL__N_127rocblas_gemm_batched_kernelIdLi16ELi16ELi64ELi64ELi4ELi64ELi4ELi4ELi64ELc78ELc78EKPKdS3_KPdEEvlllT_PT11_llS8_llS6_PT12_llPT13_lli,"axG",@progbits,_ZN12_GLOBAL__N_127rocblas_gemm_batched_kernelIdLi16ELi16ELi64ELi64ELi4ELi64ELi4ELi4ELi64ELc78ELc78EKPKdS3_KPdEEvlllT_PT11_llS8_llS6_PT12_llPT13_lli,comdat
	.globl	_ZN12_GLOBAL__N_127rocblas_gemm_batched_kernelIdLi16ELi16ELi64ELi64ELi4ELi64ELi4ELi4ELi64ELc78ELc78EKPKdS3_KPdEEvlllT_PT11_llS8_llS6_PT12_llPT13_lli ; -- Begin function _ZN12_GLOBAL__N_127rocblas_gemm_batched_kernelIdLi16ELi16ELi64ELi64ELi4ELi64ELi4ELi4ELi64ELc78ELc78EKPKdS3_KPdEEvlllT_PT11_llS8_llS6_PT12_llPT13_lli
	.p2align	8
	.type	_ZN12_GLOBAL__N_127rocblas_gemm_batched_kernelIdLi16ELi16ELi64ELi64ELi4ELi64ELi4ELi4ELi64ELc78ELc78EKPKdS3_KPdEEvlllT_PT11_llS8_llS6_PT12_llPT13_lli,@function
_ZN12_GLOBAL__N_127rocblas_gemm_batched_kernelIdLi16ELi16ELi64ELi64ELi4ELi64ELi4ELi4ELi64ELc78ELc78EKPKdS3_KPdEEvlllT_PT11_llS8_llS6_PT12_llPT13_lli: ; @_ZN12_GLOBAL__N_127rocblas_gemm_batched_kernelIdLi16ELi16ELi64ELi64ELi4ELi64ELi4ELi4ELi64ELc78ELc78EKPKdS3_KPdEEvlllT_PT11_llS8_llS6_PT12_llPT13_lli
; %bb.0:
	s_load_b32 s28, s[0:1], 0x88
	s_lshr_b32 s2, ttmp7, 16
	s_wait_kmcnt 0x0
	s_cmp_ge_i32 s2, s28
	s_cbranch_scc1 .LBB205_11
; %bb.1:
	v_and_b32_e32 v12, 0x3ff, v0
	v_bfe_u32 v6, v0, 10, 10
	s_clause 0x2
	s_load_b256 s[20:27], s[0:1], 0x70
	s_load_b512 s[4:19], s[0:1], 0x10
	s_load_b256 s[36:43], s[0:1], 0x50
	v_lshlrev_b32_e32 v0, 3, v0
	s_lshl_b32 s0, ttmp7, 6
	v_lshl_add_u32 v1, v6, 4, v12
	v_mov_b32_e32 v46, 0
	s_and_b32 s3, s0, 0x3fffc0
	v_and_b32_e32 v16, 24, v0
	v_add_nc_u32_e32 v9, s3, v6
	v_and_b32_e32 v15, 63, v1
	v_lshrrev_b32_e32 v13, 6, v1
	v_lshrrev_b32_e32 v1, 2, v1
	s_mov_b32 s30, ttmp9
	s_ashr_i32 s31, ttmp9, 31
	v_lshlrev_b32_e32 v0, 3, v15
	s_lshl_b64 s[0:1], s[30:31], 6
	v_lshl_or_b32 v4, v1, 5, v16
	v_add_nc_u32_e32 v11, s3, v1
	v_lshl_add_u32 v50, v6, 5, 0x800
	v_lshl_or_b32 v47, v13, 9, v0
	s_wait_kmcnt 0x0
	v_mad_co_u64_u32 v[2:3], null, v9, s22, 0
	v_add_nc_u32_e32 v48, 0x800, v4
	v_mad_co_u64_u32 v[4:5], null, s16, v11, 0
	v_mad_co_u64_u32 v[0:1], null, v9, s40, 0
	v_cmp_eq_f64_e64 s26, s[36:37], 0
	v_cmp_gt_i64_e64 s3, s[4:5], 0
	s_lshl_b64 s[30:31], s[40:41], 4
	v_mad_co_u64_u32 v[6:7], null, v9, s23, v[3:4]
	v_mov_b32_e32 v3, v5
	v_mad_co_u64_u32 v[7:8], null, s10, v13, s[0:1]
	v_mad_co_u64_u32 v[9:10], null, v9, s41, v[1:2]
	s_delay_alu instid0(VALU_DEP_3)
	v_mad_co_u64_u32 v[10:11], null, s17, v11, v[3:4]
	v_mov_b32_e32 v3, v6
	v_add_co_u32 v11, s0, s0, v12
	v_mov_b32_e32 v1, v8
	v_add_co_u32 v6, vcc_lo, v7, v15
	v_mov_b32_e32 v5, v10
	v_lshlrev_b32_e32 v49, 3, v12
	s_delay_alu instid0(VALU_DEP_4)
	v_mad_co_u64_u32 v[13:14], null, s11, v13, v[1:2]
	s_wait_alu 0xf1ff
	v_add_co_ci_u32_e64 v12, null, s1, 0, s0
	v_lshlrev_b64_e32 v[4:5], 3, v[4:5]
	s_lshl_b64 s[0:1], s[18:19], 3
	v_mov_b32_e32 v1, v9
	v_lshlrev_b64_e32 v[2:3], 3, v[2:3]
	v_add_co_ci_u32_e64 v7, null, 0, v13, vcc_lo
	s_wait_alu 0xfffe
	v_add_co_u32 v8, vcc_lo, v4, s0
	s_wait_alu 0xfffd
	v_add_co_ci_u32_e64 v9, null, s1, v5, vcc_lo
	v_lshlrev_b64_e32 v[4:5], 3, v[6:7]
	s_delay_alu instid0(VALU_DEP_3)
	v_add_co_u32 v51, vcc_lo, v8, v16
	s_lshl_b64 s[0:1], s[12:13], 3
	v_cndmask_b32_e64 v6, 0, 1, s3
	s_wait_alu 0xfffd
	v_add_co_ci_u32_e64 v52, null, 0, v9, vcc_lo
	s_wait_alu 0xfffe
	v_add_co_u32 v53, vcc_lo, s0, v4
	s_wait_alu 0xfffd
	v_add_co_ci_u32_e64 v54, null, s1, v5, vcc_lo
	v_lshlrev_b64_e32 v[0:1], 3, v[0:1]
	v_lshlrev_b64_e32 v[4:5], 3, v[11:12]
	v_cmp_ne_u32_e64 s0, 1, v6
	s_lshl_b64 s[22:23], s[22:23], 4
	s_lshl_b64 s[10:11], s[10:11], 5
	s_mov_b32 s3, 0
	s_lshl_b64 s[12:13], s[24:25], 3
	s_lshl_b64 s[16:17], s[42:43], 3
	;; [unrolled: 1-line block ×3, first 2 shown]
	s_wait_alu 0xfffe
	s_lshl_b64 s[22:23], s[22:23], 3
	s_branch .LBB205_3
.LBB205_2:                              ;   in Loop: Header=BB205_3 Depth=1
	s_add_co_i32 s2, s2, 0x10000
	s_wait_alu 0xfffe
	s_cmp_lt_i32 s2, s28
	s_cbranch_scc0 .LBB205_11
.LBB205_3:                              ; =>This Loop Header: Depth=1
                                        ;     Child Loop BB205_5 Depth 2
	s_lshl_b64 s[24:25], s[2:3], 3
	s_and_b32 vcc_lo, exec_lo, s0
	s_wait_alu 0xfffe
	s_add_nc_u64 s[30:31], s[38:39], s[24:25]
	s_add_nc_u64 s[34:35], s[20:21], s[24:25]
	s_clause 0x1
	global_load_b64 v[14:15], v46, s[30:31]
	global_load_b64 v[40:41], v46, s[34:35]
	s_cbranch_vccnz .LBB205_8
; %bb.4:                                ;   in Loop: Header=BB205_3 Depth=1
	s_add_nc_u64 s[30:31], s[14:15], s[24:25]
	s_add_nc_u64 s[24:25], s[8:9], s[24:25]
	s_clause 0x1
	global_load_b64 v[42:43], v46, s[30:31]
	global_load_b64 v[44:45], v46, s[24:25]
	v_mov_b32_e32 v6, 0
	v_mov_b32_e32 v10, 0
	;; [unrolled: 1-line block ×7, first 2 shown]
	v_dual_mov_b32 v36, 0 :: v_dual_mov_b32 v7, 0
	v_dual_mov_b32 v8, 0 :: v_dual_mov_b32 v11, 0
	;; [unrolled: 1-line block ×9, first 2 shown]
	v_mov_b32_e32 v13, 0
	v_mov_b32_e32 v19, 0
	;; [unrolled: 1-line block ×7, first 2 shown]
	s_mov_b64 s[24:25], 0
	s_wait_loadcnt 0x1
	v_add_co_u32 v42, vcc_lo, v42, v51
	s_wait_alu 0xfffd
	v_add_co_ci_u32_e64 v43, null, v43, v52, vcc_lo
	s_wait_loadcnt 0x0
	v_add_co_u32 v44, vcc_lo, v44, v53
	s_wait_alu 0xfffd
	v_add_co_ci_u32_e64 v45, null, v45, v54, vcc_lo
.LBB205_5:                              ;   Parent Loop BB205_3 Depth=1
                                        ; =>  This Inner Loop Header: Depth=2
	flat_load_b64 v[55:56], v[44:45]
	s_wait_alu 0xfffe
	s_add_nc_u64 s[24:25], s[24:25], 4
	v_add_co_u32 v44, vcc_lo, v44, s10
	s_wait_alu 0xfffe
	v_cmp_lt_i64_e64 s1, s[24:25], s[4:5]
	s_wait_alu 0xfffd
	v_add_co_ci_u32_e64 v45, null, s11, v45, vcc_lo
	s_and_b32 vcc_lo, exec_lo, s1
	s_wait_loadcnt_dscnt 0x0
	ds_store_b64 v47, v[55:56]
	flat_load_b64 v[55:56], v[42:43]
	v_add_co_u32 v42, s1, v42, 32
	s_wait_alu 0xf1ff
	v_add_co_ci_u32_e64 v43, null, 0, v43, s1
	s_wait_loadcnt_dscnt 0x0
	ds_store_b64 v48, v[55:56]
	s_wait_dscnt 0x0
	s_barrier_signal -1
	s_barrier_wait -1
	global_inv scope:SCOPE_SE
	ds_load_b128 v[55:58], v50
	ds_load_2addr_b64 v[59:62], v49 offset1:16
	ds_load_2addr_b64 v[63:66], v49 offset0:32 offset1:48
	ds_load_b128 v[67:70], v50 offset:512
	ds_load_b128 v[71:74], v50 offset:1024
	;; [unrolled: 1-line block ×7, first 2 shown]
	s_wait_dscnt 0x8
	v_fma_f64 v[38:39], v[59:60], v[55:56], v[38:39]
	v_fma_f64 v[36:37], v[61:62], v[55:56], v[36:37]
	s_wait_dscnt 0x7
	v_fma_f64 v[34:35], v[63:64], v[55:56], v[34:35]
	v_fma_f64 v[32:33], v[65:66], v[55:56], v[32:33]
	;; [unrolled: 3-line block ×3, first 2 shown]
	v_fma_f64 v[26:27], v[63:64], v[67:68], v[26:27]
	v_fma_f64 v[24:25], v[65:66], v[67:68], v[24:25]
	s_wait_dscnt 0x5
	v_fma_f64 v[22:23], v[59:60], v[71:72], v[22:23]
	v_fma_f64 v[20:21], v[61:62], v[71:72], v[20:21]
	;; [unrolled: 1-line block ×4, first 2 shown]
	s_wait_dscnt 0x4
	v_fma_f64 v[55:56], v[59:60], v[75:76], v[12:13]
	v_fma_f64 v[59:60], v[61:62], v[75:76], v[10:11]
	;; [unrolled: 1-line block ×4, first 2 shown]
	ds_load_2addr_b64 v[6:9], v49 offset0:64 offset1:80
	ds_load_2addr_b64 v[10:13], v49 offset0:96 offset1:112
	s_wait_dscnt 0x1
	v_fma_f64 v[38:39], v[6:7], v[57:58], v[38:39]
	v_fma_f64 v[36:37], v[8:9], v[57:58], v[36:37]
	s_wait_dscnt 0x0
	v_fma_f64 v[34:35], v[10:11], v[57:58], v[34:35]
	v_fma_f64 v[32:33], v[12:13], v[57:58], v[32:33]
	v_fma_f64 v[30:31], v[6:7], v[69:70], v[30:31]
	v_fma_f64 v[28:29], v[8:9], v[69:70], v[28:29]
	v_fma_f64 v[26:27], v[10:11], v[69:70], v[26:27]
	v_fma_f64 v[24:25], v[12:13], v[69:70], v[24:25]
	v_fma_f64 v[22:23], v[6:7], v[73:74], v[22:23]
	v_fma_f64 v[20:21], v[8:9], v[73:74], v[20:21]
	v_fma_f64 v[18:19], v[10:11], v[73:74], v[18:19]
	v_fma_f64 v[16:17], v[12:13], v[73:74], v[16:17]
	v_fma_f64 v[55:56], v[6:7], v[77:78], v[55:56]
	v_fma_f64 v[57:58], v[8:9], v[77:78], v[59:60]
	v_fma_f64 v[59:60], v[10:11], v[77:78], v[61:62]
	v_fma_f64 v[61:62], v[12:13], v[77:78], v[63:64]
	ds_load_2addr_b64 v[6:9], v49 offset0:128 offset1:144
	ds_load_2addr_b64 v[10:13], v49 offset0:160 offset1:176
	s_wait_dscnt 0x1
	v_fma_f64 v[38:39], v[6:7], v[79:80], v[38:39]
	v_fma_f64 v[36:37], v[8:9], v[79:80], v[36:37]
	s_wait_dscnt 0x0
	v_fma_f64 v[34:35], v[10:11], v[79:80], v[34:35]
	v_fma_f64 v[32:33], v[12:13], v[79:80], v[32:33]
	;; [unrolled: 1-line block ×14, first 2 shown]
	ds_load_2addr_b64 v[6:9], v49 offset0:192 offset1:208
	ds_load_2addr_b64 v[55:58], v49 offset0:224 offset1:240
	s_wait_loadcnt_dscnt 0x0
	s_barrier_signal -1
	s_barrier_wait -1
	global_inv scope:SCOPE_SE
	v_fma_f64 v[38:39], v[6:7], v[81:82], v[38:39]
	v_fma_f64 v[36:37], v[8:9], v[81:82], v[36:37]
	;; [unrolled: 1-line block ×16, first 2 shown]
	s_wait_alu 0xfffe
	s_cbranch_vccnz .LBB205_5
; %bb.6:                                ;   in Loop: Header=BB205_3 Depth=1
	v_add_co_u32 v40, vcc_lo, v40, s12
	s_wait_alu 0xfffd
	v_add_co_ci_u32_e64 v41, null, s13, v41, vcc_lo
	s_and_not1_b32 vcc_lo, exec_lo, s26
	s_wait_alu 0xfffe
	s_cbranch_vccnz .LBB205_9
.LBB205_7:                              ;   in Loop: Header=BB205_3 Depth=1
	v_mul_f64_e32 v[42:43], s[6:7], v[38:39]
	v_mul_f64_e32 v[44:45], s[6:7], v[36:37]
	;; [unrolled: 1-line block ×16, first 2 shown]
	v_add_co_u32 v83, vcc_lo, v40, v2
	s_wait_alu 0xfffd
	v_add_co_ci_u32_e64 v84, null, v41, v3, vcc_lo
	s_delay_alu instid0(VALU_DEP_2) | instskip(SKIP_1) | instid1(VALU_DEP_2)
	v_add_co_u32 v87, vcc_lo, v83, s22
	s_wait_alu 0xfffd
	v_add_co_ci_u32_e64 v88, null, s23, v84, vcc_lo
	v_add_co_u32 v83, vcc_lo, v83, v4
	s_wait_alu 0xfffd
	v_add_co_ci_u32_e64 v84, null, v84, v5, vcc_lo
	;; [unrolled: 3-line block ×3, first 2 shown]
	s_clause 0x3
	flat_store_b64 v[83:84], v[42:43]
	flat_store_b64 v[83:84], v[44:45] offset:128
	flat_store_b64 v[83:84], v[55:56] offset:256
	;; [unrolled: 1-line block ×3, first 2 shown]
	v_add_co_u32 v42, vcc_lo, v87, s22
	s_wait_alu 0xfffd
	v_add_co_ci_u32_e64 v43, null, s23, v88, vcc_lo
	s_clause 0x3
	flat_store_b64 v[85:86], v[59:60]
	flat_store_b64 v[85:86], v[61:62] offset:128
	flat_store_b64 v[85:86], v[63:64] offset:256
	;; [unrolled: 1-line block ×3, first 2 shown]
	v_add_co_u32 v44, vcc_lo, v42, s22
	s_wait_alu 0xfffd
	v_add_co_ci_u32_e64 v45, null, s23, v43, vcc_lo
	v_add_co_u32 v42, vcc_lo, v42, v4
	s_wait_alu 0xfffd
	v_add_co_ci_u32_e64 v43, null, v43, v5, vcc_lo
	;; [unrolled: 3-line block ×3, first 2 shown]
	s_clause 0x7
	flat_store_b64 v[42:43], v[67:68]
	flat_store_b64 v[42:43], v[69:70] offset:128
	flat_store_b64 v[42:43], v[71:72] offset:256
	;; [unrolled: 1-line block ×3, first 2 shown]
	flat_store_b64 v[44:45], v[75:76]
	flat_store_b64 v[44:45], v[77:78] offset:128
	flat_store_b64 v[44:45], v[79:80] offset:256
	;; [unrolled: 1-line block ×3, first 2 shown]
	s_cbranch_execnz .LBB205_2
	s_branch .LBB205_10
.LBB205_8:                              ;   in Loop: Header=BB205_3 Depth=1
	v_mov_b32_e32 v38, 0
	v_mov_b32_e32 v34, 0
	;; [unrolled: 1-line block ×7, first 2 shown]
	v_dual_mov_b32 v8, 0 :: v_dual_mov_b32 v39, 0
	v_dual_mov_b32 v36, 0 :: v_dual_mov_b32 v35, 0
	;; [unrolled: 1-line block ×9, first 2 shown]
	v_mov_b32_e32 v33, 0
	v_mov_b32_e32 v29, 0
	;; [unrolled: 1-line block ×7, first 2 shown]
	s_wait_loadcnt 0x0
	v_add_co_u32 v40, vcc_lo, v40, s12
	s_wait_alu 0xfffd
	v_add_co_ci_u32_e64 v41, null, s13, v41, vcc_lo
	s_and_not1_b32 vcc_lo, exec_lo, s26
	s_wait_alu 0xfffe
	s_cbranch_vccz .LBB205_7
.LBB205_9:                              ;   in Loop: Header=BB205_3 Depth=1
.LBB205_10:                             ;   in Loop: Header=BB205_3 Depth=1
	v_add_co_u32 v14, vcc_lo, v14, s16
	s_wait_alu 0xfffd
	v_add_co_ci_u32_e64 v15, null, s17, v15, vcc_lo
	s_delay_alu instid0(VALU_DEP_2) | instskip(SKIP_1) | instid1(VALU_DEP_2)
	v_add_co_u32 v44, vcc_lo, v14, v0
	s_wait_alu 0xfffd
	v_add_co_ci_u32_e64 v45, null, v15, v1, vcc_lo
	s_delay_alu instid0(VALU_DEP_2) | instskip(SKIP_1) | instid1(VALU_DEP_2)
	v_add_co_u32 v14, vcc_lo, v44, v4
	s_wait_alu 0xfffd
	v_add_co_ci_u32_e64 v15, null, v45, v5, vcc_lo
	flat_load_b64 v[42:43], v[14:15]
	s_wait_loadcnt_dscnt 0x0
	v_mul_f64_e32 v[42:43], s[36:37], v[42:43]
	s_delay_alu instid0(VALU_DEP_1) | instskip(SKIP_3) | instid1(VALU_DEP_2)
	v_fma_f64 v[38:39], s[6:7], v[38:39], v[42:43]
	v_add_co_u32 v42, vcc_lo, v40, v2
	s_wait_alu 0xfffd
	v_add_co_ci_u32_e64 v43, null, v41, v3, vcc_lo
	v_add_co_u32 v40, vcc_lo, v42, v4
	s_wait_alu 0xfffd
	s_delay_alu instid0(VALU_DEP_2) | instskip(SKIP_4) | instid1(VALU_DEP_1)
	v_add_co_ci_u32_e64 v41, null, v43, v5, vcc_lo
	flat_store_b64 v[40:41], v[38:39]
	flat_load_b64 v[38:39], v[14:15] offset:128
	s_wait_loadcnt_dscnt 0x0
	v_mul_f64_e32 v[38:39], s[36:37], v[38:39]
	v_fma_f64 v[36:37], s[6:7], v[36:37], v[38:39]
	flat_store_b64 v[40:41], v[36:37] offset:128
	flat_load_b64 v[36:37], v[14:15] offset:256
	s_wait_loadcnt_dscnt 0x0
	v_mul_f64_e32 v[36:37], s[36:37], v[36:37]
	s_delay_alu instid0(VALU_DEP_1)
	v_fma_f64 v[34:35], s[6:7], v[34:35], v[36:37]
	flat_store_b64 v[40:41], v[34:35] offset:256
	flat_load_b64 v[14:15], v[14:15] offset:384
	v_add_co_u32 v34, vcc_lo, v44, s18
	s_wait_alu 0xfffd
	v_add_co_ci_u32_e64 v35, null, s19, v45, vcc_lo
	s_wait_loadcnt_dscnt 0x0
	v_mul_f64_e32 v[14:15], s[36:37], v[14:15]
	s_delay_alu instid0(VALU_DEP_1)
	v_fma_f64 v[14:15], s[6:7], v[32:33], v[14:15]
	v_add_co_u32 v32, vcc_lo, v34, v4
	s_wait_alu 0xfffd
	v_add_co_ci_u32_e64 v33, null, v35, v5, vcc_lo
	v_add_co_u32 v36, vcc_lo, v42, s22
	s_wait_alu 0xfffd
	v_add_co_ci_u32_e64 v37, null, s23, v43, vcc_lo
	flat_store_b64 v[40:41], v[14:15] offset:384
	flat_load_b64 v[14:15], v[32:33]
	s_wait_loadcnt_dscnt 0x0
	v_mul_f64_e32 v[14:15], s[36:37], v[14:15]
	s_delay_alu instid0(VALU_DEP_1)
	v_fma_f64 v[14:15], s[6:7], v[30:31], v[14:15]
	v_add_co_u32 v30, vcc_lo, v36, v4
	s_wait_alu 0xfffd
	v_add_co_ci_u32_e64 v31, null, v37, v5, vcc_lo
	flat_store_b64 v[30:31], v[14:15]
	flat_load_b64 v[14:15], v[32:33] offset:128
	s_wait_loadcnt_dscnt 0x0
	v_mul_f64_e32 v[14:15], s[36:37], v[14:15]
	s_delay_alu instid0(VALU_DEP_1) | instskip(SKIP_4) | instid1(VALU_DEP_1)
	v_fma_f64 v[14:15], s[6:7], v[28:29], v[14:15]
	flat_store_b64 v[30:31], v[14:15] offset:128
	flat_load_b64 v[14:15], v[32:33] offset:256
	s_wait_loadcnt_dscnt 0x0
	v_mul_f64_e32 v[14:15], s[36:37], v[14:15]
	v_fma_f64 v[14:15], s[6:7], v[26:27], v[14:15]
	v_add_co_u32 v26, vcc_lo, v34, s18
	s_wait_alu 0xfffd
	v_add_co_ci_u32_e64 v27, null, s19, v35, vcc_lo
	flat_store_b64 v[30:31], v[14:15] offset:256
	flat_load_b64 v[14:15], v[32:33] offset:384
	s_wait_loadcnt_dscnt 0x0
	v_mul_f64_e32 v[14:15], s[36:37], v[14:15]
	s_delay_alu instid0(VALU_DEP_1)
	v_fma_f64 v[14:15], s[6:7], v[24:25], v[14:15]
	v_add_co_u32 v24, vcc_lo, v26, v4
	s_wait_alu 0xfffd
	v_add_co_ci_u32_e64 v25, null, v27, v5, vcc_lo
	v_add_co_u32 v28, vcc_lo, v36, s22
	s_wait_alu 0xfffd
	v_add_co_ci_u32_e64 v29, null, s23, v37, vcc_lo
	flat_store_b64 v[30:31], v[14:15] offset:384
	flat_load_b64 v[14:15], v[24:25]
	s_wait_loadcnt_dscnt 0x0
	v_mul_f64_e32 v[14:15], s[36:37], v[14:15]
	s_delay_alu instid0(VALU_DEP_1)
	v_fma_f64 v[14:15], s[6:7], v[22:23], v[14:15]
	v_add_co_u32 v22, vcc_lo, v28, v4
	s_wait_alu 0xfffd
	v_add_co_ci_u32_e64 v23, null, v29, v5, vcc_lo
	flat_store_b64 v[22:23], v[14:15]
	flat_load_b64 v[14:15], v[24:25] offset:128
	s_wait_loadcnt_dscnt 0x0
	v_mul_f64_e32 v[14:15], s[36:37], v[14:15]
	s_delay_alu instid0(VALU_DEP_1) | instskip(SKIP_4) | instid1(VALU_DEP_1)
	v_fma_f64 v[14:15], s[6:7], v[20:21], v[14:15]
	flat_store_b64 v[22:23], v[14:15] offset:128
	flat_load_b64 v[14:15], v[24:25] offset:256
	s_wait_loadcnt_dscnt 0x0
	v_mul_f64_e32 v[14:15], s[36:37], v[14:15]
	v_fma_f64 v[14:15], s[6:7], v[18:19], v[14:15]
	flat_store_b64 v[22:23], v[14:15] offset:256
	flat_load_b64 v[14:15], v[24:25] offset:384
	s_wait_loadcnt_dscnt 0x0
	v_mul_f64_e32 v[14:15], s[36:37], v[14:15]
	s_delay_alu instid0(VALU_DEP_1) | instskip(SKIP_3) | instid1(VALU_DEP_2)
	v_fma_f64 v[14:15], s[6:7], v[16:17], v[14:15]
	v_add_co_u32 v16, vcc_lo, v26, s18
	s_wait_alu 0xfffd
	v_add_co_ci_u32_e64 v17, null, s19, v27, vcc_lo
	v_add_co_u32 v16, vcc_lo, v16, v4
	s_wait_alu 0xfffd
	s_delay_alu instid0(VALU_DEP_2) | instskip(SKIP_4) | instid1(VALU_DEP_1)
	v_add_co_ci_u32_e64 v17, null, v17, v5, vcc_lo
	flat_store_b64 v[22:23], v[14:15] offset:384
	flat_load_b64 v[14:15], v[16:17]
	s_wait_loadcnt_dscnt 0x0
	v_mul_f64_e32 v[14:15], s[36:37], v[14:15]
	v_fma_f64 v[12:13], s[6:7], v[12:13], v[14:15]
	v_add_co_u32 v14, vcc_lo, v28, s22
	s_wait_alu 0xfffd
	v_add_co_ci_u32_e64 v15, null, s23, v29, vcc_lo
	s_delay_alu instid0(VALU_DEP_2) | instskip(SKIP_1) | instid1(VALU_DEP_2)
	v_add_co_u32 v14, vcc_lo, v14, v4
	s_wait_alu 0xfffd
	v_add_co_ci_u32_e64 v15, null, v15, v5, vcc_lo
	flat_store_b64 v[14:15], v[12:13]
	flat_load_b64 v[12:13], v[16:17] offset:128
	s_wait_loadcnt_dscnt 0x0
	v_mul_f64_e32 v[12:13], s[36:37], v[12:13]
	s_delay_alu instid0(VALU_DEP_1) | instskip(SKIP_4) | instid1(VALU_DEP_1)
	v_fma_f64 v[10:11], s[6:7], v[10:11], v[12:13]
	flat_store_b64 v[14:15], v[10:11] offset:128
	flat_load_b64 v[10:11], v[16:17] offset:256
	s_wait_loadcnt_dscnt 0x0
	v_mul_f64_e32 v[10:11], s[36:37], v[10:11]
	v_fma_f64 v[8:9], s[6:7], v[8:9], v[10:11]
	flat_store_b64 v[14:15], v[8:9] offset:256
	flat_load_b64 v[8:9], v[16:17] offset:384
	s_wait_loadcnt_dscnt 0x0
	v_mul_f64_e32 v[8:9], s[36:37], v[8:9]
	s_delay_alu instid0(VALU_DEP_1)
	v_fma_f64 v[6:7], s[6:7], v[6:7], v[8:9]
	flat_store_b64 v[14:15], v[6:7] offset:384
	s_branch .LBB205_2
.LBB205_11:
	s_endpgm
	.section	.rodata,"a",@progbits
	.p2align	6, 0x0
	.amdhsa_kernel _ZN12_GLOBAL__N_127rocblas_gemm_batched_kernelIdLi16ELi16ELi64ELi64ELi4ELi64ELi4ELi4ELi64ELc78ELc78EKPKdS3_KPdEEvlllT_PT11_llS8_llS6_PT12_llPT13_lli
		.amdhsa_group_segment_fixed_size 4096
		.amdhsa_private_segment_fixed_size 0
		.amdhsa_kernarg_size 140
		.amdhsa_user_sgpr_count 2
		.amdhsa_user_sgpr_dispatch_ptr 0
		.amdhsa_user_sgpr_queue_ptr 0
		.amdhsa_user_sgpr_kernarg_segment_ptr 1
		.amdhsa_user_sgpr_dispatch_id 0
		.amdhsa_user_sgpr_private_segment_size 0
		.amdhsa_wavefront_size32 1
		.amdhsa_uses_dynamic_stack 0
		.amdhsa_enable_private_segment 0
		.amdhsa_system_sgpr_workgroup_id_x 1
		.amdhsa_system_sgpr_workgroup_id_y 1
		.amdhsa_system_sgpr_workgroup_id_z 1
		.amdhsa_system_sgpr_workgroup_info 0
		.amdhsa_system_vgpr_workitem_id 1
		.amdhsa_next_free_vgpr 95
		.amdhsa_next_free_sgpr 44
		.amdhsa_reserve_vcc 1
		.amdhsa_float_round_mode_32 0
		.amdhsa_float_round_mode_16_64 0
		.amdhsa_float_denorm_mode_32 3
		.amdhsa_float_denorm_mode_16_64 3
		.amdhsa_fp16_overflow 0
		.amdhsa_workgroup_processor_mode 1
		.amdhsa_memory_ordered 1
		.amdhsa_forward_progress 1
		.amdhsa_inst_pref_size 26
		.amdhsa_round_robin_scheduling 0
		.amdhsa_exception_fp_ieee_invalid_op 0
		.amdhsa_exception_fp_denorm_src 0
		.amdhsa_exception_fp_ieee_div_zero 0
		.amdhsa_exception_fp_ieee_overflow 0
		.amdhsa_exception_fp_ieee_underflow 0
		.amdhsa_exception_fp_ieee_inexact 0
		.amdhsa_exception_int_div_zero 0
	.end_amdhsa_kernel
	.section	.text._ZN12_GLOBAL__N_127rocblas_gemm_batched_kernelIdLi16ELi16ELi64ELi64ELi4ELi64ELi4ELi4ELi64ELc78ELc78EKPKdS3_KPdEEvlllT_PT11_llS8_llS6_PT12_llPT13_lli,"axG",@progbits,_ZN12_GLOBAL__N_127rocblas_gemm_batched_kernelIdLi16ELi16ELi64ELi64ELi4ELi64ELi4ELi4ELi64ELc78ELc78EKPKdS3_KPdEEvlllT_PT11_llS8_llS6_PT12_llPT13_lli,comdat
.Lfunc_end205:
	.size	_ZN12_GLOBAL__N_127rocblas_gemm_batched_kernelIdLi16ELi16ELi64ELi64ELi4ELi64ELi4ELi4ELi64ELc78ELc78EKPKdS3_KPdEEvlllT_PT11_llS8_llS6_PT12_llPT13_lli, .Lfunc_end205-_ZN12_GLOBAL__N_127rocblas_gemm_batched_kernelIdLi16ELi16ELi64ELi64ELi4ELi64ELi4ELi4ELi64ELc78ELc78EKPKdS3_KPdEEvlllT_PT11_llS8_llS6_PT12_llPT13_lli
                                        ; -- End function
	.set _ZN12_GLOBAL__N_127rocblas_gemm_batched_kernelIdLi16ELi16ELi64ELi64ELi4ELi64ELi4ELi4ELi64ELc78ELc78EKPKdS3_KPdEEvlllT_PT11_llS8_llS6_PT12_llPT13_lli.num_vgpr, 95
	.set _ZN12_GLOBAL__N_127rocblas_gemm_batched_kernelIdLi16ELi16ELi64ELi64ELi4ELi64ELi4ELi4ELi64ELc78ELc78EKPKdS3_KPdEEvlllT_PT11_llS8_llS6_PT12_llPT13_lli.num_agpr, 0
	.set _ZN12_GLOBAL__N_127rocblas_gemm_batched_kernelIdLi16ELi16ELi64ELi64ELi4ELi64ELi4ELi4ELi64ELc78ELc78EKPKdS3_KPdEEvlllT_PT11_llS8_llS6_PT12_llPT13_lli.numbered_sgpr, 44
	.set _ZN12_GLOBAL__N_127rocblas_gemm_batched_kernelIdLi16ELi16ELi64ELi64ELi4ELi64ELi4ELi4ELi64ELc78ELc78EKPKdS3_KPdEEvlllT_PT11_llS8_llS6_PT12_llPT13_lli.num_named_barrier, 0
	.set _ZN12_GLOBAL__N_127rocblas_gemm_batched_kernelIdLi16ELi16ELi64ELi64ELi4ELi64ELi4ELi4ELi64ELc78ELc78EKPKdS3_KPdEEvlllT_PT11_llS8_llS6_PT12_llPT13_lli.private_seg_size, 0
	.set _ZN12_GLOBAL__N_127rocblas_gemm_batched_kernelIdLi16ELi16ELi64ELi64ELi4ELi64ELi4ELi4ELi64ELc78ELc78EKPKdS3_KPdEEvlllT_PT11_llS8_llS6_PT12_llPT13_lli.uses_vcc, 1
	.set _ZN12_GLOBAL__N_127rocblas_gemm_batched_kernelIdLi16ELi16ELi64ELi64ELi4ELi64ELi4ELi4ELi64ELc78ELc78EKPKdS3_KPdEEvlllT_PT11_llS8_llS6_PT12_llPT13_lli.uses_flat_scratch, 1
	.set _ZN12_GLOBAL__N_127rocblas_gemm_batched_kernelIdLi16ELi16ELi64ELi64ELi4ELi64ELi4ELi4ELi64ELc78ELc78EKPKdS3_KPdEEvlllT_PT11_llS8_llS6_PT12_llPT13_lli.has_dyn_sized_stack, 0
	.set _ZN12_GLOBAL__N_127rocblas_gemm_batched_kernelIdLi16ELi16ELi64ELi64ELi4ELi64ELi4ELi4ELi64ELc78ELc78EKPKdS3_KPdEEvlllT_PT11_llS8_llS6_PT12_llPT13_lli.has_recursion, 0
	.set _ZN12_GLOBAL__N_127rocblas_gemm_batched_kernelIdLi16ELi16ELi64ELi64ELi4ELi64ELi4ELi4ELi64ELc78ELc78EKPKdS3_KPdEEvlllT_PT11_llS8_llS6_PT12_llPT13_lli.has_indirect_call, 0
	.section	.AMDGPU.csdata,"",@progbits
; Kernel info:
; codeLenInByte = 3300
; TotalNumSgprs: 46
; NumVgprs: 95
; ScratchSize: 0
; MemoryBound: 0
; FloatMode: 240
; IeeeMode: 1
; LDSByteSize: 4096 bytes/workgroup (compile time only)
; SGPRBlocks: 0
; VGPRBlocks: 11
; NumSGPRsForWavesPerEU: 46
; NumVGPRsForWavesPerEU: 95
; Occupancy: 16
; WaveLimiterHint : 1
; COMPUTE_PGM_RSRC2:SCRATCH_EN: 0
; COMPUTE_PGM_RSRC2:USER_SGPR: 2
; COMPUTE_PGM_RSRC2:TRAP_HANDLER: 0
; COMPUTE_PGM_RSRC2:TGID_X_EN: 1
; COMPUTE_PGM_RSRC2:TGID_Y_EN: 1
; COMPUTE_PGM_RSRC2:TGID_Z_EN: 1
; COMPUTE_PGM_RSRC2:TIDIG_COMP_CNT: 1
	.section	.text._ZN12_GLOBAL__N_127rocblas_gemm_batched_kernelIdLi16ELi16ELi64ELi64ELi4ELi64ELi4ELi4ELi64ELc84ELc78EKPKdS3_KPdEEvlllT_PT11_llS8_llS6_PT12_llPT13_lli,"axG",@progbits,_ZN12_GLOBAL__N_127rocblas_gemm_batched_kernelIdLi16ELi16ELi64ELi64ELi4ELi64ELi4ELi4ELi64ELc84ELc78EKPKdS3_KPdEEvlllT_PT11_llS8_llS6_PT12_llPT13_lli,comdat
	.globl	_ZN12_GLOBAL__N_127rocblas_gemm_batched_kernelIdLi16ELi16ELi64ELi64ELi4ELi64ELi4ELi4ELi64ELc84ELc78EKPKdS3_KPdEEvlllT_PT11_llS8_llS6_PT12_llPT13_lli ; -- Begin function _ZN12_GLOBAL__N_127rocblas_gemm_batched_kernelIdLi16ELi16ELi64ELi64ELi4ELi64ELi4ELi4ELi64ELc84ELc78EKPKdS3_KPdEEvlllT_PT11_llS8_llS6_PT12_llPT13_lli
	.p2align	8
	.type	_ZN12_GLOBAL__N_127rocblas_gemm_batched_kernelIdLi16ELi16ELi64ELi64ELi4ELi64ELi4ELi4ELi64ELc84ELc78EKPKdS3_KPdEEvlllT_PT11_llS8_llS6_PT12_llPT13_lli,@function
_ZN12_GLOBAL__N_127rocblas_gemm_batched_kernelIdLi16ELi16ELi64ELi64ELi4ELi64ELi4ELi4ELi64ELc84ELc78EKPKdS3_KPdEEvlllT_PT11_llS8_llS6_PT12_llPT13_lli: ; @_ZN12_GLOBAL__N_127rocblas_gemm_batched_kernelIdLi16ELi16ELi64ELi64ELi4ELi64ELi4ELi4ELi64ELc84ELc78EKPKdS3_KPdEEvlllT_PT11_llS8_llS6_PT12_llPT13_lli
; %bb.0:
	s_load_b32 s28, s[0:1], 0x88
	s_lshr_b32 s2, ttmp7, 16
	s_wait_kmcnt 0x0
	s_cmp_ge_i32 s2, s28
	s_cbranch_scc1 .LBB206_11
; %bb.1:
	s_clause 0x2
	s_load_b256 s[36:43], s[0:1], 0x50
	s_load_b256 s[20:27], s[0:1], 0x70
	s_load_b512 s[4:19], s[0:1], 0x10
	v_and_b32_e32 v10, 0x3ff, v0
	v_bfe_u32 v6, v0, 10, 10
	s_lshl_b32 s0, ttmp7, 6
	s_mov_b32 s30, ttmp9
	s_and_b32 s3, s0, 0x3fffc0
	s_ashr_i32 s31, ttmp9, 31
	v_lshl_add_u32 v1, v6, 4, v10
	v_dual_mov_b32 v46, 0 :: v_dual_add_nc_u32 v9, s3, v6
	v_lshl_add_u32 v50, v6, 5, 0x800
	s_lshl_b64 s[0:1], s[30:31], 6
	s_delay_alu instid0(VALU_DEP_3) | instskip(SKIP_2) | instid1(VALU_DEP_3)
	v_and_b32_e32 v11, 63, v1
	v_lshrrev_b32_e32 v13, 6, v1
	v_lshrrev_b32_e32 v1, 2, v1
	v_lshlrev_b32_e32 v7, 3, v11
	s_wait_kmcnt 0x0
	v_mad_co_u64_u32 v[2:3], null, v9, s22, 0
	v_mad_co_u64_u32 v[4:5], null, v9, s40, 0
	s_delay_alu instid0(VALU_DEP_3)
	v_lshl_or_b32 v47, v13, 9, v7
	v_add_nc_u32_e32 v8, s3, v1
	v_cmp_eq_f64_e64 s26, s[36:37], 0
	s_mul_i32 s3, s10, s1
	v_mad_co_u64_u32 v[6:7], null, v9, s23, v[3:4]
	v_lshlrev_b32_e32 v0, 3, v0
	v_or_b32_e32 v3, s0, v11
	s_lshl_b64 s[22:23], s[22:23], 4
	s_delay_alu instid0(VALU_DEP_2) | instskip(NEXT) | instid1(VALU_DEP_1)
	v_and_b32_e32 v14, 24, v0
	v_lshl_or_b32 v12, v1, 5, v14
	v_mad_co_u64_u32 v[0:1], null, s16, v8, 0
	s_delay_alu instid0(VALU_DEP_2) | instskip(SKIP_1) | instid1(VALU_DEP_3)
	v_add_nc_u32_e32 v48, 0x800, v12
	v_mad_co_u64_u32 v[11:12], null, s10, v3, 0
	v_mad_co_u64_u32 v[7:8], null, s17, v8, v[1:2]
	;; [unrolled: 1-line block ×3, first 2 shown]
	s_lshl_b64 s[16:17], s[40:41], 4
	s_wait_alu 0xfffe
	s_lshl_b64 s[16:17], s[16:17], 3
	v_mov_b32_e32 v1, v7
	v_mul_lo_u32 v7, s11, v3
	v_add_co_u32 v9, s0, s0, v10
	v_lshlrev_b32_e32 v49, 3, v10
	s_delay_alu instid0(VALU_DEP_4)
	v_lshlrev_b64_e32 v[0:1], 3, v[0:1]
	s_wait_alu 0xf1ff
	v_add_co_ci_u32_e64 v10, null, s1, 0, s0
	s_lshl_b64 s[0:1], s[18:19], 3
	v_add3_u32 v12, v12, s3, v7
	v_mov_b32_e32 v3, v6
	s_wait_alu 0xfffe
	v_add_co_u32 v6, vcc_lo, v0, s0
	s_delay_alu instid0(VALU_DEP_1) | instskip(SKIP_2) | instid1(VALU_DEP_4)
	v_add_co_ci_u32_e64 v7, null, s1, v1, vcc_lo
	v_lshlrev_b64_e32 v[0:1], 3, v[11:12]
	v_mov_b32_e32 v5, v8
	v_add_co_u32 v51, vcc_lo, v6, v14
	s_lshl_b64 s[0:1], s[12:13], 3
	s_wait_alu 0xfffd
	v_add_co_ci_u32_e64 v52, null, 0, v7, vcc_lo
	s_wait_alu 0xfffe
	v_add_co_u32 v0, vcc_lo, v0, s0
	v_cmp_gt_i64_e64 s0, s[4:5], 0
	v_lshlrev_b32_e32 v6, 3, v13
	s_wait_alu 0xfffd
	v_add_co_ci_u32_e64 v1, null, s1, v1, vcc_lo
	v_lshlrev_b64_e32 v[2:3], 3, v[2:3]
	s_mov_b32 s3, 0
	s_wait_alu 0xf1ff
	v_cndmask_b32_e64 v7, 0, 1, s0
	v_add_co_u32 v53, vcc_lo, v0, v6
	s_wait_alu 0xfffd
	v_add_co_ci_u32_e64 v54, null, 0, v1, vcc_lo
	v_lshlrev_b64_e32 v[0:1], 3, v[4:5]
	v_lshlrev_b64_e32 v[4:5], 3, v[9:10]
	v_cmp_ne_u32_e64 s0, 1, v7
	s_lshl_b64 s[10:11], s[24:25], 3
	s_lshl_b64 s[12:13], s[42:43], 3
	;; [unrolled: 1-line block ×3, first 2 shown]
	s_branch .LBB206_3
.LBB206_2:                              ;   in Loop: Header=BB206_3 Depth=1
	s_add_co_i32 s2, s2, 0x10000
	s_wait_alu 0xfffe
	s_cmp_lt_i32 s2, s28
	s_cbranch_scc0 .LBB206_11
.LBB206_3:                              ; =>This Loop Header: Depth=1
                                        ;     Child Loop BB206_5 Depth 2
	s_wait_alu 0xfffe
	s_lshl_b64 s[22:23], s[2:3], 3
	s_and_b32 vcc_lo, exec_lo, s0
	s_wait_alu 0xfffe
	s_add_nc_u64 s[24:25], s[38:39], s[22:23]
	s_add_nc_u64 s[30:31], s[20:21], s[22:23]
	s_clause 0x1
	global_load_b64 v[14:15], v46, s[24:25]
	global_load_b64 v[40:41], v46, s[30:31]
	s_cbranch_vccnz .LBB206_8
; %bb.4:                                ;   in Loop: Header=BB206_3 Depth=1
	s_add_nc_u64 s[24:25], s[14:15], s[22:23]
	s_add_nc_u64 s[22:23], s[8:9], s[22:23]
	s_clause 0x1
	global_load_b64 v[42:43], v46, s[24:25]
	global_load_b64 v[44:45], v46, s[22:23]
	v_mov_b32_e32 v6, 0
	v_mov_b32_e32 v10, 0
	;; [unrolled: 1-line block ×7, first 2 shown]
	v_dual_mov_b32 v36, 0 :: v_dual_mov_b32 v7, 0
	v_dual_mov_b32 v8, 0 :: v_dual_mov_b32 v11, 0
	;; [unrolled: 1-line block ×9, first 2 shown]
	v_mov_b32_e32 v13, 0
	v_mov_b32_e32 v19, 0
	;; [unrolled: 1-line block ×7, first 2 shown]
	s_mov_b64 s[22:23], 0
	s_wait_loadcnt 0x1
	v_add_co_u32 v42, vcc_lo, v42, v51
	s_wait_alu 0xfffd
	v_add_co_ci_u32_e64 v43, null, v43, v52, vcc_lo
	s_wait_loadcnt 0x0
	v_add_co_u32 v44, vcc_lo, v44, v53
	s_wait_alu 0xfffd
	v_add_co_ci_u32_e64 v45, null, v45, v54, vcc_lo
.LBB206_5:                              ;   Parent Loop BB206_3 Depth=1
                                        ; =>  This Inner Loop Header: Depth=2
	flat_load_b64 v[55:56], v[44:45]
	s_wait_alu 0xfffe
	s_add_nc_u64 s[22:23], s[22:23], 4
	v_add_co_u32 v44, vcc_lo, v44, 32
	s_wait_alu 0xfffe
	v_cmp_lt_i64_e64 s1, s[22:23], s[4:5]
	s_wait_alu 0xfffd
	v_add_co_ci_u32_e64 v45, null, 0, v45, vcc_lo
	s_and_b32 vcc_lo, exec_lo, s1
	s_wait_loadcnt_dscnt 0x0
	ds_store_b64 v47, v[55:56]
	flat_load_b64 v[55:56], v[42:43]
	v_add_co_u32 v42, s1, v42, 32
	s_wait_alu 0xf1ff
	v_add_co_ci_u32_e64 v43, null, 0, v43, s1
	s_wait_loadcnt_dscnt 0x0
	ds_store_b64 v48, v[55:56]
	s_wait_dscnt 0x0
	s_barrier_signal -1
	s_barrier_wait -1
	global_inv scope:SCOPE_SE
	ds_load_b128 v[55:58], v50
	ds_load_2addr_b64 v[59:62], v49 offset1:16
	ds_load_2addr_b64 v[63:66], v49 offset0:32 offset1:48
	ds_load_b128 v[67:70], v50 offset:512
	ds_load_b128 v[71:74], v50 offset:1024
	ds_load_b128 v[75:78], v50 offset:1536
	ds_load_b128 v[79:82], v50 offset:16
	ds_load_b128 v[83:86], v50 offset:528
	ds_load_b128 v[87:90], v50 offset:1040
	ds_load_b128 v[91:94], v50 offset:1552
	s_wait_dscnt 0x8
	v_fma_f64 v[38:39], v[59:60], v[55:56], v[38:39]
	v_fma_f64 v[36:37], v[61:62], v[55:56], v[36:37]
	s_wait_dscnt 0x7
	v_fma_f64 v[34:35], v[63:64], v[55:56], v[34:35]
	v_fma_f64 v[32:33], v[65:66], v[55:56], v[32:33]
	;; [unrolled: 3-line block ×3, first 2 shown]
	v_fma_f64 v[26:27], v[63:64], v[67:68], v[26:27]
	v_fma_f64 v[24:25], v[65:66], v[67:68], v[24:25]
	s_wait_dscnt 0x5
	v_fma_f64 v[22:23], v[59:60], v[71:72], v[22:23]
	v_fma_f64 v[20:21], v[61:62], v[71:72], v[20:21]
	;; [unrolled: 1-line block ×4, first 2 shown]
	s_wait_dscnt 0x4
	v_fma_f64 v[55:56], v[59:60], v[75:76], v[12:13]
	v_fma_f64 v[59:60], v[61:62], v[75:76], v[10:11]
	;; [unrolled: 1-line block ×4, first 2 shown]
	ds_load_2addr_b64 v[6:9], v49 offset0:64 offset1:80
	ds_load_2addr_b64 v[10:13], v49 offset0:96 offset1:112
	s_wait_dscnt 0x1
	v_fma_f64 v[38:39], v[6:7], v[57:58], v[38:39]
	v_fma_f64 v[36:37], v[8:9], v[57:58], v[36:37]
	s_wait_dscnt 0x0
	v_fma_f64 v[34:35], v[10:11], v[57:58], v[34:35]
	v_fma_f64 v[32:33], v[12:13], v[57:58], v[32:33]
	;; [unrolled: 1-line block ×14, first 2 shown]
	ds_load_2addr_b64 v[6:9], v49 offset0:128 offset1:144
	ds_load_2addr_b64 v[10:13], v49 offset0:160 offset1:176
	s_wait_dscnt 0x1
	v_fma_f64 v[38:39], v[6:7], v[79:80], v[38:39]
	v_fma_f64 v[36:37], v[8:9], v[79:80], v[36:37]
	s_wait_dscnt 0x0
	v_fma_f64 v[34:35], v[10:11], v[79:80], v[34:35]
	v_fma_f64 v[32:33], v[12:13], v[79:80], v[32:33]
	;; [unrolled: 1-line block ×14, first 2 shown]
	ds_load_2addr_b64 v[6:9], v49 offset0:192 offset1:208
	ds_load_2addr_b64 v[55:58], v49 offset0:224 offset1:240
	s_wait_loadcnt_dscnt 0x0
	s_barrier_signal -1
	s_barrier_wait -1
	global_inv scope:SCOPE_SE
	v_fma_f64 v[38:39], v[6:7], v[81:82], v[38:39]
	v_fma_f64 v[36:37], v[8:9], v[81:82], v[36:37]
	;; [unrolled: 1-line block ×16, first 2 shown]
	s_wait_alu 0xfffe
	s_cbranch_vccnz .LBB206_5
; %bb.6:                                ;   in Loop: Header=BB206_3 Depth=1
	v_add_co_u32 v40, vcc_lo, v40, s10
	s_wait_alu 0xfffd
	v_add_co_ci_u32_e64 v41, null, s11, v41, vcc_lo
	s_and_not1_b32 vcc_lo, exec_lo, s26
	s_wait_alu 0xfffe
	s_cbranch_vccnz .LBB206_9
.LBB206_7:                              ;   in Loop: Header=BB206_3 Depth=1
	v_mul_f64_e32 v[42:43], s[6:7], v[38:39]
	v_mul_f64_e32 v[44:45], s[6:7], v[36:37]
	;; [unrolled: 1-line block ×16, first 2 shown]
	v_add_co_u32 v83, vcc_lo, v40, v2
	s_wait_alu 0xfffd
	v_add_co_ci_u32_e64 v84, null, v41, v3, vcc_lo
	s_delay_alu instid0(VALU_DEP_2) | instskip(SKIP_1) | instid1(VALU_DEP_2)
	v_add_co_u32 v87, vcc_lo, v83, s18
	s_wait_alu 0xfffd
	v_add_co_ci_u32_e64 v88, null, s19, v84, vcc_lo
	v_add_co_u32 v83, vcc_lo, v83, v4
	s_wait_alu 0xfffd
	v_add_co_ci_u32_e64 v84, null, v84, v5, vcc_lo
	;; [unrolled: 3-line block ×3, first 2 shown]
	s_clause 0x3
	flat_store_b64 v[83:84], v[42:43]
	flat_store_b64 v[83:84], v[44:45] offset:128
	flat_store_b64 v[83:84], v[55:56] offset:256
	;; [unrolled: 1-line block ×3, first 2 shown]
	v_add_co_u32 v42, vcc_lo, v87, s18
	s_wait_alu 0xfffd
	v_add_co_ci_u32_e64 v43, null, s19, v88, vcc_lo
	s_clause 0x3
	flat_store_b64 v[85:86], v[59:60]
	flat_store_b64 v[85:86], v[61:62] offset:128
	flat_store_b64 v[85:86], v[63:64] offset:256
	;; [unrolled: 1-line block ×3, first 2 shown]
	v_add_co_u32 v44, vcc_lo, v42, s18
	s_wait_alu 0xfffd
	v_add_co_ci_u32_e64 v45, null, s19, v43, vcc_lo
	v_add_co_u32 v42, vcc_lo, v42, v4
	s_wait_alu 0xfffd
	v_add_co_ci_u32_e64 v43, null, v43, v5, vcc_lo
	v_add_co_u32 v44, vcc_lo, v44, v4
	s_wait_alu 0xfffd
	v_add_co_ci_u32_e64 v45, null, v45, v5, vcc_lo
	s_clause 0x7
	flat_store_b64 v[42:43], v[67:68]
	flat_store_b64 v[42:43], v[69:70] offset:128
	flat_store_b64 v[42:43], v[71:72] offset:256
	;; [unrolled: 1-line block ×3, first 2 shown]
	flat_store_b64 v[44:45], v[75:76]
	flat_store_b64 v[44:45], v[77:78] offset:128
	flat_store_b64 v[44:45], v[79:80] offset:256
	;; [unrolled: 1-line block ×3, first 2 shown]
	s_cbranch_execnz .LBB206_2
	s_branch .LBB206_10
.LBB206_8:                              ;   in Loop: Header=BB206_3 Depth=1
	v_mov_b32_e32 v38, 0
	v_mov_b32_e32 v34, 0
	;; [unrolled: 1-line block ×7, first 2 shown]
	v_dual_mov_b32 v8, 0 :: v_dual_mov_b32 v39, 0
	v_dual_mov_b32 v36, 0 :: v_dual_mov_b32 v35, 0
	;; [unrolled: 1-line block ×9, first 2 shown]
	v_mov_b32_e32 v33, 0
	v_mov_b32_e32 v29, 0
	;; [unrolled: 1-line block ×7, first 2 shown]
	s_wait_loadcnt 0x0
	v_add_co_u32 v40, vcc_lo, v40, s10
	s_wait_alu 0xfffd
	v_add_co_ci_u32_e64 v41, null, s11, v41, vcc_lo
	s_and_not1_b32 vcc_lo, exec_lo, s26
	s_wait_alu 0xfffe
	s_cbranch_vccz .LBB206_7
.LBB206_9:                              ;   in Loop: Header=BB206_3 Depth=1
.LBB206_10:                             ;   in Loop: Header=BB206_3 Depth=1
	v_add_co_u32 v14, vcc_lo, v14, s12
	s_wait_alu 0xfffd
	v_add_co_ci_u32_e64 v15, null, s13, v15, vcc_lo
	s_delay_alu instid0(VALU_DEP_2) | instskip(SKIP_1) | instid1(VALU_DEP_2)
	v_add_co_u32 v44, vcc_lo, v14, v0
	s_wait_alu 0xfffd
	v_add_co_ci_u32_e64 v45, null, v15, v1, vcc_lo
	s_delay_alu instid0(VALU_DEP_2) | instskip(SKIP_1) | instid1(VALU_DEP_2)
	v_add_co_u32 v14, vcc_lo, v44, v4
	s_wait_alu 0xfffd
	v_add_co_ci_u32_e64 v15, null, v45, v5, vcc_lo
	flat_load_b64 v[42:43], v[14:15]
	s_wait_loadcnt_dscnt 0x0
	v_mul_f64_e32 v[42:43], s[36:37], v[42:43]
	s_delay_alu instid0(VALU_DEP_1) | instskip(SKIP_3) | instid1(VALU_DEP_2)
	v_fma_f64 v[38:39], s[6:7], v[38:39], v[42:43]
	v_add_co_u32 v42, vcc_lo, v40, v2
	s_wait_alu 0xfffd
	v_add_co_ci_u32_e64 v43, null, v41, v3, vcc_lo
	v_add_co_u32 v40, vcc_lo, v42, v4
	s_wait_alu 0xfffd
	s_delay_alu instid0(VALU_DEP_2) | instskip(SKIP_4) | instid1(VALU_DEP_1)
	v_add_co_ci_u32_e64 v41, null, v43, v5, vcc_lo
	flat_store_b64 v[40:41], v[38:39]
	flat_load_b64 v[38:39], v[14:15] offset:128
	s_wait_loadcnt_dscnt 0x0
	v_mul_f64_e32 v[38:39], s[36:37], v[38:39]
	v_fma_f64 v[36:37], s[6:7], v[36:37], v[38:39]
	flat_store_b64 v[40:41], v[36:37] offset:128
	flat_load_b64 v[36:37], v[14:15] offset:256
	s_wait_loadcnt_dscnt 0x0
	v_mul_f64_e32 v[36:37], s[36:37], v[36:37]
	s_delay_alu instid0(VALU_DEP_1)
	v_fma_f64 v[34:35], s[6:7], v[34:35], v[36:37]
	flat_store_b64 v[40:41], v[34:35] offset:256
	flat_load_b64 v[14:15], v[14:15] offset:384
	v_add_co_u32 v34, vcc_lo, v44, s16
	s_wait_alu 0xfffd
	v_add_co_ci_u32_e64 v35, null, s17, v45, vcc_lo
	s_wait_loadcnt_dscnt 0x0
	v_mul_f64_e32 v[14:15], s[36:37], v[14:15]
	s_delay_alu instid0(VALU_DEP_1)
	v_fma_f64 v[14:15], s[6:7], v[32:33], v[14:15]
	v_add_co_u32 v32, vcc_lo, v34, v4
	s_wait_alu 0xfffd
	v_add_co_ci_u32_e64 v33, null, v35, v5, vcc_lo
	v_add_co_u32 v36, vcc_lo, v42, s18
	s_wait_alu 0xfffd
	v_add_co_ci_u32_e64 v37, null, s19, v43, vcc_lo
	flat_store_b64 v[40:41], v[14:15] offset:384
	flat_load_b64 v[14:15], v[32:33]
	s_wait_loadcnt_dscnt 0x0
	v_mul_f64_e32 v[14:15], s[36:37], v[14:15]
	s_delay_alu instid0(VALU_DEP_1)
	v_fma_f64 v[14:15], s[6:7], v[30:31], v[14:15]
	v_add_co_u32 v30, vcc_lo, v36, v4
	s_wait_alu 0xfffd
	v_add_co_ci_u32_e64 v31, null, v37, v5, vcc_lo
	flat_store_b64 v[30:31], v[14:15]
	flat_load_b64 v[14:15], v[32:33] offset:128
	s_wait_loadcnt_dscnt 0x0
	v_mul_f64_e32 v[14:15], s[36:37], v[14:15]
	s_delay_alu instid0(VALU_DEP_1) | instskip(SKIP_4) | instid1(VALU_DEP_1)
	v_fma_f64 v[14:15], s[6:7], v[28:29], v[14:15]
	flat_store_b64 v[30:31], v[14:15] offset:128
	flat_load_b64 v[14:15], v[32:33] offset:256
	s_wait_loadcnt_dscnt 0x0
	v_mul_f64_e32 v[14:15], s[36:37], v[14:15]
	v_fma_f64 v[14:15], s[6:7], v[26:27], v[14:15]
	v_add_co_u32 v26, vcc_lo, v34, s16
	s_wait_alu 0xfffd
	v_add_co_ci_u32_e64 v27, null, s17, v35, vcc_lo
	flat_store_b64 v[30:31], v[14:15] offset:256
	flat_load_b64 v[14:15], v[32:33] offset:384
	s_wait_loadcnt_dscnt 0x0
	v_mul_f64_e32 v[14:15], s[36:37], v[14:15]
	s_delay_alu instid0(VALU_DEP_1)
	v_fma_f64 v[14:15], s[6:7], v[24:25], v[14:15]
	v_add_co_u32 v24, vcc_lo, v26, v4
	s_wait_alu 0xfffd
	v_add_co_ci_u32_e64 v25, null, v27, v5, vcc_lo
	v_add_co_u32 v28, vcc_lo, v36, s18
	s_wait_alu 0xfffd
	v_add_co_ci_u32_e64 v29, null, s19, v37, vcc_lo
	flat_store_b64 v[30:31], v[14:15] offset:384
	flat_load_b64 v[14:15], v[24:25]
	s_wait_loadcnt_dscnt 0x0
	v_mul_f64_e32 v[14:15], s[36:37], v[14:15]
	s_delay_alu instid0(VALU_DEP_1)
	v_fma_f64 v[14:15], s[6:7], v[22:23], v[14:15]
	v_add_co_u32 v22, vcc_lo, v28, v4
	s_wait_alu 0xfffd
	v_add_co_ci_u32_e64 v23, null, v29, v5, vcc_lo
	flat_store_b64 v[22:23], v[14:15]
	flat_load_b64 v[14:15], v[24:25] offset:128
	s_wait_loadcnt_dscnt 0x0
	v_mul_f64_e32 v[14:15], s[36:37], v[14:15]
	s_delay_alu instid0(VALU_DEP_1) | instskip(SKIP_4) | instid1(VALU_DEP_1)
	v_fma_f64 v[14:15], s[6:7], v[20:21], v[14:15]
	flat_store_b64 v[22:23], v[14:15] offset:128
	flat_load_b64 v[14:15], v[24:25] offset:256
	s_wait_loadcnt_dscnt 0x0
	v_mul_f64_e32 v[14:15], s[36:37], v[14:15]
	v_fma_f64 v[14:15], s[6:7], v[18:19], v[14:15]
	flat_store_b64 v[22:23], v[14:15] offset:256
	flat_load_b64 v[14:15], v[24:25] offset:384
	s_wait_loadcnt_dscnt 0x0
	v_mul_f64_e32 v[14:15], s[36:37], v[14:15]
	s_delay_alu instid0(VALU_DEP_1) | instskip(SKIP_3) | instid1(VALU_DEP_2)
	v_fma_f64 v[14:15], s[6:7], v[16:17], v[14:15]
	v_add_co_u32 v16, vcc_lo, v26, s16
	s_wait_alu 0xfffd
	v_add_co_ci_u32_e64 v17, null, s17, v27, vcc_lo
	v_add_co_u32 v16, vcc_lo, v16, v4
	s_wait_alu 0xfffd
	s_delay_alu instid0(VALU_DEP_2) | instskip(SKIP_4) | instid1(VALU_DEP_1)
	v_add_co_ci_u32_e64 v17, null, v17, v5, vcc_lo
	flat_store_b64 v[22:23], v[14:15] offset:384
	flat_load_b64 v[14:15], v[16:17]
	s_wait_loadcnt_dscnt 0x0
	v_mul_f64_e32 v[14:15], s[36:37], v[14:15]
	v_fma_f64 v[12:13], s[6:7], v[12:13], v[14:15]
	v_add_co_u32 v14, vcc_lo, v28, s18
	s_wait_alu 0xfffd
	v_add_co_ci_u32_e64 v15, null, s19, v29, vcc_lo
	s_delay_alu instid0(VALU_DEP_2) | instskip(SKIP_1) | instid1(VALU_DEP_2)
	v_add_co_u32 v14, vcc_lo, v14, v4
	s_wait_alu 0xfffd
	v_add_co_ci_u32_e64 v15, null, v15, v5, vcc_lo
	flat_store_b64 v[14:15], v[12:13]
	flat_load_b64 v[12:13], v[16:17] offset:128
	s_wait_loadcnt_dscnt 0x0
	v_mul_f64_e32 v[12:13], s[36:37], v[12:13]
	s_delay_alu instid0(VALU_DEP_1) | instskip(SKIP_4) | instid1(VALU_DEP_1)
	v_fma_f64 v[10:11], s[6:7], v[10:11], v[12:13]
	flat_store_b64 v[14:15], v[10:11] offset:128
	flat_load_b64 v[10:11], v[16:17] offset:256
	s_wait_loadcnt_dscnt 0x0
	v_mul_f64_e32 v[10:11], s[36:37], v[10:11]
	v_fma_f64 v[8:9], s[6:7], v[8:9], v[10:11]
	flat_store_b64 v[14:15], v[8:9] offset:256
	flat_load_b64 v[8:9], v[16:17] offset:384
	s_wait_loadcnt_dscnt 0x0
	v_mul_f64_e32 v[8:9], s[36:37], v[8:9]
	s_delay_alu instid0(VALU_DEP_1)
	v_fma_f64 v[6:7], s[6:7], v[6:7], v[8:9]
	flat_store_b64 v[14:15], v[6:7] offset:384
	s_branch .LBB206_2
.LBB206_11:
	s_endpgm
	.section	.rodata,"a",@progbits
	.p2align	6, 0x0
	.amdhsa_kernel _ZN12_GLOBAL__N_127rocblas_gemm_batched_kernelIdLi16ELi16ELi64ELi64ELi4ELi64ELi4ELi4ELi64ELc84ELc78EKPKdS3_KPdEEvlllT_PT11_llS8_llS6_PT12_llPT13_lli
		.amdhsa_group_segment_fixed_size 4096
		.amdhsa_private_segment_fixed_size 0
		.amdhsa_kernarg_size 140
		.amdhsa_user_sgpr_count 2
		.amdhsa_user_sgpr_dispatch_ptr 0
		.amdhsa_user_sgpr_queue_ptr 0
		.amdhsa_user_sgpr_kernarg_segment_ptr 1
		.amdhsa_user_sgpr_dispatch_id 0
		.amdhsa_user_sgpr_private_segment_size 0
		.amdhsa_wavefront_size32 1
		.amdhsa_uses_dynamic_stack 0
		.amdhsa_enable_private_segment 0
		.amdhsa_system_sgpr_workgroup_id_x 1
		.amdhsa_system_sgpr_workgroup_id_y 1
		.amdhsa_system_sgpr_workgroup_id_z 1
		.amdhsa_system_sgpr_workgroup_info 0
		.amdhsa_system_vgpr_workitem_id 1
		.amdhsa_next_free_vgpr 95
		.amdhsa_next_free_sgpr 44
		.amdhsa_reserve_vcc 1
		.amdhsa_float_round_mode_32 0
		.amdhsa_float_round_mode_16_64 0
		.amdhsa_float_denorm_mode_32 3
		.amdhsa_float_denorm_mode_16_64 3
		.amdhsa_fp16_overflow 0
		.amdhsa_workgroup_processor_mode 1
		.amdhsa_memory_ordered 1
		.amdhsa_forward_progress 1
		.amdhsa_inst_pref_size 26
		.amdhsa_round_robin_scheduling 0
		.amdhsa_exception_fp_ieee_invalid_op 0
		.amdhsa_exception_fp_denorm_src 0
		.amdhsa_exception_fp_ieee_div_zero 0
		.amdhsa_exception_fp_ieee_overflow 0
		.amdhsa_exception_fp_ieee_underflow 0
		.amdhsa_exception_fp_ieee_inexact 0
		.amdhsa_exception_int_div_zero 0
	.end_amdhsa_kernel
	.section	.text._ZN12_GLOBAL__N_127rocblas_gemm_batched_kernelIdLi16ELi16ELi64ELi64ELi4ELi64ELi4ELi4ELi64ELc84ELc78EKPKdS3_KPdEEvlllT_PT11_llS8_llS6_PT12_llPT13_lli,"axG",@progbits,_ZN12_GLOBAL__N_127rocblas_gemm_batched_kernelIdLi16ELi16ELi64ELi64ELi4ELi64ELi4ELi4ELi64ELc84ELc78EKPKdS3_KPdEEvlllT_PT11_llS8_llS6_PT12_llPT13_lli,comdat
.Lfunc_end206:
	.size	_ZN12_GLOBAL__N_127rocblas_gemm_batched_kernelIdLi16ELi16ELi64ELi64ELi4ELi64ELi4ELi4ELi64ELc84ELc78EKPKdS3_KPdEEvlllT_PT11_llS8_llS6_PT12_llPT13_lli, .Lfunc_end206-_ZN12_GLOBAL__N_127rocblas_gemm_batched_kernelIdLi16ELi16ELi64ELi64ELi4ELi64ELi4ELi4ELi64ELc84ELc78EKPKdS3_KPdEEvlllT_PT11_llS8_llS6_PT12_llPT13_lli
                                        ; -- End function
	.set _ZN12_GLOBAL__N_127rocblas_gemm_batched_kernelIdLi16ELi16ELi64ELi64ELi4ELi64ELi4ELi4ELi64ELc84ELc78EKPKdS3_KPdEEvlllT_PT11_llS8_llS6_PT12_llPT13_lli.num_vgpr, 95
	.set _ZN12_GLOBAL__N_127rocblas_gemm_batched_kernelIdLi16ELi16ELi64ELi64ELi4ELi64ELi4ELi4ELi64ELc84ELc78EKPKdS3_KPdEEvlllT_PT11_llS8_llS6_PT12_llPT13_lli.num_agpr, 0
	.set _ZN12_GLOBAL__N_127rocblas_gemm_batched_kernelIdLi16ELi16ELi64ELi64ELi4ELi64ELi4ELi4ELi64ELc84ELc78EKPKdS3_KPdEEvlllT_PT11_llS8_llS6_PT12_llPT13_lli.numbered_sgpr, 44
	.set _ZN12_GLOBAL__N_127rocblas_gemm_batched_kernelIdLi16ELi16ELi64ELi64ELi4ELi64ELi4ELi4ELi64ELc84ELc78EKPKdS3_KPdEEvlllT_PT11_llS8_llS6_PT12_llPT13_lli.num_named_barrier, 0
	.set _ZN12_GLOBAL__N_127rocblas_gemm_batched_kernelIdLi16ELi16ELi64ELi64ELi4ELi64ELi4ELi4ELi64ELc84ELc78EKPKdS3_KPdEEvlllT_PT11_llS8_llS6_PT12_llPT13_lli.private_seg_size, 0
	.set _ZN12_GLOBAL__N_127rocblas_gemm_batched_kernelIdLi16ELi16ELi64ELi64ELi4ELi64ELi4ELi4ELi64ELc84ELc78EKPKdS3_KPdEEvlllT_PT11_llS8_llS6_PT12_llPT13_lli.uses_vcc, 1
	.set _ZN12_GLOBAL__N_127rocblas_gemm_batched_kernelIdLi16ELi16ELi64ELi64ELi4ELi64ELi4ELi4ELi64ELc84ELc78EKPKdS3_KPdEEvlllT_PT11_llS8_llS6_PT12_llPT13_lli.uses_flat_scratch, 1
	.set _ZN12_GLOBAL__N_127rocblas_gemm_batched_kernelIdLi16ELi16ELi64ELi64ELi4ELi64ELi4ELi4ELi64ELc84ELc78EKPKdS3_KPdEEvlllT_PT11_llS8_llS6_PT12_llPT13_lli.has_dyn_sized_stack, 0
	.set _ZN12_GLOBAL__N_127rocblas_gemm_batched_kernelIdLi16ELi16ELi64ELi64ELi4ELi64ELi4ELi4ELi64ELc84ELc78EKPKdS3_KPdEEvlllT_PT11_llS8_llS6_PT12_llPT13_lli.has_recursion, 0
	.set _ZN12_GLOBAL__N_127rocblas_gemm_batched_kernelIdLi16ELi16ELi64ELi64ELi4ELi64ELi4ELi4ELi64ELc84ELc78EKPKdS3_KPdEEvlllT_PT11_llS8_llS6_PT12_llPT13_lli.has_indirect_call, 0
	.section	.AMDGPU.csdata,"",@progbits
; Kernel info:
; codeLenInByte = 3328
; TotalNumSgprs: 46
; NumVgprs: 95
; ScratchSize: 0
; MemoryBound: 0
; FloatMode: 240
; IeeeMode: 1
; LDSByteSize: 4096 bytes/workgroup (compile time only)
; SGPRBlocks: 0
; VGPRBlocks: 11
; NumSGPRsForWavesPerEU: 46
; NumVGPRsForWavesPerEU: 95
; Occupancy: 16
; WaveLimiterHint : 1
; COMPUTE_PGM_RSRC2:SCRATCH_EN: 0
; COMPUTE_PGM_RSRC2:USER_SGPR: 2
; COMPUTE_PGM_RSRC2:TRAP_HANDLER: 0
; COMPUTE_PGM_RSRC2:TGID_X_EN: 1
; COMPUTE_PGM_RSRC2:TGID_Y_EN: 1
; COMPUTE_PGM_RSRC2:TGID_Z_EN: 1
; COMPUTE_PGM_RSRC2:TIDIG_COMP_CNT: 1
	.section	.text._ZN12_GLOBAL__N_127rocblas_gemm_batched_kernelIdLi16ELi16ELi64ELi64ELi4ELi64ELi4ELi4ELi64ELc78ELc84EKPKdS3_KPdEEvlllT_PT11_llS8_llS6_PT12_llPT13_lli,"axG",@progbits,_ZN12_GLOBAL__N_127rocblas_gemm_batched_kernelIdLi16ELi16ELi64ELi64ELi4ELi64ELi4ELi4ELi64ELc78ELc84EKPKdS3_KPdEEvlllT_PT11_llS8_llS6_PT12_llPT13_lli,comdat
	.globl	_ZN12_GLOBAL__N_127rocblas_gemm_batched_kernelIdLi16ELi16ELi64ELi64ELi4ELi64ELi4ELi4ELi64ELc78ELc84EKPKdS3_KPdEEvlllT_PT11_llS8_llS6_PT12_llPT13_lli ; -- Begin function _ZN12_GLOBAL__N_127rocblas_gemm_batched_kernelIdLi16ELi16ELi64ELi64ELi4ELi64ELi4ELi4ELi64ELc78ELc84EKPKdS3_KPdEEvlllT_PT11_llS8_llS6_PT12_llPT13_lli
	.p2align	8
	.type	_ZN12_GLOBAL__N_127rocblas_gemm_batched_kernelIdLi16ELi16ELi64ELi64ELi4ELi64ELi4ELi4ELi64ELc78ELc84EKPKdS3_KPdEEvlllT_PT11_llS8_llS6_PT12_llPT13_lli,@function
_ZN12_GLOBAL__N_127rocblas_gemm_batched_kernelIdLi16ELi16ELi64ELi64ELi4ELi64ELi4ELi4ELi64ELc78ELc84EKPKdS3_KPdEEvlllT_PT11_llS8_llS6_PT12_llPT13_lli: ; @_ZN12_GLOBAL__N_127rocblas_gemm_batched_kernelIdLi16ELi16ELi64ELi64ELi4ELi64ELi4ELi4ELi64ELc78ELc84EKPKdS3_KPdEEvlllT_PT11_llS8_llS6_PT12_llPT13_lli
; %bb.0:
	s_load_b32 s28, s[0:1], 0x88
	s_lshr_b32 s2, ttmp7, 16
	s_wait_kmcnt 0x0
	s_cmp_ge_i32 s2, s28
	s_cbranch_scc1 .LBB207_11
; %bb.1:
	s_clause 0x2
	s_load_b256 s[20:27], s[0:1], 0x70
	s_load_b512 s[4:19], s[0:1], 0x10
	s_load_b256 s[36:43], s[0:1], 0x50
	v_bfe_u32 v2, v0, 10, 10
	s_lshl_b32 s0, ttmp7, 6
	v_dual_mov_b32 v1, 0 :: v_dual_and_b32 v10, 0x3ff, v0
	s_and_b32 s33, s0, 0x3fffc0
	v_and_b32_e32 v14, 3, v0
	v_add_nc_u32_e32 v16, s33, v2
	s_delay_alu instid0(VALU_DEP_3)
	v_lshl_add_u32 v3, v2, 4, v10
	v_lshl_add_u32 v49, v2, 5, 0x800
	s_mov_b32 s30, ttmp9
	s_ashr_i32 s31, ttmp9, 31
	v_lshlrev_b32_e32 v48, 3, v10
	v_lshrrev_b32_e32 v0, 2, v3
	v_lshrrev_b32_e32 v18, 6, v3
	s_lshl_b64 s[0:1], s[30:31], 6
	s_mov_b32 s3, 0
	s_wait_kmcnt 0x0
	v_add_co_u32 v10, s26, s0, v10
	v_mad_co_u64_u32 v[4:5], null, v16, s22, 0
	v_and_b32_e32 v17, 63, v3
	v_mad_co_u64_u32 v[8:9], null, v16, s40, 0
	v_mad_co_u64_u32 v[12:13], null, s10, v18, s[0:1]
	v_cmp_eq_f64_e64 s29, s[36:37], 0
	s_delay_alu instid0(VALU_DEP_4)
	v_dual_mov_b32 v2, v5 :: v_dual_lshlrev_b32 v3, 3, v17
	v_add_co_ci_u32_e64 v11, null, s1, 0, s26
	s_lshl_b64 s[0:1], s[18:19], 3
	s_lshl_b64 s[26:27], s[22:23], 4
	v_lshl_or_b32 v50, v18, 9, v3
	v_mad_co_u64_u32 v[2:3], null, v16, s23, v[2:3]
	s_lshl_b64 s[22:23], s[40:41], 4
	s_lshl_b64 s[18:19], s[42:43], 3
	s_wait_alu 0xfffe
	s_lshl_b64 s[22:23], s[22:23], 3
	v_dual_mov_b32 v5, v2 :: v_dual_mov_b32 v2, v9
	s_delay_alu instid0(VALU_DEP_1) | instskip(NEXT) | instid1(VALU_DEP_2)
	v_lshlrev_b64_e32 v[4:5], 3, v[4:5]
	v_mad_co_u64_u32 v[2:3], null, v16, s41, v[2:3]
	s_delay_alu instid0(VALU_DEP_1) | instskip(NEXT) | instid1(VALU_DEP_1)
	v_dual_mov_b32 v9, v2 :: v_dual_lshlrev_b32 v6, 3, v14
	v_lshl_or_b32 v6, v0, 5, v6
	s_delay_alu instid0(VALU_DEP_1) | instskip(SKIP_1) | instid1(VALU_DEP_1)
	v_add_nc_u32_e32 v51, 0x800, v6
	v_mad_co_u64_u32 v[6:7], null, s16, v14, v[0:1]
	v_mov_b32_e32 v0, v7
	s_delay_alu instid0(VALU_DEP_2) | instskip(NEXT) | instid1(VALU_DEP_2)
	v_add_co_u32 v6, vcc_lo, v6, s33
	v_mad_co_u64_u32 v[14:15], null, s17, v14, v[0:1]
	v_mov_b32_e32 v0, v13
	s_lshl_b64 s[16:17], s[16:17], 5
	s_delay_alu instid0(VALU_DEP_2) | instskip(NEXT) | instid1(VALU_DEP_2)
	v_add_co_ci_u32_e64 v7, null, 0, v14, vcc_lo
	v_mad_co_u64_u32 v[13:14], null, s11, v18, v[0:1]
	s_lshl_b64 s[10:11], s[10:11], 5
	v_lshlrev_b64_e32 v[2:3], 3, v[6:7]
	v_add_co_u32 v6, vcc_lo, v12, v17
	s_wait_alu 0xfffd
	v_add_co_ci_u32_e64 v7, null, 0, v13, vcc_lo
	s_delay_alu instid0(VALU_DEP_3)
	v_add_co_u32 v0, vcc_lo, s0, v2
	s_wait_alu 0xfffd
	v_add_co_ci_u32_e64 v52, null, s1, v3, vcc_lo
	s_lshl_b64 s[0:1], s[12:13], 3
	v_cmp_gt_i64_e64 s12, s[4:5], 0
	v_lshlrev_b64_e32 v[2:3], 3, v[6:7]
	s_delay_alu instid0(VALU_DEP_2) | instskip(SKIP_1) | instid1(VALU_DEP_2)
	v_cndmask_b32_e64 v6, 0, 1, s12
	s_wait_alu 0xfffe
	v_add_co_u32 v53, vcc_lo, s0, v2
	s_wait_alu 0xfffd
	s_delay_alu instid0(VALU_DEP_3)
	v_add_co_ci_u32_e64 v54, null, s1, v3, vcc_lo
	v_cmp_ne_u32_e64 s0, 1, v6
	v_lshlrev_b64_e32 v[2:3], 3, v[8:9]
	v_lshlrev_b64_e32 v[6:7], 3, v[10:11]
	s_lshl_b64 s[12:13], s[24:25], 3
	s_lshl_b64 s[24:25], s[26:27], 3
	s_branch .LBB207_3
.LBB207_2:                              ;   in Loop: Header=BB207_3 Depth=1
	s_add_co_i32 s2, s2, 0x10000
	s_delay_alu instid0(SALU_CYCLE_1)
	s_cmp_lt_i32 s2, s28
	s_cbranch_scc0 .LBB207_11
.LBB207_3:                              ; =>This Loop Header: Depth=1
                                        ;     Child Loop BB207_5 Depth 2
	s_lshl_b64 s[26:27], s[2:3], 3
	s_and_b32 vcc_lo, exec_lo, s0
	s_wait_alu 0xfffe
	s_add_nc_u64 s[30:31], s[38:39], s[26:27]
	s_add_nc_u64 s[34:35], s[20:21], s[26:27]
	s_clause 0x1
	global_load_b64 v[16:17], v1, s[30:31]
	global_load_b64 v[42:43], v1, s[34:35]
	s_cbranch_vccnz .LBB207_8
; %bb.4:                                ;   in Loop: Header=BB207_3 Depth=1
	s_add_nc_u64 s[30:31], s[14:15], s[26:27]
	s_add_nc_u64 s[26:27], s[8:9], s[26:27]
	s_clause 0x1
	global_load_b64 v[44:45], v1, s[30:31]
	global_load_b64 v[46:47], v1, s[26:27]
	v_mov_b32_e32 v8, 0
	v_mov_b32_e32 v12, 0
	;; [unrolled: 1-line block ×7, first 2 shown]
	v_dual_mov_b32 v38, 0 :: v_dual_mov_b32 v9, 0
	v_dual_mov_b32 v10, 0 :: v_dual_mov_b32 v13, 0
	;; [unrolled: 1-line block ×9, first 2 shown]
	v_mov_b32_e32 v15, 0
	v_mov_b32_e32 v21, 0
	;; [unrolled: 1-line block ×7, first 2 shown]
	s_mov_b64 s[26:27], 0
	s_wait_loadcnt 0x1
	v_add_co_u32 v44, vcc_lo, v44, v0
	s_wait_alu 0xfffd
	v_add_co_ci_u32_e64 v45, null, v45, v52, vcc_lo
	s_wait_loadcnt 0x0
	v_add_co_u32 v46, vcc_lo, v46, v53
	s_wait_alu 0xfffd
	v_add_co_ci_u32_e64 v47, null, v47, v54, vcc_lo
.LBB207_5:                              ;   Parent Loop BB207_3 Depth=1
                                        ; =>  This Inner Loop Header: Depth=2
	flat_load_b64 v[55:56], v[46:47]
	s_wait_alu 0xfffe
	s_add_nc_u64 s[26:27], s[26:27], 4
	v_add_co_u32 v46, vcc_lo, v46, s10
	s_wait_alu 0xfffe
	v_cmp_lt_i64_e64 s1, s[26:27], s[4:5]
	s_wait_alu 0xfffd
	v_add_co_ci_u32_e64 v47, null, s11, v47, vcc_lo
	s_and_b32 vcc_lo, exec_lo, s1
	s_wait_loadcnt_dscnt 0x0
	ds_store_b64 v50, v[55:56]
	flat_load_b64 v[55:56], v[44:45]
	v_add_co_u32 v44, s1, v44, s16
	s_wait_alu 0xf1ff
	v_add_co_ci_u32_e64 v45, null, s17, v45, s1
	s_wait_loadcnt_dscnt 0x0
	ds_store_b64 v51, v[55:56]
	s_wait_dscnt 0x0
	s_barrier_signal -1
	s_barrier_wait -1
	global_inv scope:SCOPE_SE
	ds_load_b128 v[55:58], v49
	ds_load_2addr_b64 v[59:62], v48 offset1:16
	ds_load_2addr_b64 v[63:66], v48 offset0:32 offset1:48
	ds_load_b128 v[67:70], v49 offset:512
	ds_load_b128 v[71:74], v49 offset:1024
	;; [unrolled: 1-line block ×7, first 2 shown]
	s_wait_dscnt 0x8
	v_fma_f64 v[40:41], v[59:60], v[55:56], v[40:41]
	v_fma_f64 v[38:39], v[61:62], v[55:56], v[38:39]
	s_wait_dscnt 0x7
	v_fma_f64 v[36:37], v[63:64], v[55:56], v[36:37]
	v_fma_f64 v[34:35], v[65:66], v[55:56], v[34:35]
	s_wait_dscnt 0x6
	v_fma_f64 v[32:33], v[59:60], v[67:68], v[32:33]
	v_fma_f64 v[30:31], v[61:62], v[67:68], v[30:31]
	v_fma_f64 v[28:29], v[63:64], v[67:68], v[28:29]
	v_fma_f64 v[26:27], v[65:66], v[67:68], v[26:27]
	s_wait_dscnt 0x5
	v_fma_f64 v[24:25], v[59:60], v[71:72], v[24:25]
	v_fma_f64 v[22:23], v[61:62], v[71:72], v[22:23]
	;; [unrolled: 1-line block ×4, first 2 shown]
	s_wait_dscnt 0x4
	v_fma_f64 v[55:56], v[59:60], v[75:76], v[14:15]
	v_fma_f64 v[59:60], v[61:62], v[75:76], v[12:13]
	;; [unrolled: 1-line block ×4, first 2 shown]
	ds_load_2addr_b64 v[8:11], v48 offset0:64 offset1:80
	ds_load_2addr_b64 v[12:15], v48 offset0:96 offset1:112
	s_wait_dscnt 0x1
	v_fma_f64 v[40:41], v[8:9], v[57:58], v[40:41]
	v_fma_f64 v[38:39], v[10:11], v[57:58], v[38:39]
	s_wait_dscnt 0x0
	v_fma_f64 v[36:37], v[12:13], v[57:58], v[36:37]
	v_fma_f64 v[34:35], v[14:15], v[57:58], v[34:35]
	;; [unrolled: 1-line block ×14, first 2 shown]
	ds_load_2addr_b64 v[8:11], v48 offset0:128 offset1:144
	ds_load_2addr_b64 v[12:15], v48 offset0:160 offset1:176
	s_wait_dscnt 0x1
	v_fma_f64 v[40:41], v[8:9], v[79:80], v[40:41]
	v_fma_f64 v[38:39], v[10:11], v[79:80], v[38:39]
	s_wait_dscnt 0x0
	v_fma_f64 v[36:37], v[12:13], v[79:80], v[36:37]
	v_fma_f64 v[34:35], v[14:15], v[79:80], v[34:35]
	v_fma_f64 v[32:33], v[8:9], v[83:84], v[32:33]
	v_fma_f64 v[30:31], v[10:11], v[83:84], v[30:31]
	v_fma_f64 v[28:29], v[12:13], v[83:84], v[28:29]
	v_fma_f64 v[26:27], v[14:15], v[83:84], v[26:27]
	v_fma_f64 v[24:25], v[8:9], v[87:88], v[24:25]
	v_fma_f64 v[22:23], v[10:11], v[87:88], v[22:23]
	v_fma_f64 v[20:21], v[12:13], v[87:88], v[20:21]
	v_fma_f64 v[18:19], v[14:15], v[87:88], v[18:19]
	v_fma_f64 v[63:64], v[8:9], v[91:92], v[55:56]
	v_fma_f64 v[65:66], v[10:11], v[91:92], v[57:58]
	v_fma_f64 v[59:60], v[12:13], v[91:92], v[59:60]
	v_fma_f64 v[61:62], v[14:15], v[91:92], v[61:62]
	ds_load_2addr_b64 v[8:11], v48 offset0:192 offset1:208
	ds_load_2addr_b64 v[55:58], v48 offset0:224 offset1:240
	s_wait_loadcnt_dscnt 0x0
	s_barrier_signal -1
	s_barrier_wait -1
	global_inv scope:SCOPE_SE
	v_fma_f64 v[40:41], v[8:9], v[81:82], v[40:41]
	v_fma_f64 v[38:39], v[10:11], v[81:82], v[38:39]
	;; [unrolled: 1-line block ×16, first 2 shown]
	s_wait_alu 0xfffe
	s_cbranch_vccnz .LBB207_5
; %bb.6:                                ;   in Loop: Header=BB207_3 Depth=1
	v_add_co_u32 v42, vcc_lo, v42, s12
	s_wait_alu 0xfffd
	v_add_co_ci_u32_e64 v43, null, s13, v43, vcc_lo
	s_and_not1_b32 vcc_lo, exec_lo, s29
	s_wait_alu 0xfffe
	s_cbranch_vccnz .LBB207_9
.LBB207_7:                              ;   in Loop: Header=BB207_3 Depth=1
	v_mul_f64_e32 v[44:45], s[6:7], v[40:41]
	v_mul_f64_e32 v[46:47], s[6:7], v[38:39]
	;; [unrolled: 1-line block ×16, first 2 shown]
	v_add_co_u32 v83, vcc_lo, v42, v4
	s_wait_alu 0xfffd
	v_add_co_ci_u32_e64 v84, null, v43, v5, vcc_lo
	s_delay_alu instid0(VALU_DEP_2) | instskip(SKIP_1) | instid1(VALU_DEP_2)
	v_add_co_u32 v87, vcc_lo, v83, s24
	s_wait_alu 0xfffd
	v_add_co_ci_u32_e64 v88, null, s25, v84, vcc_lo
	v_add_co_u32 v83, vcc_lo, v83, v6
	s_wait_alu 0xfffd
	v_add_co_ci_u32_e64 v84, null, v84, v7, vcc_lo
	;; [unrolled: 3-line block ×3, first 2 shown]
	s_clause 0x3
	flat_store_b64 v[83:84], v[44:45]
	flat_store_b64 v[83:84], v[46:47] offset:128
	flat_store_b64 v[83:84], v[55:56] offset:256
	;; [unrolled: 1-line block ×3, first 2 shown]
	v_add_co_u32 v44, vcc_lo, v87, s24
	s_wait_alu 0xfffd
	v_add_co_ci_u32_e64 v45, null, s25, v88, vcc_lo
	s_clause 0x3
	flat_store_b64 v[85:86], v[59:60]
	flat_store_b64 v[85:86], v[61:62] offset:128
	flat_store_b64 v[85:86], v[63:64] offset:256
	;; [unrolled: 1-line block ×3, first 2 shown]
	v_add_co_u32 v46, vcc_lo, v44, s24
	s_wait_alu 0xfffd
	v_add_co_ci_u32_e64 v47, null, s25, v45, vcc_lo
	v_add_co_u32 v44, vcc_lo, v44, v6
	s_wait_alu 0xfffd
	v_add_co_ci_u32_e64 v45, null, v45, v7, vcc_lo
	;; [unrolled: 3-line block ×3, first 2 shown]
	s_clause 0x7
	flat_store_b64 v[44:45], v[67:68]
	flat_store_b64 v[44:45], v[69:70] offset:128
	flat_store_b64 v[44:45], v[71:72] offset:256
	flat_store_b64 v[44:45], v[73:74] offset:384
	flat_store_b64 v[46:47], v[75:76]
	flat_store_b64 v[46:47], v[77:78] offset:128
	flat_store_b64 v[46:47], v[79:80] offset:256
	;; [unrolled: 1-line block ×3, first 2 shown]
	s_cbranch_execnz .LBB207_2
	s_branch .LBB207_10
.LBB207_8:                              ;   in Loop: Header=BB207_3 Depth=1
	v_mov_b32_e32 v40, 0
	v_mov_b32_e32 v36, 0
	;; [unrolled: 1-line block ×7, first 2 shown]
	v_dual_mov_b32 v10, 0 :: v_dual_mov_b32 v41, 0
	v_dual_mov_b32 v38, 0 :: v_dual_mov_b32 v37, 0
	;; [unrolled: 1-line block ×9, first 2 shown]
	v_mov_b32_e32 v35, 0
	v_mov_b32_e32 v31, 0
	;; [unrolled: 1-line block ×7, first 2 shown]
	s_wait_loadcnt 0x0
	v_add_co_u32 v42, vcc_lo, v42, s12
	s_wait_alu 0xfffd
	v_add_co_ci_u32_e64 v43, null, s13, v43, vcc_lo
	s_and_not1_b32 vcc_lo, exec_lo, s29
	s_wait_alu 0xfffe
	s_cbranch_vccz .LBB207_7
.LBB207_9:                              ;   in Loop: Header=BB207_3 Depth=1
.LBB207_10:                             ;   in Loop: Header=BB207_3 Depth=1
	v_add_co_u32 v16, vcc_lo, v16, s18
	s_wait_alu 0xfffd
	v_add_co_ci_u32_e64 v17, null, s19, v17, vcc_lo
	s_delay_alu instid0(VALU_DEP_2) | instskip(SKIP_1) | instid1(VALU_DEP_2)
	v_add_co_u32 v46, vcc_lo, v16, v2
	s_wait_alu 0xfffd
	v_add_co_ci_u32_e64 v47, null, v17, v3, vcc_lo
	s_delay_alu instid0(VALU_DEP_2) | instskip(SKIP_1) | instid1(VALU_DEP_2)
	v_add_co_u32 v16, vcc_lo, v46, v6
	s_wait_alu 0xfffd
	v_add_co_ci_u32_e64 v17, null, v47, v7, vcc_lo
	flat_load_b64 v[44:45], v[16:17]
	s_wait_loadcnt_dscnt 0x0
	v_mul_f64_e32 v[44:45], s[36:37], v[44:45]
	s_delay_alu instid0(VALU_DEP_1) | instskip(SKIP_3) | instid1(VALU_DEP_2)
	v_fma_f64 v[40:41], s[6:7], v[40:41], v[44:45]
	v_add_co_u32 v44, vcc_lo, v42, v4
	s_wait_alu 0xfffd
	v_add_co_ci_u32_e64 v45, null, v43, v5, vcc_lo
	v_add_co_u32 v42, vcc_lo, v44, v6
	s_wait_alu 0xfffd
	s_delay_alu instid0(VALU_DEP_2) | instskip(SKIP_4) | instid1(VALU_DEP_1)
	v_add_co_ci_u32_e64 v43, null, v45, v7, vcc_lo
	flat_store_b64 v[42:43], v[40:41]
	flat_load_b64 v[40:41], v[16:17] offset:128
	s_wait_loadcnt_dscnt 0x0
	v_mul_f64_e32 v[40:41], s[36:37], v[40:41]
	v_fma_f64 v[38:39], s[6:7], v[38:39], v[40:41]
	flat_store_b64 v[42:43], v[38:39] offset:128
	flat_load_b64 v[38:39], v[16:17] offset:256
	s_wait_loadcnt_dscnt 0x0
	v_mul_f64_e32 v[38:39], s[36:37], v[38:39]
	s_delay_alu instid0(VALU_DEP_1)
	v_fma_f64 v[36:37], s[6:7], v[36:37], v[38:39]
	flat_store_b64 v[42:43], v[36:37] offset:256
	flat_load_b64 v[16:17], v[16:17] offset:384
	v_add_co_u32 v36, vcc_lo, v46, s22
	s_wait_alu 0xfffd
	v_add_co_ci_u32_e64 v37, null, s23, v47, vcc_lo
	s_wait_loadcnt_dscnt 0x0
	v_mul_f64_e32 v[16:17], s[36:37], v[16:17]
	s_delay_alu instid0(VALU_DEP_1)
	v_fma_f64 v[16:17], s[6:7], v[34:35], v[16:17]
	v_add_co_u32 v34, vcc_lo, v36, v6
	s_wait_alu 0xfffd
	v_add_co_ci_u32_e64 v35, null, v37, v7, vcc_lo
	v_add_co_u32 v38, vcc_lo, v44, s24
	s_wait_alu 0xfffd
	v_add_co_ci_u32_e64 v39, null, s25, v45, vcc_lo
	flat_store_b64 v[42:43], v[16:17] offset:384
	flat_load_b64 v[16:17], v[34:35]
	s_wait_loadcnt_dscnt 0x0
	v_mul_f64_e32 v[16:17], s[36:37], v[16:17]
	s_delay_alu instid0(VALU_DEP_1)
	v_fma_f64 v[16:17], s[6:7], v[32:33], v[16:17]
	v_add_co_u32 v32, vcc_lo, v38, v6
	s_wait_alu 0xfffd
	v_add_co_ci_u32_e64 v33, null, v39, v7, vcc_lo
	flat_store_b64 v[32:33], v[16:17]
	flat_load_b64 v[16:17], v[34:35] offset:128
	s_wait_loadcnt_dscnt 0x0
	v_mul_f64_e32 v[16:17], s[36:37], v[16:17]
	s_delay_alu instid0(VALU_DEP_1) | instskip(SKIP_4) | instid1(VALU_DEP_1)
	v_fma_f64 v[16:17], s[6:7], v[30:31], v[16:17]
	flat_store_b64 v[32:33], v[16:17] offset:128
	flat_load_b64 v[16:17], v[34:35] offset:256
	s_wait_loadcnt_dscnt 0x0
	v_mul_f64_e32 v[16:17], s[36:37], v[16:17]
	v_fma_f64 v[16:17], s[6:7], v[28:29], v[16:17]
	v_add_co_u32 v28, vcc_lo, v36, s22
	s_wait_alu 0xfffd
	v_add_co_ci_u32_e64 v29, null, s23, v37, vcc_lo
	flat_store_b64 v[32:33], v[16:17] offset:256
	flat_load_b64 v[16:17], v[34:35] offset:384
	s_wait_loadcnt_dscnt 0x0
	v_mul_f64_e32 v[16:17], s[36:37], v[16:17]
	s_delay_alu instid0(VALU_DEP_1)
	v_fma_f64 v[16:17], s[6:7], v[26:27], v[16:17]
	v_add_co_u32 v26, vcc_lo, v28, v6
	s_wait_alu 0xfffd
	v_add_co_ci_u32_e64 v27, null, v29, v7, vcc_lo
	v_add_co_u32 v30, vcc_lo, v38, s24
	s_wait_alu 0xfffd
	v_add_co_ci_u32_e64 v31, null, s25, v39, vcc_lo
	flat_store_b64 v[32:33], v[16:17] offset:384
	flat_load_b64 v[16:17], v[26:27]
	s_wait_loadcnt_dscnt 0x0
	v_mul_f64_e32 v[16:17], s[36:37], v[16:17]
	s_delay_alu instid0(VALU_DEP_1)
	v_fma_f64 v[16:17], s[6:7], v[24:25], v[16:17]
	v_add_co_u32 v24, vcc_lo, v30, v6
	s_wait_alu 0xfffd
	v_add_co_ci_u32_e64 v25, null, v31, v7, vcc_lo
	flat_store_b64 v[24:25], v[16:17]
	flat_load_b64 v[16:17], v[26:27] offset:128
	s_wait_loadcnt_dscnt 0x0
	v_mul_f64_e32 v[16:17], s[36:37], v[16:17]
	s_delay_alu instid0(VALU_DEP_1) | instskip(SKIP_4) | instid1(VALU_DEP_1)
	v_fma_f64 v[16:17], s[6:7], v[22:23], v[16:17]
	flat_store_b64 v[24:25], v[16:17] offset:128
	flat_load_b64 v[16:17], v[26:27] offset:256
	s_wait_loadcnt_dscnt 0x0
	v_mul_f64_e32 v[16:17], s[36:37], v[16:17]
	v_fma_f64 v[16:17], s[6:7], v[20:21], v[16:17]
	flat_store_b64 v[24:25], v[16:17] offset:256
	flat_load_b64 v[16:17], v[26:27] offset:384
	s_wait_loadcnt_dscnt 0x0
	v_mul_f64_e32 v[16:17], s[36:37], v[16:17]
	s_delay_alu instid0(VALU_DEP_1) | instskip(SKIP_3) | instid1(VALU_DEP_2)
	v_fma_f64 v[16:17], s[6:7], v[18:19], v[16:17]
	v_add_co_u32 v18, vcc_lo, v28, s22
	s_wait_alu 0xfffd
	v_add_co_ci_u32_e64 v19, null, s23, v29, vcc_lo
	v_add_co_u32 v18, vcc_lo, v18, v6
	s_wait_alu 0xfffd
	s_delay_alu instid0(VALU_DEP_2) | instskip(SKIP_4) | instid1(VALU_DEP_1)
	v_add_co_ci_u32_e64 v19, null, v19, v7, vcc_lo
	flat_store_b64 v[24:25], v[16:17] offset:384
	flat_load_b64 v[16:17], v[18:19]
	s_wait_loadcnt_dscnt 0x0
	v_mul_f64_e32 v[16:17], s[36:37], v[16:17]
	v_fma_f64 v[14:15], s[6:7], v[14:15], v[16:17]
	v_add_co_u32 v16, vcc_lo, v30, s24
	s_wait_alu 0xfffd
	v_add_co_ci_u32_e64 v17, null, s25, v31, vcc_lo
	s_delay_alu instid0(VALU_DEP_2) | instskip(SKIP_1) | instid1(VALU_DEP_2)
	v_add_co_u32 v16, vcc_lo, v16, v6
	s_wait_alu 0xfffd
	v_add_co_ci_u32_e64 v17, null, v17, v7, vcc_lo
	flat_store_b64 v[16:17], v[14:15]
	flat_load_b64 v[14:15], v[18:19] offset:128
	s_wait_loadcnt_dscnt 0x0
	v_mul_f64_e32 v[14:15], s[36:37], v[14:15]
	s_delay_alu instid0(VALU_DEP_1) | instskip(SKIP_4) | instid1(VALU_DEP_1)
	v_fma_f64 v[12:13], s[6:7], v[12:13], v[14:15]
	flat_store_b64 v[16:17], v[12:13] offset:128
	flat_load_b64 v[12:13], v[18:19] offset:256
	s_wait_loadcnt_dscnt 0x0
	v_mul_f64_e32 v[12:13], s[36:37], v[12:13]
	v_fma_f64 v[10:11], s[6:7], v[10:11], v[12:13]
	flat_store_b64 v[16:17], v[10:11] offset:256
	flat_load_b64 v[10:11], v[18:19] offset:384
	s_wait_loadcnt_dscnt 0x0
	v_mul_f64_e32 v[10:11], s[36:37], v[10:11]
	s_delay_alu instid0(VALU_DEP_1)
	v_fma_f64 v[8:9], s[6:7], v[8:9], v[10:11]
	flat_store_b64 v[16:17], v[8:9] offset:384
	s_branch .LBB207_2
.LBB207_11:
	s_endpgm
	.section	.rodata,"a",@progbits
	.p2align	6, 0x0
	.amdhsa_kernel _ZN12_GLOBAL__N_127rocblas_gemm_batched_kernelIdLi16ELi16ELi64ELi64ELi4ELi64ELi4ELi4ELi64ELc78ELc84EKPKdS3_KPdEEvlllT_PT11_llS8_llS6_PT12_llPT13_lli
		.amdhsa_group_segment_fixed_size 4096
		.amdhsa_private_segment_fixed_size 0
		.amdhsa_kernarg_size 140
		.amdhsa_user_sgpr_count 2
		.amdhsa_user_sgpr_dispatch_ptr 0
		.amdhsa_user_sgpr_queue_ptr 0
		.amdhsa_user_sgpr_kernarg_segment_ptr 1
		.amdhsa_user_sgpr_dispatch_id 0
		.amdhsa_user_sgpr_private_segment_size 0
		.amdhsa_wavefront_size32 1
		.amdhsa_uses_dynamic_stack 0
		.amdhsa_enable_private_segment 0
		.amdhsa_system_sgpr_workgroup_id_x 1
		.amdhsa_system_sgpr_workgroup_id_y 1
		.amdhsa_system_sgpr_workgroup_id_z 1
		.amdhsa_system_sgpr_workgroup_info 0
		.amdhsa_system_vgpr_workitem_id 1
		.amdhsa_next_free_vgpr 95
		.amdhsa_next_free_sgpr 44
		.amdhsa_reserve_vcc 1
		.amdhsa_float_round_mode_32 0
		.amdhsa_float_round_mode_16_64 0
		.amdhsa_float_denorm_mode_32 3
		.amdhsa_float_denorm_mode_16_64 3
		.amdhsa_fp16_overflow 0
		.amdhsa_workgroup_processor_mode 1
		.amdhsa_memory_ordered 1
		.amdhsa_forward_progress 1
		.amdhsa_inst_pref_size 26
		.amdhsa_round_robin_scheduling 0
		.amdhsa_exception_fp_ieee_invalid_op 0
		.amdhsa_exception_fp_denorm_src 0
		.amdhsa_exception_fp_ieee_div_zero 0
		.amdhsa_exception_fp_ieee_overflow 0
		.amdhsa_exception_fp_ieee_underflow 0
		.amdhsa_exception_fp_ieee_inexact 0
		.amdhsa_exception_int_div_zero 0
	.end_amdhsa_kernel
	.section	.text._ZN12_GLOBAL__N_127rocblas_gemm_batched_kernelIdLi16ELi16ELi64ELi64ELi4ELi64ELi4ELi4ELi64ELc78ELc84EKPKdS3_KPdEEvlllT_PT11_llS8_llS6_PT12_llPT13_lli,"axG",@progbits,_ZN12_GLOBAL__N_127rocblas_gemm_batched_kernelIdLi16ELi16ELi64ELi64ELi4ELi64ELi4ELi4ELi64ELc78ELc84EKPKdS3_KPdEEvlllT_PT11_llS8_llS6_PT12_llPT13_lli,comdat
.Lfunc_end207:
	.size	_ZN12_GLOBAL__N_127rocblas_gemm_batched_kernelIdLi16ELi16ELi64ELi64ELi4ELi64ELi4ELi4ELi64ELc78ELc84EKPKdS3_KPdEEvlllT_PT11_llS8_llS6_PT12_llPT13_lli, .Lfunc_end207-_ZN12_GLOBAL__N_127rocblas_gemm_batched_kernelIdLi16ELi16ELi64ELi64ELi4ELi64ELi4ELi4ELi64ELc78ELc84EKPKdS3_KPdEEvlllT_PT11_llS8_llS6_PT12_llPT13_lli
                                        ; -- End function
	.set _ZN12_GLOBAL__N_127rocblas_gemm_batched_kernelIdLi16ELi16ELi64ELi64ELi4ELi64ELi4ELi4ELi64ELc78ELc84EKPKdS3_KPdEEvlllT_PT11_llS8_llS6_PT12_llPT13_lli.num_vgpr, 95
	.set _ZN12_GLOBAL__N_127rocblas_gemm_batched_kernelIdLi16ELi16ELi64ELi64ELi4ELi64ELi4ELi4ELi64ELc78ELc84EKPKdS3_KPdEEvlllT_PT11_llS8_llS6_PT12_llPT13_lli.num_agpr, 0
	.set _ZN12_GLOBAL__N_127rocblas_gemm_batched_kernelIdLi16ELi16ELi64ELi64ELi4ELi64ELi4ELi4ELi64ELc78ELc84EKPKdS3_KPdEEvlllT_PT11_llS8_llS6_PT12_llPT13_lli.numbered_sgpr, 44
	.set _ZN12_GLOBAL__N_127rocblas_gemm_batched_kernelIdLi16ELi16ELi64ELi64ELi4ELi64ELi4ELi4ELi64ELc78ELc84EKPKdS3_KPdEEvlllT_PT11_llS8_llS6_PT12_llPT13_lli.num_named_barrier, 0
	.set _ZN12_GLOBAL__N_127rocblas_gemm_batched_kernelIdLi16ELi16ELi64ELi64ELi4ELi64ELi4ELi4ELi64ELc78ELc84EKPKdS3_KPdEEvlllT_PT11_llS8_llS6_PT12_llPT13_lli.private_seg_size, 0
	.set _ZN12_GLOBAL__N_127rocblas_gemm_batched_kernelIdLi16ELi16ELi64ELi64ELi4ELi64ELi4ELi4ELi64ELc78ELc84EKPKdS3_KPdEEvlllT_PT11_llS8_llS6_PT12_llPT13_lli.uses_vcc, 1
	.set _ZN12_GLOBAL__N_127rocblas_gemm_batched_kernelIdLi16ELi16ELi64ELi64ELi4ELi64ELi4ELi4ELi64ELc78ELc84EKPKdS3_KPdEEvlllT_PT11_llS8_llS6_PT12_llPT13_lli.uses_flat_scratch, 1
	.set _ZN12_GLOBAL__N_127rocblas_gemm_batched_kernelIdLi16ELi16ELi64ELi64ELi4ELi64ELi4ELi4ELi64ELc78ELc84EKPKdS3_KPdEEvlllT_PT11_llS8_llS6_PT12_llPT13_lli.has_dyn_sized_stack, 0
	.set _ZN12_GLOBAL__N_127rocblas_gemm_batched_kernelIdLi16ELi16ELi64ELi64ELi4ELi64ELi4ELi4ELi64ELc78ELc84EKPKdS3_KPdEEvlllT_PT11_llS8_llS6_PT12_llPT13_lli.has_recursion, 0
	.set _ZN12_GLOBAL__N_127rocblas_gemm_batched_kernelIdLi16ELi16ELi64ELi64ELi4ELi64ELi4ELi4ELi64ELc78ELc84EKPKdS3_KPdEEvlllT_PT11_llS8_llS6_PT12_llPT13_lli.has_indirect_call, 0
	.section	.AMDGPU.csdata,"",@progbits
; Kernel info:
; codeLenInByte = 3324
; TotalNumSgprs: 46
; NumVgprs: 95
; ScratchSize: 0
; MemoryBound: 0
; FloatMode: 240
; IeeeMode: 1
; LDSByteSize: 4096 bytes/workgroup (compile time only)
; SGPRBlocks: 0
; VGPRBlocks: 11
; NumSGPRsForWavesPerEU: 46
; NumVGPRsForWavesPerEU: 95
; Occupancy: 16
; WaveLimiterHint : 1
; COMPUTE_PGM_RSRC2:SCRATCH_EN: 0
; COMPUTE_PGM_RSRC2:USER_SGPR: 2
; COMPUTE_PGM_RSRC2:TRAP_HANDLER: 0
; COMPUTE_PGM_RSRC2:TGID_X_EN: 1
; COMPUTE_PGM_RSRC2:TGID_Y_EN: 1
; COMPUTE_PGM_RSRC2:TGID_Z_EN: 1
; COMPUTE_PGM_RSRC2:TIDIG_COMP_CNT: 1
	.section	.text._ZN12_GLOBAL__N_127rocblas_gemm_batched_kernelIdLi16ELi16ELi64ELi64ELi4ELi64ELi4ELi4ELi64ELc84ELc84EKPKdS3_KPdEEvlllT_PT11_llS8_llS6_PT12_llPT13_lli,"axG",@progbits,_ZN12_GLOBAL__N_127rocblas_gemm_batched_kernelIdLi16ELi16ELi64ELi64ELi4ELi64ELi4ELi4ELi64ELc84ELc84EKPKdS3_KPdEEvlllT_PT11_llS8_llS6_PT12_llPT13_lli,comdat
	.globl	_ZN12_GLOBAL__N_127rocblas_gemm_batched_kernelIdLi16ELi16ELi64ELi64ELi4ELi64ELi4ELi4ELi64ELc84ELc84EKPKdS3_KPdEEvlllT_PT11_llS8_llS6_PT12_llPT13_lli ; -- Begin function _ZN12_GLOBAL__N_127rocblas_gemm_batched_kernelIdLi16ELi16ELi64ELi64ELi4ELi64ELi4ELi4ELi64ELc84ELc84EKPKdS3_KPdEEvlllT_PT11_llS8_llS6_PT12_llPT13_lli
	.p2align	8
	.type	_ZN12_GLOBAL__N_127rocblas_gemm_batched_kernelIdLi16ELi16ELi64ELi64ELi4ELi64ELi4ELi4ELi64ELc84ELc84EKPKdS3_KPdEEvlllT_PT11_llS8_llS6_PT12_llPT13_lli,@function
_ZN12_GLOBAL__N_127rocblas_gemm_batched_kernelIdLi16ELi16ELi64ELi64ELi4ELi64ELi4ELi4ELi64ELc84ELc84EKPKdS3_KPdEEvlllT_PT11_llS8_llS6_PT12_llPT13_lli: ; @_ZN12_GLOBAL__N_127rocblas_gemm_batched_kernelIdLi16ELi16ELi64ELi64ELi4ELi64ELi4ELi4ELi64ELc84ELc84EKPKdS3_KPdEEvlllT_PT11_llS8_llS6_PT12_llPT13_lli
; %bb.0:
	s_load_b32 s28, s[0:1], 0x88
	s_lshr_b32 s2, ttmp7, 16
	s_wait_kmcnt 0x0
	s_cmp_ge_i32 s2, s28
	s_cbranch_scc1 .LBB208_11
; %bb.1:
	s_clause 0x1
	s_load_b256 s[20:27], s[0:1], 0x70
	s_load_b512 s[4:19], s[0:1], 0x10
	v_dual_mov_b32 v1, 0 :: v_dual_and_b32 v8, 0x3ff, v0
	v_bfe_u32 v2, v0, 10, 10
	s_load_b256 s[36:43], s[0:1], 0x50
	s_lshl_b32 s0, ttmp7, 6
	v_and_b32_e32 v12, 3, v0
	s_wait_kmcnt 0x0
	s_and_b32 s27, s0, 0x3fffc0
	v_lshl_add_u32 v3, v2, 4, v8
	v_add_nc_u32_e32 v14, s27, v2
	v_lshl_add_u32 v51, v2, 5, 0x800
	s_mov_b32 s30, ttmp9
	s_ashr_i32 s31, ttmp9, 31
	v_lshrrev_b32_e32 v15, 6, v3
	v_lshrrev_b32_e32 v0, 2, v3
	s_lshl_b64 s[0:1], s[30:31], 6
	v_lshlrev_b32_e32 v50, 3, v8
	v_add_co_u32 v8, s29, s0, v8
	v_mad_co_u64_u32 v[4:5], null, v14, s22, 0
	v_and_b32_e32 v13, 63, v3
	v_lshlrev_b32_e32 v3, 3, v12
	v_add_co_ci_u32_e64 v9, null, s1, 0, s29
	v_cmp_eq_f64_e64 s26, s[36:37], 0
	s_lshl_b64 s[30:31], s[40:41], 4
	v_lshl_or_b32 v3, v0, 5, v3
	s_mov_b32 s3, 0
	s_delay_alu instid0(VALU_DEP_1)
	v_add_nc_u32_e32 v49, 0x800, v3
	v_mad_co_u64_u32 v[2:3], null, s16, v12, v[0:1]
	v_mov_b32_e32 v0, v5
	v_lshlrev_b32_e32 v6, 3, v13
	v_or_b32_e32 v5, s0, v13
	s_mul_i32 s0, s10, s1
	s_delay_alu instid0(VALU_DEP_3) | instskip(NEXT) | instid1(VALU_DEP_3)
	v_mad_co_u64_u32 v[10:11], null, v14, s23, v[0:1]
	v_lshl_or_b32 v48, v15, 9, v6
	v_mad_co_u64_u32 v[6:7], null, v14, s40, 0
	v_mad_co_u64_u32 v[11:12], null, s17, v12, v[3:4]
	v_add_co_u32 v2, vcc_lo, v2, s27
	s_lshl_b64 s[22:23], s[22:23], 4
	v_mov_b32_e32 v0, v7
	s_wait_alu 0xfffe
	s_lshl_b64 s[22:23], s[22:23], 3
	v_add_co_ci_u32_e64 v3, null, 0, v11, vcc_lo
	s_delay_alu instid0(VALU_DEP_2) | instskip(SKIP_2) | instid1(VALU_DEP_4)
	v_mad_co_u64_u32 v[12:13], null, v14, s41, v[0:1]
	v_mul_lo_u32 v0, s11, v5
	v_mad_co_u64_u32 v[13:14], null, s10, v5, 0
	v_lshlrev_b64_e32 v[2:3], 3, v[2:3]
	v_mov_b32_e32 v5, v10
	s_lshl_b64 s[10:11], s[16:17], 5
	v_mov_b32_e32 v7, v12
	s_lshl_b64 s[16:17], s[42:43], 3
	s_delay_alu instid0(VALU_DEP_4)
	v_add3_u32 v14, v14, s0, v0
	s_lshl_b64 s[0:1], s[18:19], 3
	v_lshlrev_b64_e32 v[4:5], 3, v[4:5]
	s_wait_alu 0xfffe
	v_add_co_u32 v0, vcc_lo, s0, v2
	v_lshlrev_b64_e32 v[10:11], 3, v[13:14]
	s_wait_alu 0xfffd
	v_add_co_ci_u32_e64 v52, null, s1, v3, vcc_lo
	s_lshl_b64 s[0:1], s[12:13], 3
	v_lshlrev_b32_e32 v2, 3, v15
	s_lshl_b64 s[12:13], s[24:25], 3
	s_wait_alu 0xfffe
	v_add_co_u32 v3, vcc_lo, v10, s0
	v_cmp_gt_i64_e64 s0, s[4:5], 0
	s_wait_alu 0xfffd
	v_add_co_ci_u32_e64 v10, null, s1, v11, vcc_lo
	s_delay_alu instid0(VALU_DEP_3)
	v_add_co_u32 v53, vcc_lo, v3, v2
	v_lshlrev_b64_e32 v[2:3], 3, v[6:7]
	s_wait_alu 0xf1ff
	v_cndmask_b32_e64 v11, 0, 1, s0
	v_lshlrev_b64_e32 v[6:7], 3, v[8:9]
	s_wait_alu 0xfffd
	v_add_co_ci_u32_e64 v54, null, 0, v10, vcc_lo
	s_lshl_b64 s[18:19], s[30:31], 3
	v_cmp_ne_u32_e64 s0, 1, v11
	s_branch .LBB208_3
.LBB208_2:                              ;   in Loop: Header=BB208_3 Depth=1
	s_add_co_i32 s2, s2, 0x10000
	s_delay_alu instid0(SALU_CYCLE_1)
	s_cmp_lt_i32 s2, s28
	s_cbranch_scc0 .LBB208_11
.LBB208_3:                              ; =>This Loop Header: Depth=1
                                        ;     Child Loop BB208_5 Depth 2
	s_lshl_b64 s[24:25], s[2:3], 3
	s_delay_alu instid0(VALU_DEP_1)
	s_and_b32 vcc_lo, exec_lo, s0
	s_wait_alu 0xfffe
	s_add_nc_u64 s[30:31], s[38:39], s[24:25]
	s_add_nc_u64 s[34:35], s[20:21], s[24:25]
	s_clause 0x1
	global_load_b64 v[16:17], v1, s[30:31]
	global_load_b64 v[42:43], v1, s[34:35]
	s_cbranch_vccnz .LBB208_8
; %bb.4:                                ;   in Loop: Header=BB208_3 Depth=1
	s_add_nc_u64 s[30:31], s[14:15], s[24:25]
	s_add_nc_u64 s[24:25], s[8:9], s[24:25]
	s_clause 0x1
	global_load_b64 v[44:45], v1, s[30:31]
	global_load_b64 v[46:47], v1, s[24:25]
	v_mov_b32_e32 v8, 0
	v_mov_b32_e32 v12, 0
	;; [unrolled: 1-line block ×7, first 2 shown]
	v_dual_mov_b32 v38, 0 :: v_dual_mov_b32 v9, 0
	v_dual_mov_b32 v10, 0 :: v_dual_mov_b32 v13, 0
	;; [unrolled: 1-line block ×9, first 2 shown]
	v_mov_b32_e32 v15, 0
	v_mov_b32_e32 v21, 0
	;; [unrolled: 1-line block ×7, first 2 shown]
	s_mov_b64 s[24:25], 0
	s_wait_loadcnt 0x1
	v_add_co_u32 v44, vcc_lo, v44, v0
	s_wait_alu 0xfffd
	v_add_co_ci_u32_e64 v45, null, v45, v52, vcc_lo
	s_wait_loadcnt 0x0
	v_add_co_u32 v46, vcc_lo, v46, v53
	s_wait_alu 0xfffd
	v_add_co_ci_u32_e64 v47, null, v47, v54, vcc_lo
.LBB208_5:                              ;   Parent Loop BB208_3 Depth=1
                                        ; =>  This Inner Loop Header: Depth=2
	flat_load_b64 v[55:56], v[46:47]
	s_wait_alu 0xfffe
	s_add_nc_u64 s[24:25], s[24:25], 4
	v_add_co_u32 v46, vcc_lo, v46, 32
	s_wait_alu 0xfffe
	v_cmp_lt_i64_e64 s1, s[24:25], s[4:5]
	s_wait_alu 0xfffd
	v_add_co_ci_u32_e64 v47, null, 0, v47, vcc_lo
	s_and_b32 vcc_lo, exec_lo, s1
	s_wait_loadcnt_dscnt 0x0
	ds_store_b64 v48, v[55:56]
	flat_load_b64 v[55:56], v[44:45]
	v_add_co_u32 v44, s1, v44, s10
	s_wait_alu 0xf1ff
	v_add_co_ci_u32_e64 v45, null, s11, v45, s1
	s_wait_loadcnt_dscnt 0x0
	ds_store_b64 v49, v[55:56]
	s_wait_dscnt 0x0
	s_barrier_signal -1
	s_barrier_wait -1
	global_inv scope:SCOPE_SE
	ds_load_b128 v[55:58], v51
	ds_load_2addr_b64 v[59:62], v50 offset1:16
	ds_load_2addr_b64 v[63:66], v50 offset0:32 offset1:48
	ds_load_b128 v[67:70], v51 offset:512
	ds_load_b128 v[71:74], v51 offset:1024
	;; [unrolled: 1-line block ×7, first 2 shown]
	s_wait_dscnt 0x8
	v_fma_f64 v[40:41], v[59:60], v[55:56], v[40:41]
	v_fma_f64 v[38:39], v[61:62], v[55:56], v[38:39]
	s_wait_dscnt 0x7
	v_fma_f64 v[36:37], v[63:64], v[55:56], v[36:37]
	v_fma_f64 v[34:35], v[65:66], v[55:56], v[34:35]
	;; [unrolled: 3-line block ×3, first 2 shown]
	v_fma_f64 v[28:29], v[63:64], v[67:68], v[28:29]
	v_fma_f64 v[26:27], v[65:66], v[67:68], v[26:27]
	s_wait_dscnt 0x5
	v_fma_f64 v[24:25], v[59:60], v[71:72], v[24:25]
	v_fma_f64 v[22:23], v[61:62], v[71:72], v[22:23]
	;; [unrolled: 1-line block ×4, first 2 shown]
	s_wait_dscnt 0x4
	v_fma_f64 v[55:56], v[59:60], v[75:76], v[14:15]
	v_fma_f64 v[59:60], v[61:62], v[75:76], v[12:13]
	;; [unrolled: 1-line block ×4, first 2 shown]
	ds_load_2addr_b64 v[8:11], v50 offset0:64 offset1:80
	ds_load_2addr_b64 v[12:15], v50 offset0:96 offset1:112
	s_wait_dscnt 0x1
	v_fma_f64 v[40:41], v[8:9], v[57:58], v[40:41]
	v_fma_f64 v[38:39], v[10:11], v[57:58], v[38:39]
	s_wait_dscnt 0x0
	v_fma_f64 v[36:37], v[12:13], v[57:58], v[36:37]
	v_fma_f64 v[34:35], v[14:15], v[57:58], v[34:35]
	;; [unrolled: 1-line block ×14, first 2 shown]
	ds_load_2addr_b64 v[8:11], v50 offset0:128 offset1:144
	ds_load_2addr_b64 v[12:15], v50 offset0:160 offset1:176
	s_wait_dscnt 0x1
	v_fma_f64 v[40:41], v[8:9], v[79:80], v[40:41]
	v_fma_f64 v[38:39], v[10:11], v[79:80], v[38:39]
	s_wait_dscnt 0x0
	v_fma_f64 v[36:37], v[12:13], v[79:80], v[36:37]
	v_fma_f64 v[34:35], v[14:15], v[79:80], v[34:35]
	;; [unrolled: 1-line block ×14, first 2 shown]
	ds_load_2addr_b64 v[8:11], v50 offset0:192 offset1:208
	ds_load_2addr_b64 v[55:58], v50 offset0:224 offset1:240
	s_wait_loadcnt_dscnt 0x0
	s_barrier_signal -1
	s_barrier_wait -1
	global_inv scope:SCOPE_SE
	v_fma_f64 v[40:41], v[8:9], v[81:82], v[40:41]
	v_fma_f64 v[38:39], v[10:11], v[81:82], v[38:39]
	;; [unrolled: 1-line block ×16, first 2 shown]
	s_wait_alu 0xfffe
	s_cbranch_vccnz .LBB208_5
; %bb.6:                                ;   in Loop: Header=BB208_3 Depth=1
	v_add_co_u32 v42, vcc_lo, v42, s12
	s_wait_alu 0xfffd
	v_add_co_ci_u32_e64 v43, null, s13, v43, vcc_lo
	s_and_not1_b32 vcc_lo, exec_lo, s26
	s_wait_alu 0xfffe
	s_cbranch_vccnz .LBB208_9
.LBB208_7:                              ;   in Loop: Header=BB208_3 Depth=1
	v_mul_f64_e32 v[44:45], s[6:7], v[40:41]
	v_mul_f64_e32 v[46:47], s[6:7], v[38:39]
	;; [unrolled: 1-line block ×16, first 2 shown]
	v_add_co_u32 v83, vcc_lo, v42, v4
	s_wait_alu 0xfffd
	v_add_co_ci_u32_e64 v84, null, v43, v5, vcc_lo
	s_delay_alu instid0(VALU_DEP_2) | instskip(SKIP_1) | instid1(VALU_DEP_2)
	v_add_co_u32 v87, vcc_lo, v83, s22
	s_wait_alu 0xfffd
	v_add_co_ci_u32_e64 v88, null, s23, v84, vcc_lo
	v_add_co_u32 v83, vcc_lo, v83, v6
	s_wait_alu 0xfffd
	v_add_co_ci_u32_e64 v84, null, v84, v7, vcc_lo
	;; [unrolled: 3-line block ×3, first 2 shown]
	s_clause 0x3
	flat_store_b64 v[83:84], v[44:45]
	flat_store_b64 v[83:84], v[46:47] offset:128
	flat_store_b64 v[83:84], v[55:56] offset:256
	;; [unrolled: 1-line block ×3, first 2 shown]
	v_add_co_u32 v44, vcc_lo, v87, s22
	s_wait_alu 0xfffd
	v_add_co_ci_u32_e64 v45, null, s23, v88, vcc_lo
	s_clause 0x3
	flat_store_b64 v[85:86], v[59:60]
	flat_store_b64 v[85:86], v[61:62] offset:128
	flat_store_b64 v[85:86], v[63:64] offset:256
	;; [unrolled: 1-line block ×3, first 2 shown]
	v_add_co_u32 v46, vcc_lo, v44, s22
	s_wait_alu 0xfffd
	v_add_co_ci_u32_e64 v47, null, s23, v45, vcc_lo
	v_add_co_u32 v44, vcc_lo, v44, v6
	s_wait_alu 0xfffd
	v_add_co_ci_u32_e64 v45, null, v45, v7, vcc_lo
	;; [unrolled: 3-line block ×3, first 2 shown]
	s_clause 0x7
	flat_store_b64 v[44:45], v[67:68]
	flat_store_b64 v[44:45], v[69:70] offset:128
	flat_store_b64 v[44:45], v[71:72] offset:256
	flat_store_b64 v[44:45], v[73:74] offset:384
	flat_store_b64 v[46:47], v[75:76]
	flat_store_b64 v[46:47], v[77:78] offset:128
	flat_store_b64 v[46:47], v[79:80] offset:256
	;; [unrolled: 1-line block ×3, first 2 shown]
	s_cbranch_execnz .LBB208_2
	s_branch .LBB208_10
.LBB208_8:                              ;   in Loop: Header=BB208_3 Depth=1
	v_mov_b32_e32 v40, 0
	v_mov_b32_e32 v36, 0
	;; [unrolled: 1-line block ×7, first 2 shown]
	v_dual_mov_b32 v10, 0 :: v_dual_mov_b32 v41, 0
	v_dual_mov_b32 v38, 0 :: v_dual_mov_b32 v37, 0
	;; [unrolled: 1-line block ×9, first 2 shown]
	v_mov_b32_e32 v35, 0
	v_mov_b32_e32 v31, 0
	;; [unrolled: 1-line block ×7, first 2 shown]
	s_wait_loadcnt 0x0
	v_add_co_u32 v42, vcc_lo, v42, s12
	s_wait_alu 0xfffd
	v_add_co_ci_u32_e64 v43, null, s13, v43, vcc_lo
	s_and_not1_b32 vcc_lo, exec_lo, s26
	s_wait_alu 0xfffe
	s_cbranch_vccz .LBB208_7
.LBB208_9:                              ;   in Loop: Header=BB208_3 Depth=1
.LBB208_10:                             ;   in Loop: Header=BB208_3 Depth=1
	v_add_co_u32 v16, vcc_lo, v16, s16
	s_wait_alu 0xfffd
	v_add_co_ci_u32_e64 v17, null, s17, v17, vcc_lo
	s_delay_alu instid0(VALU_DEP_2) | instskip(SKIP_1) | instid1(VALU_DEP_2)
	v_add_co_u32 v46, vcc_lo, v16, v2
	s_wait_alu 0xfffd
	v_add_co_ci_u32_e64 v47, null, v17, v3, vcc_lo
	s_delay_alu instid0(VALU_DEP_2) | instskip(SKIP_1) | instid1(VALU_DEP_2)
	v_add_co_u32 v16, vcc_lo, v46, v6
	s_wait_alu 0xfffd
	v_add_co_ci_u32_e64 v17, null, v47, v7, vcc_lo
	flat_load_b64 v[44:45], v[16:17]
	s_wait_loadcnt_dscnt 0x0
	v_mul_f64_e32 v[44:45], s[36:37], v[44:45]
	s_delay_alu instid0(VALU_DEP_1) | instskip(SKIP_3) | instid1(VALU_DEP_2)
	v_fma_f64 v[40:41], s[6:7], v[40:41], v[44:45]
	v_add_co_u32 v44, vcc_lo, v42, v4
	s_wait_alu 0xfffd
	v_add_co_ci_u32_e64 v45, null, v43, v5, vcc_lo
	v_add_co_u32 v42, vcc_lo, v44, v6
	s_wait_alu 0xfffd
	s_delay_alu instid0(VALU_DEP_2) | instskip(SKIP_4) | instid1(VALU_DEP_1)
	v_add_co_ci_u32_e64 v43, null, v45, v7, vcc_lo
	flat_store_b64 v[42:43], v[40:41]
	flat_load_b64 v[40:41], v[16:17] offset:128
	s_wait_loadcnt_dscnt 0x0
	v_mul_f64_e32 v[40:41], s[36:37], v[40:41]
	v_fma_f64 v[38:39], s[6:7], v[38:39], v[40:41]
	flat_store_b64 v[42:43], v[38:39] offset:128
	flat_load_b64 v[38:39], v[16:17] offset:256
	s_wait_loadcnt_dscnt 0x0
	v_mul_f64_e32 v[38:39], s[36:37], v[38:39]
	s_delay_alu instid0(VALU_DEP_1)
	v_fma_f64 v[36:37], s[6:7], v[36:37], v[38:39]
	flat_store_b64 v[42:43], v[36:37] offset:256
	flat_load_b64 v[16:17], v[16:17] offset:384
	v_add_co_u32 v36, vcc_lo, v46, s18
	s_wait_alu 0xfffd
	v_add_co_ci_u32_e64 v37, null, s19, v47, vcc_lo
	s_wait_loadcnt_dscnt 0x0
	v_mul_f64_e32 v[16:17], s[36:37], v[16:17]
	s_delay_alu instid0(VALU_DEP_1)
	v_fma_f64 v[16:17], s[6:7], v[34:35], v[16:17]
	v_add_co_u32 v34, vcc_lo, v36, v6
	s_wait_alu 0xfffd
	v_add_co_ci_u32_e64 v35, null, v37, v7, vcc_lo
	v_add_co_u32 v38, vcc_lo, v44, s22
	s_wait_alu 0xfffd
	v_add_co_ci_u32_e64 v39, null, s23, v45, vcc_lo
	flat_store_b64 v[42:43], v[16:17] offset:384
	flat_load_b64 v[16:17], v[34:35]
	s_wait_loadcnt_dscnt 0x0
	v_mul_f64_e32 v[16:17], s[36:37], v[16:17]
	s_delay_alu instid0(VALU_DEP_1)
	v_fma_f64 v[16:17], s[6:7], v[32:33], v[16:17]
	v_add_co_u32 v32, vcc_lo, v38, v6
	s_wait_alu 0xfffd
	v_add_co_ci_u32_e64 v33, null, v39, v7, vcc_lo
	flat_store_b64 v[32:33], v[16:17]
	flat_load_b64 v[16:17], v[34:35] offset:128
	s_wait_loadcnt_dscnt 0x0
	v_mul_f64_e32 v[16:17], s[36:37], v[16:17]
	s_delay_alu instid0(VALU_DEP_1) | instskip(SKIP_4) | instid1(VALU_DEP_1)
	v_fma_f64 v[16:17], s[6:7], v[30:31], v[16:17]
	flat_store_b64 v[32:33], v[16:17] offset:128
	flat_load_b64 v[16:17], v[34:35] offset:256
	s_wait_loadcnt_dscnt 0x0
	v_mul_f64_e32 v[16:17], s[36:37], v[16:17]
	v_fma_f64 v[16:17], s[6:7], v[28:29], v[16:17]
	v_add_co_u32 v28, vcc_lo, v36, s18
	s_wait_alu 0xfffd
	v_add_co_ci_u32_e64 v29, null, s19, v37, vcc_lo
	flat_store_b64 v[32:33], v[16:17] offset:256
	flat_load_b64 v[16:17], v[34:35] offset:384
	s_wait_loadcnt_dscnt 0x0
	v_mul_f64_e32 v[16:17], s[36:37], v[16:17]
	s_delay_alu instid0(VALU_DEP_1)
	v_fma_f64 v[16:17], s[6:7], v[26:27], v[16:17]
	v_add_co_u32 v26, vcc_lo, v28, v6
	s_wait_alu 0xfffd
	v_add_co_ci_u32_e64 v27, null, v29, v7, vcc_lo
	v_add_co_u32 v30, vcc_lo, v38, s22
	s_wait_alu 0xfffd
	v_add_co_ci_u32_e64 v31, null, s23, v39, vcc_lo
	flat_store_b64 v[32:33], v[16:17] offset:384
	flat_load_b64 v[16:17], v[26:27]
	s_wait_loadcnt_dscnt 0x0
	v_mul_f64_e32 v[16:17], s[36:37], v[16:17]
	s_delay_alu instid0(VALU_DEP_1)
	v_fma_f64 v[16:17], s[6:7], v[24:25], v[16:17]
	v_add_co_u32 v24, vcc_lo, v30, v6
	s_wait_alu 0xfffd
	v_add_co_ci_u32_e64 v25, null, v31, v7, vcc_lo
	flat_store_b64 v[24:25], v[16:17]
	flat_load_b64 v[16:17], v[26:27] offset:128
	s_wait_loadcnt_dscnt 0x0
	v_mul_f64_e32 v[16:17], s[36:37], v[16:17]
	s_delay_alu instid0(VALU_DEP_1) | instskip(SKIP_4) | instid1(VALU_DEP_1)
	v_fma_f64 v[16:17], s[6:7], v[22:23], v[16:17]
	flat_store_b64 v[24:25], v[16:17] offset:128
	flat_load_b64 v[16:17], v[26:27] offset:256
	s_wait_loadcnt_dscnt 0x0
	v_mul_f64_e32 v[16:17], s[36:37], v[16:17]
	v_fma_f64 v[16:17], s[6:7], v[20:21], v[16:17]
	flat_store_b64 v[24:25], v[16:17] offset:256
	flat_load_b64 v[16:17], v[26:27] offset:384
	s_wait_loadcnt_dscnt 0x0
	v_mul_f64_e32 v[16:17], s[36:37], v[16:17]
	s_delay_alu instid0(VALU_DEP_1) | instskip(SKIP_3) | instid1(VALU_DEP_2)
	v_fma_f64 v[16:17], s[6:7], v[18:19], v[16:17]
	v_add_co_u32 v18, vcc_lo, v28, s18
	s_wait_alu 0xfffd
	v_add_co_ci_u32_e64 v19, null, s19, v29, vcc_lo
	v_add_co_u32 v18, vcc_lo, v18, v6
	s_wait_alu 0xfffd
	s_delay_alu instid0(VALU_DEP_2) | instskip(SKIP_4) | instid1(VALU_DEP_1)
	v_add_co_ci_u32_e64 v19, null, v19, v7, vcc_lo
	flat_store_b64 v[24:25], v[16:17] offset:384
	flat_load_b64 v[16:17], v[18:19]
	s_wait_loadcnt_dscnt 0x0
	v_mul_f64_e32 v[16:17], s[36:37], v[16:17]
	v_fma_f64 v[14:15], s[6:7], v[14:15], v[16:17]
	v_add_co_u32 v16, vcc_lo, v30, s22
	s_wait_alu 0xfffd
	v_add_co_ci_u32_e64 v17, null, s23, v31, vcc_lo
	s_delay_alu instid0(VALU_DEP_2) | instskip(SKIP_1) | instid1(VALU_DEP_2)
	v_add_co_u32 v16, vcc_lo, v16, v6
	s_wait_alu 0xfffd
	v_add_co_ci_u32_e64 v17, null, v17, v7, vcc_lo
	flat_store_b64 v[16:17], v[14:15]
	flat_load_b64 v[14:15], v[18:19] offset:128
	s_wait_loadcnt_dscnt 0x0
	v_mul_f64_e32 v[14:15], s[36:37], v[14:15]
	s_delay_alu instid0(VALU_DEP_1) | instskip(SKIP_4) | instid1(VALU_DEP_1)
	v_fma_f64 v[12:13], s[6:7], v[12:13], v[14:15]
	flat_store_b64 v[16:17], v[12:13] offset:128
	flat_load_b64 v[12:13], v[18:19] offset:256
	s_wait_loadcnt_dscnt 0x0
	v_mul_f64_e32 v[12:13], s[36:37], v[12:13]
	v_fma_f64 v[10:11], s[6:7], v[10:11], v[12:13]
	flat_store_b64 v[16:17], v[10:11] offset:256
	flat_load_b64 v[10:11], v[18:19] offset:384
	s_wait_loadcnt_dscnt 0x0
	v_mul_f64_e32 v[10:11], s[36:37], v[10:11]
	s_delay_alu instid0(VALU_DEP_1)
	v_fma_f64 v[8:9], s[6:7], v[8:9], v[10:11]
	flat_store_b64 v[16:17], v[8:9] offset:384
	s_branch .LBB208_2
.LBB208_11:
	s_endpgm
	.section	.rodata,"a",@progbits
	.p2align	6, 0x0
	.amdhsa_kernel _ZN12_GLOBAL__N_127rocblas_gemm_batched_kernelIdLi16ELi16ELi64ELi64ELi4ELi64ELi4ELi4ELi64ELc84ELc84EKPKdS3_KPdEEvlllT_PT11_llS8_llS6_PT12_llPT13_lli
		.amdhsa_group_segment_fixed_size 4096
		.amdhsa_private_segment_fixed_size 0
		.amdhsa_kernarg_size 140
		.amdhsa_user_sgpr_count 2
		.amdhsa_user_sgpr_dispatch_ptr 0
		.amdhsa_user_sgpr_queue_ptr 0
		.amdhsa_user_sgpr_kernarg_segment_ptr 1
		.amdhsa_user_sgpr_dispatch_id 0
		.amdhsa_user_sgpr_private_segment_size 0
		.amdhsa_wavefront_size32 1
		.amdhsa_uses_dynamic_stack 0
		.amdhsa_enable_private_segment 0
		.amdhsa_system_sgpr_workgroup_id_x 1
		.amdhsa_system_sgpr_workgroup_id_y 1
		.amdhsa_system_sgpr_workgroup_id_z 1
		.amdhsa_system_sgpr_workgroup_info 0
		.amdhsa_system_vgpr_workitem_id 1
		.amdhsa_next_free_vgpr 95
		.amdhsa_next_free_sgpr 44
		.amdhsa_reserve_vcc 1
		.amdhsa_float_round_mode_32 0
		.amdhsa_float_round_mode_16_64 0
		.amdhsa_float_denorm_mode_32 3
		.amdhsa_float_denorm_mode_16_64 3
		.amdhsa_fp16_overflow 0
		.amdhsa_workgroup_processor_mode 1
		.amdhsa_memory_ordered 1
		.amdhsa_forward_progress 1
		.amdhsa_inst_pref_size 26
		.amdhsa_round_robin_scheduling 0
		.amdhsa_exception_fp_ieee_invalid_op 0
		.amdhsa_exception_fp_denorm_src 0
		.amdhsa_exception_fp_ieee_div_zero 0
		.amdhsa_exception_fp_ieee_overflow 0
		.amdhsa_exception_fp_ieee_underflow 0
		.amdhsa_exception_fp_ieee_inexact 0
		.amdhsa_exception_int_div_zero 0
	.end_amdhsa_kernel
	.section	.text._ZN12_GLOBAL__N_127rocblas_gemm_batched_kernelIdLi16ELi16ELi64ELi64ELi4ELi64ELi4ELi4ELi64ELc84ELc84EKPKdS3_KPdEEvlllT_PT11_llS8_llS6_PT12_llPT13_lli,"axG",@progbits,_ZN12_GLOBAL__N_127rocblas_gemm_batched_kernelIdLi16ELi16ELi64ELi64ELi4ELi64ELi4ELi4ELi64ELc84ELc84EKPKdS3_KPdEEvlllT_PT11_llS8_llS6_PT12_llPT13_lli,comdat
.Lfunc_end208:
	.size	_ZN12_GLOBAL__N_127rocblas_gemm_batched_kernelIdLi16ELi16ELi64ELi64ELi4ELi64ELi4ELi4ELi64ELc84ELc84EKPKdS3_KPdEEvlllT_PT11_llS8_llS6_PT12_llPT13_lli, .Lfunc_end208-_ZN12_GLOBAL__N_127rocblas_gemm_batched_kernelIdLi16ELi16ELi64ELi64ELi4ELi64ELi4ELi4ELi64ELc84ELc84EKPKdS3_KPdEEvlllT_PT11_llS8_llS6_PT12_llPT13_lli
                                        ; -- End function
	.set _ZN12_GLOBAL__N_127rocblas_gemm_batched_kernelIdLi16ELi16ELi64ELi64ELi4ELi64ELi4ELi4ELi64ELc84ELc84EKPKdS3_KPdEEvlllT_PT11_llS8_llS6_PT12_llPT13_lli.num_vgpr, 95
	.set _ZN12_GLOBAL__N_127rocblas_gemm_batched_kernelIdLi16ELi16ELi64ELi64ELi4ELi64ELi4ELi4ELi64ELc84ELc84EKPKdS3_KPdEEvlllT_PT11_llS8_llS6_PT12_llPT13_lli.num_agpr, 0
	.set _ZN12_GLOBAL__N_127rocblas_gemm_batched_kernelIdLi16ELi16ELi64ELi64ELi4ELi64ELi4ELi4ELi64ELc84ELc84EKPKdS3_KPdEEvlllT_PT11_llS8_llS6_PT12_llPT13_lli.numbered_sgpr, 44
	.set _ZN12_GLOBAL__N_127rocblas_gemm_batched_kernelIdLi16ELi16ELi64ELi64ELi4ELi64ELi4ELi4ELi64ELc84ELc84EKPKdS3_KPdEEvlllT_PT11_llS8_llS6_PT12_llPT13_lli.num_named_barrier, 0
	.set _ZN12_GLOBAL__N_127rocblas_gemm_batched_kernelIdLi16ELi16ELi64ELi64ELi4ELi64ELi4ELi4ELi64ELc84ELc84EKPKdS3_KPdEEvlllT_PT11_llS8_llS6_PT12_llPT13_lli.private_seg_size, 0
	.set _ZN12_GLOBAL__N_127rocblas_gemm_batched_kernelIdLi16ELi16ELi64ELi64ELi4ELi64ELi4ELi4ELi64ELc84ELc84EKPKdS3_KPdEEvlllT_PT11_llS8_llS6_PT12_llPT13_lli.uses_vcc, 1
	.set _ZN12_GLOBAL__N_127rocblas_gemm_batched_kernelIdLi16ELi16ELi64ELi64ELi4ELi64ELi4ELi4ELi64ELc84ELc84EKPKdS3_KPdEEvlllT_PT11_llS8_llS6_PT12_llPT13_lli.uses_flat_scratch, 1
	.set _ZN12_GLOBAL__N_127rocblas_gemm_batched_kernelIdLi16ELi16ELi64ELi64ELi4ELi64ELi4ELi4ELi64ELc84ELc84EKPKdS3_KPdEEvlllT_PT11_llS8_llS6_PT12_llPT13_lli.has_dyn_sized_stack, 0
	.set _ZN12_GLOBAL__N_127rocblas_gemm_batched_kernelIdLi16ELi16ELi64ELi64ELi4ELi64ELi4ELi4ELi64ELc84ELc84EKPKdS3_KPdEEvlllT_PT11_llS8_llS6_PT12_llPT13_lli.has_recursion, 0
	.set _ZN12_GLOBAL__N_127rocblas_gemm_batched_kernelIdLi16ELi16ELi64ELi64ELi4ELi64ELi4ELi4ELi64ELc84ELc84EKPKdS3_KPdEEvlllT_PT11_llS8_llS6_PT12_llPT13_lli.has_indirect_call, 0
	.section	.AMDGPU.csdata,"",@progbits
; Kernel info:
; codeLenInByte = 3324
; TotalNumSgprs: 46
; NumVgprs: 95
; ScratchSize: 0
; MemoryBound: 0
; FloatMode: 240
; IeeeMode: 1
; LDSByteSize: 4096 bytes/workgroup (compile time only)
; SGPRBlocks: 0
; VGPRBlocks: 11
; NumSGPRsForWavesPerEU: 46
; NumVGPRsForWavesPerEU: 95
; Occupancy: 16
; WaveLimiterHint : 1
; COMPUTE_PGM_RSRC2:SCRATCH_EN: 0
; COMPUTE_PGM_RSRC2:USER_SGPR: 2
; COMPUTE_PGM_RSRC2:TRAP_HANDLER: 0
; COMPUTE_PGM_RSRC2:TGID_X_EN: 1
; COMPUTE_PGM_RSRC2:TGID_Y_EN: 1
; COMPUTE_PGM_RSRC2:TGID_Z_EN: 1
; COMPUTE_PGM_RSRC2:TIDIG_COMP_CNT: 1
	.section	.text._ZN12_GLOBAL__N_127rocblas_gemm_batched_kernelIdLi16ELi16ELi64ELi64ELi4ELi64ELi4ELi4ELi64ELc67ELc67EKPKdS3_KPdEEvlllT_PT11_llS8_llS6_PT12_llPT13_lli,"axG",@progbits,_ZN12_GLOBAL__N_127rocblas_gemm_batched_kernelIdLi16ELi16ELi64ELi64ELi4ELi64ELi4ELi4ELi64ELc67ELc67EKPKdS3_KPdEEvlllT_PT11_llS8_llS6_PT12_llPT13_lli,comdat
	.globl	_ZN12_GLOBAL__N_127rocblas_gemm_batched_kernelIdLi16ELi16ELi64ELi64ELi4ELi64ELi4ELi4ELi64ELc67ELc67EKPKdS3_KPdEEvlllT_PT11_llS8_llS6_PT12_llPT13_lli ; -- Begin function _ZN12_GLOBAL__N_127rocblas_gemm_batched_kernelIdLi16ELi16ELi64ELi64ELi4ELi64ELi4ELi4ELi64ELc67ELc67EKPKdS3_KPdEEvlllT_PT11_llS8_llS6_PT12_llPT13_lli
	.p2align	8
	.type	_ZN12_GLOBAL__N_127rocblas_gemm_batched_kernelIdLi16ELi16ELi64ELi64ELi4ELi64ELi4ELi4ELi64ELc67ELc67EKPKdS3_KPdEEvlllT_PT11_llS8_llS6_PT12_llPT13_lli,@function
_ZN12_GLOBAL__N_127rocblas_gemm_batched_kernelIdLi16ELi16ELi64ELi64ELi4ELi64ELi4ELi4ELi64ELc67ELc67EKPKdS3_KPdEEvlllT_PT11_llS8_llS6_PT12_llPT13_lli: ; @_ZN12_GLOBAL__N_127rocblas_gemm_batched_kernelIdLi16ELi16ELi64ELi64ELi4ELi64ELi4ELi4ELi64ELc67ELc67EKPKdS3_KPdEEvlllT_PT11_llS8_llS6_PT12_llPT13_lli
; %bb.0:
	s_load_b32 s28, s[0:1], 0x88
	s_lshr_b32 s2, ttmp7, 16
	s_wait_kmcnt 0x0
	s_cmp_ge_i32 s2, s28
	s_cbranch_scc1 .LBB209_11
; %bb.1:
	s_clause 0x1
	s_load_b256 s[20:27], s[0:1], 0x70
	s_load_b512 s[4:19], s[0:1], 0x10
	v_dual_mov_b32 v1, 0 :: v_dual_and_b32 v8, 0x3ff, v0
	v_bfe_u32 v2, v0, 10, 10
	s_load_b256 s[36:43], s[0:1], 0x50
	s_lshl_b32 s0, ttmp7, 6
	v_and_b32_e32 v12, 3, v0
	s_wait_kmcnt 0x0
	s_and_b32 s27, s0, 0x3fffc0
	v_lshl_add_u32 v3, v2, 4, v8
	v_add_nc_u32_e32 v14, s27, v2
	v_lshl_add_u32 v51, v2, 5, 0x800
	s_mov_b32 s30, ttmp9
	s_ashr_i32 s31, ttmp9, 31
	v_lshrrev_b32_e32 v15, 6, v3
	v_lshrrev_b32_e32 v0, 2, v3
	s_lshl_b64 s[0:1], s[30:31], 6
	v_lshlrev_b32_e32 v50, 3, v8
	v_add_co_u32 v8, s29, s0, v8
	v_mad_co_u64_u32 v[4:5], null, v14, s22, 0
	v_and_b32_e32 v13, 63, v3
	v_lshlrev_b32_e32 v3, 3, v12
	v_add_co_ci_u32_e64 v9, null, s1, 0, s29
	v_cmp_eq_f64_e64 s26, s[36:37], 0
	s_lshl_b64 s[30:31], s[40:41], 4
	v_lshl_or_b32 v3, v0, 5, v3
	s_mov_b32 s3, 0
	s_delay_alu instid0(VALU_DEP_1)
	v_add_nc_u32_e32 v49, 0x800, v3
	v_mad_co_u64_u32 v[2:3], null, s16, v12, v[0:1]
	v_mov_b32_e32 v0, v5
	v_lshlrev_b32_e32 v6, 3, v13
	v_or_b32_e32 v5, s0, v13
	s_mul_i32 s0, s10, s1
	s_delay_alu instid0(VALU_DEP_3) | instskip(NEXT) | instid1(VALU_DEP_3)
	v_mad_co_u64_u32 v[10:11], null, v14, s23, v[0:1]
	v_lshl_or_b32 v48, v15, 9, v6
	v_mad_co_u64_u32 v[6:7], null, v14, s40, 0
	v_mad_co_u64_u32 v[11:12], null, s17, v12, v[3:4]
	v_add_co_u32 v2, vcc_lo, v2, s27
	s_lshl_b64 s[22:23], s[22:23], 4
	v_mov_b32_e32 v0, v7
	s_wait_alu 0xfffe
	s_lshl_b64 s[22:23], s[22:23], 3
	v_add_co_ci_u32_e64 v3, null, 0, v11, vcc_lo
	s_delay_alu instid0(VALU_DEP_2) | instskip(SKIP_2) | instid1(VALU_DEP_4)
	v_mad_co_u64_u32 v[12:13], null, v14, s41, v[0:1]
	v_mul_lo_u32 v0, s11, v5
	v_mad_co_u64_u32 v[13:14], null, s10, v5, 0
	v_lshlrev_b64_e32 v[2:3], 3, v[2:3]
	v_mov_b32_e32 v5, v10
	s_lshl_b64 s[10:11], s[16:17], 5
	v_mov_b32_e32 v7, v12
	s_lshl_b64 s[16:17], s[42:43], 3
	s_delay_alu instid0(VALU_DEP_4)
	v_add3_u32 v14, v14, s0, v0
	s_lshl_b64 s[0:1], s[18:19], 3
	v_lshlrev_b64_e32 v[4:5], 3, v[4:5]
	s_wait_alu 0xfffe
	v_add_co_u32 v0, vcc_lo, s0, v2
	v_lshlrev_b64_e32 v[10:11], 3, v[13:14]
	s_wait_alu 0xfffd
	v_add_co_ci_u32_e64 v52, null, s1, v3, vcc_lo
	s_lshl_b64 s[0:1], s[12:13], 3
	v_lshlrev_b32_e32 v2, 3, v15
	s_lshl_b64 s[12:13], s[24:25], 3
	s_wait_alu 0xfffe
	v_add_co_u32 v3, vcc_lo, v10, s0
	v_cmp_gt_i64_e64 s0, s[4:5], 0
	s_wait_alu 0xfffd
	v_add_co_ci_u32_e64 v10, null, s1, v11, vcc_lo
	s_delay_alu instid0(VALU_DEP_3)
	v_add_co_u32 v53, vcc_lo, v3, v2
	v_lshlrev_b64_e32 v[2:3], 3, v[6:7]
	s_wait_alu 0xf1ff
	v_cndmask_b32_e64 v11, 0, 1, s0
	v_lshlrev_b64_e32 v[6:7], 3, v[8:9]
	s_wait_alu 0xfffd
	v_add_co_ci_u32_e64 v54, null, 0, v10, vcc_lo
	s_lshl_b64 s[18:19], s[30:31], 3
	v_cmp_ne_u32_e64 s0, 1, v11
	s_branch .LBB209_3
.LBB209_2:                              ;   in Loop: Header=BB209_3 Depth=1
	s_add_co_i32 s2, s2, 0x10000
	s_delay_alu instid0(SALU_CYCLE_1)
	s_cmp_lt_i32 s2, s28
	s_cbranch_scc0 .LBB209_11
.LBB209_3:                              ; =>This Loop Header: Depth=1
                                        ;     Child Loop BB209_5 Depth 2
	s_lshl_b64 s[24:25], s[2:3], 3
	s_delay_alu instid0(VALU_DEP_1)
	s_and_b32 vcc_lo, exec_lo, s0
	s_wait_alu 0xfffe
	s_add_nc_u64 s[30:31], s[38:39], s[24:25]
	s_add_nc_u64 s[34:35], s[20:21], s[24:25]
	s_clause 0x1
	global_load_b64 v[16:17], v1, s[30:31]
	global_load_b64 v[42:43], v1, s[34:35]
	s_cbranch_vccnz .LBB209_8
; %bb.4:                                ;   in Loop: Header=BB209_3 Depth=1
	s_add_nc_u64 s[30:31], s[14:15], s[24:25]
	s_add_nc_u64 s[24:25], s[8:9], s[24:25]
	s_clause 0x1
	global_load_b64 v[44:45], v1, s[30:31]
	global_load_b64 v[46:47], v1, s[24:25]
	v_mov_b32_e32 v8, 0
	v_mov_b32_e32 v12, 0
	;; [unrolled: 1-line block ×7, first 2 shown]
	v_dual_mov_b32 v38, 0 :: v_dual_mov_b32 v9, 0
	v_dual_mov_b32 v10, 0 :: v_dual_mov_b32 v13, 0
	;; [unrolled: 1-line block ×9, first 2 shown]
	v_mov_b32_e32 v15, 0
	v_mov_b32_e32 v21, 0
	;; [unrolled: 1-line block ×7, first 2 shown]
	s_mov_b64 s[24:25], 0
	s_wait_loadcnt 0x1
	v_add_co_u32 v44, vcc_lo, v44, v0
	s_wait_alu 0xfffd
	v_add_co_ci_u32_e64 v45, null, v45, v52, vcc_lo
	s_wait_loadcnt 0x0
	v_add_co_u32 v46, vcc_lo, v46, v53
	s_wait_alu 0xfffd
	v_add_co_ci_u32_e64 v47, null, v47, v54, vcc_lo
.LBB209_5:                              ;   Parent Loop BB209_3 Depth=1
                                        ; =>  This Inner Loop Header: Depth=2
	flat_load_b64 v[55:56], v[46:47]
	s_wait_alu 0xfffe
	s_add_nc_u64 s[24:25], s[24:25], 4
	v_add_co_u32 v46, vcc_lo, v46, 32
	s_wait_alu 0xfffe
	v_cmp_lt_i64_e64 s1, s[24:25], s[4:5]
	s_wait_alu 0xfffd
	v_add_co_ci_u32_e64 v47, null, 0, v47, vcc_lo
	s_and_b32 vcc_lo, exec_lo, s1
	s_wait_loadcnt_dscnt 0x0
	ds_store_b64 v48, v[55:56]
	flat_load_b64 v[55:56], v[44:45]
	v_add_co_u32 v44, s1, v44, s10
	s_wait_alu 0xf1ff
	v_add_co_ci_u32_e64 v45, null, s11, v45, s1
	s_wait_loadcnt_dscnt 0x0
	ds_store_b64 v49, v[55:56]
	s_wait_dscnt 0x0
	s_barrier_signal -1
	s_barrier_wait -1
	global_inv scope:SCOPE_SE
	ds_load_b128 v[55:58], v51
	ds_load_2addr_b64 v[59:62], v50 offset1:16
	ds_load_2addr_b64 v[63:66], v50 offset0:32 offset1:48
	ds_load_b128 v[67:70], v51 offset:512
	ds_load_b128 v[71:74], v51 offset:1024
	;; [unrolled: 1-line block ×7, first 2 shown]
	s_wait_dscnt 0x8
	v_fma_f64 v[40:41], v[59:60], v[55:56], v[40:41]
	v_fma_f64 v[38:39], v[61:62], v[55:56], v[38:39]
	s_wait_dscnt 0x7
	v_fma_f64 v[36:37], v[63:64], v[55:56], v[36:37]
	v_fma_f64 v[34:35], v[65:66], v[55:56], v[34:35]
	;; [unrolled: 3-line block ×3, first 2 shown]
	v_fma_f64 v[28:29], v[63:64], v[67:68], v[28:29]
	v_fma_f64 v[26:27], v[65:66], v[67:68], v[26:27]
	s_wait_dscnt 0x5
	v_fma_f64 v[24:25], v[59:60], v[71:72], v[24:25]
	v_fma_f64 v[22:23], v[61:62], v[71:72], v[22:23]
	;; [unrolled: 1-line block ×4, first 2 shown]
	s_wait_dscnt 0x4
	v_fma_f64 v[55:56], v[59:60], v[75:76], v[14:15]
	v_fma_f64 v[59:60], v[61:62], v[75:76], v[12:13]
	;; [unrolled: 1-line block ×4, first 2 shown]
	ds_load_2addr_b64 v[8:11], v50 offset0:64 offset1:80
	ds_load_2addr_b64 v[12:15], v50 offset0:96 offset1:112
	s_wait_dscnt 0x1
	v_fma_f64 v[40:41], v[8:9], v[57:58], v[40:41]
	v_fma_f64 v[38:39], v[10:11], v[57:58], v[38:39]
	s_wait_dscnt 0x0
	v_fma_f64 v[36:37], v[12:13], v[57:58], v[36:37]
	v_fma_f64 v[34:35], v[14:15], v[57:58], v[34:35]
	;; [unrolled: 1-line block ×14, first 2 shown]
	ds_load_2addr_b64 v[8:11], v50 offset0:128 offset1:144
	ds_load_2addr_b64 v[12:15], v50 offset0:160 offset1:176
	s_wait_dscnt 0x1
	v_fma_f64 v[40:41], v[8:9], v[79:80], v[40:41]
	v_fma_f64 v[38:39], v[10:11], v[79:80], v[38:39]
	s_wait_dscnt 0x0
	v_fma_f64 v[36:37], v[12:13], v[79:80], v[36:37]
	v_fma_f64 v[34:35], v[14:15], v[79:80], v[34:35]
	;; [unrolled: 1-line block ×14, first 2 shown]
	ds_load_2addr_b64 v[8:11], v50 offset0:192 offset1:208
	ds_load_2addr_b64 v[55:58], v50 offset0:224 offset1:240
	s_wait_loadcnt_dscnt 0x0
	s_barrier_signal -1
	s_barrier_wait -1
	global_inv scope:SCOPE_SE
	v_fma_f64 v[40:41], v[8:9], v[81:82], v[40:41]
	v_fma_f64 v[38:39], v[10:11], v[81:82], v[38:39]
	;; [unrolled: 1-line block ×16, first 2 shown]
	s_wait_alu 0xfffe
	s_cbranch_vccnz .LBB209_5
; %bb.6:                                ;   in Loop: Header=BB209_3 Depth=1
	v_add_co_u32 v42, vcc_lo, v42, s12
	s_wait_alu 0xfffd
	v_add_co_ci_u32_e64 v43, null, s13, v43, vcc_lo
	s_and_not1_b32 vcc_lo, exec_lo, s26
	s_wait_alu 0xfffe
	s_cbranch_vccnz .LBB209_9
.LBB209_7:                              ;   in Loop: Header=BB209_3 Depth=1
	v_mul_f64_e32 v[44:45], s[6:7], v[40:41]
	v_mul_f64_e32 v[46:47], s[6:7], v[38:39]
	;; [unrolled: 1-line block ×16, first 2 shown]
	v_add_co_u32 v83, vcc_lo, v42, v4
	s_wait_alu 0xfffd
	v_add_co_ci_u32_e64 v84, null, v43, v5, vcc_lo
	s_delay_alu instid0(VALU_DEP_2) | instskip(SKIP_1) | instid1(VALU_DEP_2)
	v_add_co_u32 v87, vcc_lo, v83, s22
	s_wait_alu 0xfffd
	v_add_co_ci_u32_e64 v88, null, s23, v84, vcc_lo
	v_add_co_u32 v83, vcc_lo, v83, v6
	s_wait_alu 0xfffd
	v_add_co_ci_u32_e64 v84, null, v84, v7, vcc_lo
	;; [unrolled: 3-line block ×3, first 2 shown]
	s_clause 0x3
	flat_store_b64 v[83:84], v[44:45]
	flat_store_b64 v[83:84], v[46:47] offset:128
	flat_store_b64 v[83:84], v[55:56] offset:256
	;; [unrolled: 1-line block ×3, first 2 shown]
	v_add_co_u32 v44, vcc_lo, v87, s22
	s_wait_alu 0xfffd
	v_add_co_ci_u32_e64 v45, null, s23, v88, vcc_lo
	s_clause 0x3
	flat_store_b64 v[85:86], v[59:60]
	flat_store_b64 v[85:86], v[61:62] offset:128
	flat_store_b64 v[85:86], v[63:64] offset:256
	;; [unrolled: 1-line block ×3, first 2 shown]
	v_add_co_u32 v46, vcc_lo, v44, s22
	s_wait_alu 0xfffd
	v_add_co_ci_u32_e64 v47, null, s23, v45, vcc_lo
	v_add_co_u32 v44, vcc_lo, v44, v6
	s_wait_alu 0xfffd
	v_add_co_ci_u32_e64 v45, null, v45, v7, vcc_lo
	;; [unrolled: 3-line block ×3, first 2 shown]
	s_clause 0x7
	flat_store_b64 v[44:45], v[67:68]
	flat_store_b64 v[44:45], v[69:70] offset:128
	flat_store_b64 v[44:45], v[71:72] offset:256
	;; [unrolled: 1-line block ×3, first 2 shown]
	flat_store_b64 v[46:47], v[75:76]
	flat_store_b64 v[46:47], v[77:78] offset:128
	flat_store_b64 v[46:47], v[79:80] offset:256
	;; [unrolled: 1-line block ×3, first 2 shown]
	s_cbranch_execnz .LBB209_2
	s_branch .LBB209_10
.LBB209_8:                              ;   in Loop: Header=BB209_3 Depth=1
	v_mov_b32_e32 v40, 0
	v_mov_b32_e32 v36, 0
	;; [unrolled: 1-line block ×7, first 2 shown]
	v_dual_mov_b32 v10, 0 :: v_dual_mov_b32 v41, 0
	v_dual_mov_b32 v38, 0 :: v_dual_mov_b32 v37, 0
	;; [unrolled: 1-line block ×9, first 2 shown]
	v_mov_b32_e32 v35, 0
	v_mov_b32_e32 v31, 0
	;; [unrolled: 1-line block ×7, first 2 shown]
	s_wait_loadcnt 0x0
	v_add_co_u32 v42, vcc_lo, v42, s12
	s_wait_alu 0xfffd
	v_add_co_ci_u32_e64 v43, null, s13, v43, vcc_lo
	s_and_not1_b32 vcc_lo, exec_lo, s26
	s_wait_alu 0xfffe
	s_cbranch_vccz .LBB209_7
.LBB209_9:                              ;   in Loop: Header=BB209_3 Depth=1
.LBB209_10:                             ;   in Loop: Header=BB209_3 Depth=1
	v_add_co_u32 v16, vcc_lo, v16, s16
	s_wait_alu 0xfffd
	v_add_co_ci_u32_e64 v17, null, s17, v17, vcc_lo
	s_delay_alu instid0(VALU_DEP_2) | instskip(SKIP_1) | instid1(VALU_DEP_2)
	v_add_co_u32 v46, vcc_lo, v16, v2
	s_wait_alu 0xfffd
	v_add_co_ci_u32_e64 v47, null, v17, v3, vcc_lo
	s_delay_alu instid0(VALU_DEP_2) | instskip(SKIP_1) | instid1(VALU_DEP_2)
	v_add_co_u32 v16, vcc_lo, v46, v6
	s_wait_alu 0xfffd
	v_add_co_ci_u32_e64 v17, null, v47, v7, vcc_lo
	flat_load_b64 v[44:45], v[16:17]
	s_wait_loadcnt_dscnt 0x0
	v_mul_f64_e32 v[44:45], s[36:37], v[44:45]
	s_delay_alu instid0(VALU_DEP_1) | instskip(SKIP_3) | instid1(VALU_DEP_2)
	v_fma_f64 v[40:41], s[6:7], v[40:41], v[44:45]
	v_add_co_u32 v44, vcc_lo, v42, v4
	s_wait_alu 0xfffd
	v_add_co_ci_u32_e64 v45, null, v43, v5, vcc_lo
	v_add_co_u32 v42, vcc_lo, v44, v6
	s_wait_alu 0xfffd
	s_delay_alu instid0(VALU_DEP_2) | instskip(SKIP_4) | instid1(VALU_DEP_1)
	v_add_co_ci_u32_e64 v43, null, v45, v7, vcc_lo
	flat_store_b64 v[42:43], v[40:41]
	flat_load_b64 v[40:41], v[16:17] offset:128
	s_wait_loadcnt_dscnt 0x0
	v_mul_f64_e32 v[40:41], s[36:37], v[40:41]
	v_fma_f64 v[38:39], s[6:7], v[38:39], v[40:41]
	flat_store_b64 v[42:43], v[38:39] offset:128
	flat_load_b64 v[38:39], v[16:17] offset:256
	s_wait_loadcnt_dscnt 0x0
	v_mul_f64_e32 v[38:39], s[36:37], v[38:39]
	s_delay_alu instid0(VALU_DEP_1)
	v_fma_f64 v[36:37], s[6:7], v[36:37], v[38:39]
	flat_store_b64 v[42:43], v[36:37] offset:256
	flat_load_b64 v[16:17], v[16:17] offset:384
	v_add_co_u32 v36, vcc_lo, v46, s18
	s_wait_alu 0xfffd
	v_add_co_ci_u32_e64 v37, null, s19, v47, vcc_lo
	s_wait_loadcnt_dscnt 0x0
	v_mul_f64_e32 v[16:17], s[36:37], v[16:17]
	s_delay_alu instid0(VALU_DEP_1)
	v_fma_f64 v[16:17], s[6:7], v[34:35], v[16:17]
	v_add_co_u32 v34, vcc_lo, v36, v6
	s_wait_alu 0xfffd
	v_add_co_ci_u32_e64 v35, null, v37, v7, vcc_lo
	v_add_co_u32 v38, vcc_lo, v44, s22
	s_wait_alu 0xfffd
	v_add_co_ci_u32_e64 v39, null, s23, v45, vcc_lo
	flat_store_b64 v[42:43], v[16:17] offset:384
	flat_load_b64 v[16:17], v[34:35]
	s_wait_loadcnt_dscnt 0x0
	v_mul_f64_e32 v[16:17], s[36:37], v[16:17]
	s_delay_alu instid0(VALU_DEP_1)
	v_fma_f64 v[16:17], s[6:7], v[32:33], v[16:17]
	v_add_co_u32 v32, vcc_lo, v38, v6
	s_wait_alu 0xfffd
	v_add_co_ci_u32_e64 v33, null, v39, v7, vcc_lo
	flat_store_b64 v[32:33], v[16:17]
	flat_load_b64 v[16:17], v[34:35] offset:128
	s_wait_loadcnt_dscnt 0x0
	v_mul_f64_e32 v[16:17], s[36:37], v[16:17]
	s_delay_alu instid0(VALU_DEP_1) | instskip(SKIP_4) | instid1(VALU_DEP_1)
	v_fma_f64 v[16:17], s[6:7], v[30:31], v[16:17]
	flat_store_b64 v[32:33], v[16:17] offset:128
	flat_load_b64 v[16:17], v[34:35] offset:256
	s_wait_loadcnt_dscnt 0x0
	v_mul_f64_e32 v[16:17], s[36:37], v[16:17]
	v_fma_f64 v[16:17], s[6:7], v[28:29], v[16:17]
	v_add_co_u32 v28, vcc_lo, v36, s18
	s_wait_alu 0xfffd
	v_add_co_ci_u32_e64 v29, null, s19, v37, vcc_lo
	flat_store_b64 v[32:33], v[16:17] offset:256
	flat_load_b64 v[16:17], v[34:35] offset:384
	s_wait_loadcnt_dscnt 0x0
	v_mul_f64_e32 v[16:17], s[36:37], v[16:17]
	s_delay_alu instid0(VALU_DEP_1)
	v_fma_f64 v[16:17], s[6:7], v[26:27], v[16:17]
	v_add_co_u32 v26, vcc_lo, v28, v6
	s_wait_alu 0xfffd
	v_add_co_ci_u32_e64 v27, null, v29, v7, vcc_lo
	v_add_co_u32 v30, vcc_lo, v38, s22
	s_wait_alu 0xfffd
	v_add_co_ci_u32_e64 v31, null, s23, v39, vcc_lo
	flat_store_b64 v[32:33], v[16:17] offset:384
	flat_load_b64 v[16:17], v[26:27]
	s_wait_loadcnt_dscnt 0x0
	v_mul_f64_e32 v[16:17], s[36:37], v[16:17]
	s_delay_alu instid0(VALU_DEP_1)
	v_fma_f64 v[16:17], s[6:7], v[24:25], v[16:17]
	v_add_co_u32 v24, vcc_lo, v30, v6
	s_wait_alu 0xfffd
	v_add_co_ci_u32_e64 v25, null, v31, v7, vcc_lo
	flat_store_b64 v[24:25], v[16:17]
	flat_load_b64 v[16:17], v[26:27] offset:128
	s_wait_loadcnt_dscnt 0x0
	v_mul_f64_e32 v[16:17], s[36:37], v[16:17]
	s_delay_alu instid0(VALU_DEP_1) | instskip(SKIP_4) | instid1(VALU_DEP_1)
	v_fma_f64 v[16:17], s[6:7], v[22:23], v[16:17]
	flat_store_b64 v[24:25], v[16:17] offset:128
	flat_load_b64 v[16:17], v[26:27] offset:256
	s_wait_loadcnt_dscnt 0x0
	v_mul_f64_e32 v[16:17], s[36:37], v[16:17]
	v_fma_f64 v[16:17], s[6:7], v[20:21], v[16:17]
	flat_store_b64 v[24:25], v[16:17] offset:256
	flat_load_b64 v[16:17], v[26:27] offset:384
	s_wait_loadcnt_dscnt 0x0
	v_mul_f64_e32 v[16:17], s[36:37], v[16:17]
	s_delay_alu instid0(VALU_DEP_1) | instskip(SKIP_3) | instid1(VALU_DEP_2)
	v_fma_f64 v[16:17], s[6:7], v[18:19], v[16:17]
	v_add_co_u32 v18, vcc_lo, v28, s18
	s_wait_alu 0xfffd
	v_add_co_ci_u32_e64 v19, null, s19, v29, vcc_lo
	v_add_co_u32 v18, vcc_lo, v18, v6
	s_wait_alu 0xfffd
	s_delay_alu instid0(VALU_DEP_2) | instskip(SKIP_4) | instid1(VALU_DEP_1)
	v_add_co_ci_u32_e64 v19, null, v19, v7, vcc_lo
	flat_store_b64 v[24:25], v[16:17] offset:384
	flat_load_b64 v[16:17], v[18:19]
	s_wait_loadcnt_dscnt 0x0
	v_mul_f64_e32 v[16:17], s[36:37], v[16:17]
	v_fma_f64 v[14:15], s[6:7], v[14:15], v[16:17]
	v_add_co_u32 v16, vcc_lo, v30, s22
	s_wait_alu 0xfffd
	v_add_co_ci_u32_e64 v17, null, s23, v31, vcc_lo
	s_delay_alu instid0(VALU_DEP_2) | instskip(SKIP_1) | instid1(VALU_DEP_2)
	v_add_co_u32 v16, vcc_lo, v16, v6
	s_wait_alu 0xfffd
	v_add_co_ci_u32_e64 v17, null, v17, v7, vcc_lo
	flat_store_b64 v[16:17], v[14:15]
	flat_load_b64 v[14:15], v[18:19] offset:128
	s_wait_loadcnt_dscnt 0x0
	v_mul_f64_e32 v[14:15], s[36:37], v[14:15]
	s_delay_alu instid0(VALU_DEP_1) | instskip(SKIP_4) | instid1(VALU_DEP_1)
	v_fma_f64 v[12:13], s[6:7], v[12:13], v[14:15]
	flat_store_b64 v[16:17], v[12:13] offset:128
	flat_load_b64 v[12:13], v[18:19] offset:256
	s_wait_loadcnt_dscnt 0x0
	v_mul_f64_e32 v[12:13], s[36:37], v[12:13]
	v_fma_f64 v[10:11], s[6:7], v[10:11], v[12:13]
	flat_store_b64 v[16:17], v[10:11] offset:256
	flat_load_b64 v[10:11], v[18:19] offset:384
	s_wait_loadcnt_dscnt 0x0
	v_mul_f64_e32 v[10:11], s[36:37], v[10:11]
	s_delay_alu instid0(VALU_DEP_1)
	v_fma_f64 v[8:9], s[6:7], v[8:9], v[10:11]
	flat_store_b64 v[16:17], v[8:9] offset:384
	s_branch .LBB209_2
.LBB209_11:
	s_endpgm
	.section	.rodata,"a",@progbits
	.p2align	6, 0x0
	.amdhsa_kernel _ZN12_GLOBAL__N_127rocblas_gemm_batched_kernelIdLi16ELi16ELi64ELi64ELi4ELi64ELi4ELi4ELi64ELc67ELc67EKPKdS3_KPdEEvlllT_PT11_llS8_llS6_PT12_llPT13_lli
		.amdhsa_group_segment_fixed_size 4096
		.amdhsa_private_segment_fixed_size 0
		.amdhsa_kernarg_size 140
		.amdhsa_user_sgpr_count 2
		.amdhsa_user_sgpr_dispatch_ptr 0
		.amdhsa_user_sgpr_queue_ptr 0
		.amdhsa_user_sgpr_kernarg_segment_ptr 1
		.amdhsa_user_sgpr_dispatch_id 0
		.amdhsa_user_sgpr_private_segment_size 0
		.amdhsa_wavefront_size32 1
		.amdhsa_uses_dynamic_stack 0
		.amdhsa_enable_private_segment 0
		.amdhsa_system_sgpr_workgroup_id_x 1
		.amdhsa_system_sgpr_workgroup_id_y 1
		.amdhsa_system_sgpr_workgroup_id_z 1
		.amdhsa_system_sgpr_workgroup_info 0
		.amdhsa_system_vgpr_workitem_id 1
		.amdhsa_next_free_vgpr 95
		.amdhsa_next_free_sgpr 44
		.amdhsa_reserve_vcc 1
		.amdhsa_float_round_mode_32 0
		.amdhsa_float_round_mode_16_64 0
		.amdhsa_float_denorm_mode_32 3
		.amdhsa_float_denorm_mode_16_64 3
		.amdhsa_fp16_overflow 0
		.amdhsa_workgroup_processor_mode 1
		.amdhsa_memory_ordered 1
		.amdhsa_forward_progress 1
		.amdhsa_inst_pref_size 26
		.amdhsa_round_robin_scheduling 0
		.amdhsa_exception_fp_ieee_invalid_op 0
		.amdhsa_exception_fp_denorm_src 0
		.amdhsa_exception_fp_ieee_div_zero 0
		.amdhsa_exception_fp_ieee_overflow 0
		.amdhsa_exception_fp_ieee_underflow 0
		.amdhsa_exception_fp_ieee_inexact 0
		.amdhsa_exception_int_div_zero 0
	.end_amdhsa_kernel
	.section	.text._ZN12_GLOBAL__N_127rocblas_gemm_batched_kernelIdLi16ELi16ELi64ELi64ELi4ELi64ELi4ELi4ELi64ELc67ELc67EKPKdS3_KPdEEvlllT_PT11_llS8_llS6_PT12_llPT13_lli,"axG",@progbits,_ZN12_GLOBAL__N_127rocblas_gemm_batched_kernelIdLi16ELi16ELi64ELi64ELi4ELi64ELi4ELi4ELi64ELc67ELc67EKPKdS3_KPdEEvlllT_PT11_llS8_llS6_PT12_llPT13_lli,comdat
.Lfunc_end209:
	.size	_ZN12_GLOBAL__N_127rocblas_gemm_batched_kernelIdLi16ELi16ELi64ELi64ELi4ELi64ELi4ELi4ELi64ELc67ELc67EKPKdS3_KPdEEvlllT_PT11_llS8_llS6_PT12_llPT13_lli, .Lfunc_end209-_ZN12_GLOBAL__N_127rocblas_gemm_batched_kernelIdLi16ELi16ELi64ELi64ELi4ELi64ELi4ELi4ELi64ELc67ELc67EKPKdS3_KPdEEvlllT_PT11_llS8_llS6_PT12_llPT13_lli
                                        ; -- End function
	.set _ZN12_GLOBAL__N_127rocblas_gemm_batched_kernelIdLi16ELi16ELi64ELi64ELi4ELi64ELi4ELi4ELi64ELc67ELc67EKPKdS3_KPdEEvlllT_PT11_llS8_llS6_PT12_llPT13_lli.num_vgpr, 95
	.set _ZN12_GLOBAL__N_127rocblas_gemm_batched_kernelIdLi16ELi16ELi64ELi64ELi4ELi64ELi4ELi4ELi64ELc67ELc67EKPKdS3_KPdEEvlllT_PT11_llS8_llS6_PT12_llPT13_lli.num_agpr, 0
	.set _ZN12_GLOBAL__N_127rocblas_gemm_batched_kernelIdLi16ELi16ELi64ELi64ELi4ELi64ELi4ELi4ELi64ELc67ELc67EKPKdS3_KPdEEvlllT_PT11_llS8_llS6_PT12_llPT13_lli.numbered_sgpr, 44
	.set _ZN12_GLOBAL__N_127rocblas_gemm_batched_kernelIdLi16ELi16ELi64ELi64ELi4ELi64ELi4ELi4ELi64ELc67ELc67EKPKdS3_KPdEEvlllT_PT11_llS8_llS6_PT12_llPT13_lli.num_named_barrier, 0
	.set _ZN12_GLOBAL__N_127rocblas_gemm_batched_kernelIdLi16ELi16ELi64ELi64ELi4ELi64ELi4ELi4ELi64ELc67ELc67EKPKdS3_KPdEEvlllT_PT11_llS8_llS6_PT12_llPT13_lli.private_seg_size, 0
	.set _ZN12_GLOBAL__N_127rocblas_gemm_batched_kernelIdLi16ELi16ELi64ELi64ELi4ELi64ELi4ELi4ELi64ELc67ELc67EKPKdS3_KPdEEvlllT_PT11_llS8_llS6_PT12_llPT13_lli.uses_vcc, 1
	.set _ZN12_GLOBAL__N_127rocblas_gemm_batched_kernelIdLi16ELi16ELi64ELi64ELi4ELi64ELi4ELi4ELi64ELc67ELc67EKPKdS3_KPdEEvlllT_PT11_llS8_llS6_PT12_llPT13_lli.uses_flat_scratch, 1
	.set _ZN12_GLOBAL__N_127rocblas_gemm_batched_kernelIdLi16ELi16ELi64ELi64ELi4ELi64ELi4ELi4ELi64ELc67ELc67EKPKdS3_KPdEEvlllT_PT11_llS8_llS6_PT12_llPT13_lli.has_dyn_sized_stack, 0
	.set _ZN12_GLOBAL__N_127rocblas_gemm_batched_kernelIdLi16ELi16ELi64ELi64ELi4ELi64ELi4ELi4ELi64ELc67ELc67EKPKdS3_KPdEEvlllT_PT11_llS8_llS6_PT12_llPT13_lli.has_recursion, 0
	.set _ZN12_GLOBAL__N_127rocblas_gemm_batched_kernelIdLi16ELi16ELi64ELi64ELi4ELi64ELi4ELi4ELi64ELc67ELc67EKPKdS3_KPdEEvlllT_PT11_llS8_llS6_PT12_llPT13_lli.has_indirect_call, 0
	.section	.AMDGPU.csdata,"",@progbits
; Kernel info:
; codeLenInByte = 3324
; TotalNumSgprs: 46
; NumVgprs: 95
; ScratchSize: 0
; MemoryBound: 0
; FloatMode: 240
; IeeeMode: 1
; LDSByteSize: 4096 bytes/workgroup (compile time only)
; SGPRBlocks: 0
; VGPRBlocks: 11
; NumSGPRsForWavesPerEU: 46
; NumVGPRsForWavesPerEU: 95
; Occupancy: 16
; WaveLimiterHint : 1
; COMPUTE_PGM_RSRC2:SCRATCH_EN: 0
; COMPUTE_PGM_RSRC2:USER_SGPR: 2
; COMPUTE_PGM_RSRC2:TRAP_HANDLER: 0
; COMPUTE_PGM_RSRC2:TGID_X_EN: 1
; COMPUTE_PGM_RSRC2:TGID_Y_EN: 1
; COMPUTE_PGM_RSRC2:TGID_Z_EN: 1
; COMPUTE_PGM_RSRC2:TIDIG_COMP_CNT: 1
	.section	.text._ZN12_GLOBAL__N_127rocblas_gemm_batched_kernelIdLi16ELi16ELi64ELi64ELi4ELi64ELi4ELi4ELi64ELc67ELc78EKPKdS3_KPdEEvlllT_PT11_llS8_llS6_PT12_llPT13_lli,"axG",@progbits,_ZN12_GLOBAL__N_127rocblas_gemm_batched_kernelIdLi16ELi16ELi64ELi64ELi4ELi64ELi4ELi4ELi64ELc67ELc78EKPKdS3_KPdEEvlllT_PT11_llS8_llS6_PT12_llPT13_lli,comdat
	.globl	_ZN12_GLOBAL__N_127rocblas_gemm_batched_kernelIdLi16ELi16ELi64ELi64ELi4ELi64ELi4ELi4ELi64ELc67ELc78EKPKdS3_KPdEEvlllT_PT11_llS8_llS6_PT12_llPT13_lli ; -- Begin function _ZN12_GLOBAL__N_127rocblas_gemm_batched_kernelIdLi16ELi16ELi64ELi64ELi4ELi64ELi4ELi4ELi64ELc67ELc78EKPKdS3_KPdEEvlllT_PT11_llS8_llS6_PT12_llPT13_lli
	.p2align	8
	.type	_ZN12_GLOBAL__N_127rocblas_gemm_batched_kernelIdLi16ELi16ELi64ELi64ELi4ELi64ELi4ELi4ELi64ELc67ELc78EKPKdS3_KPdEEvlllT_PT11_llS8_llS6_PT12_llPT13_lli,@function
_ZN12_GLOBAL__N_127rocblas_gemm_batched_kernelIdLi16ELi16ELi64ELi64ELi4ELi64ELi4ELi4ELi64ELc67ELc78EKPKdS3_KPdEEvlllT_PT11_llS8_llS6_PT12_llPT13_lli: ; @_ZN12_GLOBAL__N_127rocblas_gemm_batched_kernelIdLi16ELi16ELi64ELi64ELi4ELi64ELi4ELi4ELi64ELc67ELc78EKPKdS3_KPdEEvlllT_PT11_llS8_llS6_PT12_llPT13_lli
; %bb.0:
	s_load_b32 s28, s[0:1], 0x88
	s_lshr_b32 s2, ttmp7, 16
	s_wait_kmcnt 0x0
	s_cmp_ge_i32 s2, s28
	s_cbranch_scc1 .LBB210_11
; %bb.1:
	s_clause 0x2
	s_load_b256 s[36:43], s[0:1], 0x50
	s_load_b256 s[20:27], s[0:1], 0x70
	s_load_b512 s[4:19], s[0:1], 0x10
	v_and_b32_e32 v10, 0x3ff, v0
	v_bfe_u32 v6, v0, 10, 10
	s_lshl_b32 s0, ttmp7, 6
	s_mov_b32 s30, ttmp9
	s_and_b32 s3, s0, 0x3fffc0
	s_ashr_i32 s31, ttmp9, 31
	v_lshl_add_u32 v1, v6, 4, v10
	v_dual_mov_b32 v46, 0 :: v_dual_add_nc_u32 v9, s3, v6
	v_lshl_add_u32 v50, v6, 5, 0x800
	s_lshl_b64 s[0:1], s[30:31], 6
	s_delay_alu instid0(VALU_DEP_3) | instskip(SKIP_2) | instid1(VALU_DEP_3)
	v_and_b32_e32 v11, 63, v1
	v_lshrrev_b32_e32 v13, 6, v1
	v_lshrrev_b32_e32 v1, 2, v1
	v_lshlrev_b32_e32 v7, 3, v11
	s_wait_kmcnt 0x0
	v_mad_co_u64_u32 v[2:3], null, v9, s22, 0
	v_mad_co_u64_u32 v[4:5], null, v9, s40, 0
	s_delay_alu instid0(VALU_DEP_3)
	v_lshl_or_b32 v47, v13, 9, v7
	v_add_nc_u32_e32 v8, s3, v1
	v_cmp_eq_f64_e64 s26, s[36:37], 0
	s_mul_i32 s3, s10, s1
	v_mad_co_u64_u32 v[6:7], null, v9, s23, v[3:4]
	v_lshlrev_b32_e32 v0, 3, v0
	v_or_b32_e32 v3, s0, v11
	s_lshl_b64 s[22:23], s[22:23], 4
	s_delay_alu instid0(VALU_DEP_2) | instskip(NEXT) | instid1(VALU_DEP_1)
	v_and_b32_e32 v14, 24, v0
	v_lshl_or_b32 v12, v1, 5, v14
	v_mad_co_u64_u32 v[0:1], null, s16, v8, 0
	s_delay_alu instid0(VALU_DEP_2) | instskip(SKIP_1) | instid1(VALU_DEP_3)
	v_add_nc_u32_e32 v48, 0x800, v12
	v_mad_co_u64_u32 v[11:12], null, s10, v3, 0
	v_mad_co_u64_u32 v[7:8], null, s17, v8, v[1:2]
	;; [unrolled: 1-line block ×3, first 2 shown]
	s_lshl_b64 s[16:17], s[40:41], 4
	s_wait_alu 0xfffe
	s_lshl_b64 s[16:17], s[16:17], 3
	v_mov_b32_e32 v1, v7
	v_mul_lo_u32 v7, s11, v3
	v_add_co_u32 v9, s0, s0, v10
	v_lshlrev_b32_e32 v49, 3, v10
	s_delay_alu instid0(VALU_DEP_4)
	v_lshlrev_b64_e32 v[0:1], 3, v[0:1]
	s_wait_alu 0xf1ff
	v_add_co_ci_u32_e64 v10, null, s1, 0, s0
	s_lshl_b64 s[0:1], s[18:19], 3
	v_add3_u32 v12, v12, s3, v7
	v_mov_b32_e32 v3, v6
	s_wait_alu 0xfffe
	v_add_co_u32 v6, vcc_lo, v0, s0
	s_delay_alu instid0(VALU_DEP_1) | instskip(SKIP_2) | instid1(VALU_DEP_4)
	v_add_co_ci_u32_e64 v7, null, s1, v1, vcc_lo
	v_lshlrev_b64_e32 v[0:1], 3, v[11:12]
	v_mov_b32_e32 v5, v8
	v_add_co_u32 v51, vcc_lo, v6, v14
	s_lshl_b64 s[0:1], s[12:13], 3
	s_wait_alu 0xfffd
	v_add_co_ci_u32_e64 v52, null, 0, v7, vcc_lo
	s_wait_alu 0xfffe
	v_add_co_u32 v0, vcc_lo, v0, s0
	v_cmp_gt_i64_e64 s0, s[4:5], 0
	v_lshlrev_b32_e32 v6, 3, v13
	s_wait_alu 0xfffd
	v_add_co_ci_u32_e64 v1, null, s1, v1, vcc_lo
	v_lshlrev_b64_e32 v[2:3], 3, v[2:3]
	s_mov_b32 s3, 0
	s_wait_alu 0xf1ff
	v_cndmask_b32_e64 v7, 0, 1, s0
	v_add_co_u32 v53, vcc_lo, v0, v6
	s_wait_alu 0xfffd
	v_add_co_ci_u32_e64 v54, null, 0, v1, vcc_lo
	v_lshlrev_b64_e32 v[0:1], 3, v[4:5]
	v_lshlrev_b64_e32 v[4:5], 3, v[9:10]
	v_cmp_ne_u32_e64 s0, 1, v7
	s_lshl_b64 s[10:11], s[24:25], 3
	s_lshl_b64 s[12:13], s[42:43], 3
	;; [unrolled: 1-line block ×3, first 2 shown]
	s_branch .LBB210_3
.LBB210_2:                              ;   in Loop: Header=BB210_3 Depth=1
	s_add_co_i32 s2, s2, 0x10000
	s_wait_alu 0xfffe
	s_cmp_lt_i32 s2, s28
	s_cbranch_scc0 .LBB210_11
.LBB210_3:                              ; =>This Loop Header: Depth=1
                                        ;     Child Loop BB210_5 Depth 2
	s_wait_alu 0xfffe
	s_lshl_b64 s[22:23], s[2:3], 3
	s_and_b32 vcc_lo, exec_lo, s0
	s_wait_alu 0xfffe
	s_add_nc_u64 s[24:25], s[38:39], s[22:23]
	s_add_nc_u64 s[30:31], s[20:21], s[22:23]
	s_clause 0x1
	global_load_b64 v[14:15], v46, s[24:25]
	global_load_b64 v[40:41], v46, s[30:31]
	s_cbranch_vccnz .LBB210_8
; %bb.4:                                ;   in Loop: Header=BB210_3 Depth=1
	s_add_nc_u64 s[24:25], s[14:15], s[22:23]
	s_add_nc_u64 s[22:23], s[8:9], s[22:23]
	s_clause 0x1
	global_load_b64 v[42:43], v46, s[24:25]
	global_load_b64 v[44:45], v46, s[22:23]
	v_mov_b32_e32 v6, 0
	v_mov_b32_e32 v10, 0
	;; [unrolled: 1-line block ×7, first 2 shown]
	v_dual_mov_b32 v36, 0 :: v_dual_mov_b32 v7, 0
	v_dual_mov_b32 v8, 0 :: v_dual_mov_b32 v11, 0
	;; [unrolled: 1-line block ×9, first 2 shown]
	v_mov_b32_e32 v13, 0
	v_mov_b32_e32 v19, 0
	;; [unrolled: 1-line block ×7, first 2 shown]
	s_mov_b64 s[22:23], 0
	s_wait_loadcnt 0x1
	v_add_co_u32 v42, vcc_lo, v42, v51
	s_wait_alu 0xfffd
	v_add_co_ci_u32_e64 v43, null, v43, v52, vcc_lo
	s_wait_loadcnt 0x0
	v_add_co_u32 v44, vcc_lo, v44, v53
	s_wait_alu 0xfffd
	v_add_co_ci_u32_e64 v45, null, v45, v54, vcc_lo
.LBB210_5:                              ;   Parent Loop BB210_3 Depth=1
                                        ; =>  This Inner Loop Header: Depth=2
	flat_load_b64 v[55:56], v[44:45]
	s_wait_alu 0xfffe
	s_add_nc_u64 s[22:23], s[22:23], 4
	v_add_co_u32 v44, vcc_lo, v44, 32
	s_wait_alu 0xfffe
	v_cmp_lt_i64_e64 s1, s[22:23], s[4:5]
	s_wait_alu 0xfffd
	v_add_co_ci_u32_e64 v45, null, 0, v45, vcc_lo
	s_and_b32 vcc_lo, exec_lo, s1
	s_wait_loadcnt_dscnt 0x0
	ds_store_b64 v47, v[55:56]
	flat_load_b64 v[55:56], v[42:43]
	v_add_co_u32 v42, s1, v42, 32
	s_wait_alu 0xf1ff
	v_add_co_ci_u32_e64 v43, null, 0, v43, s1
	s_wait_loadcnt_dscnt 0x0
	ds_store_b64 v48, v[55:56]
	s_wait_dscnt 0x0
	s_barrier_signal -1
	s_barrier_wait -1
	global_inv scope:SCOPE_SE
	ds_load_b128 v[55:58], v50
	ds_load_2addr_b64 v[59:62], v49 offset1:16
	ds_load_2addr_b64 v[63:66], v49 offset0:32 offset1:48
	ds_load_b128 v[67:70], v50 offset:512
	ds_load_b128 v[71:74], v50 offset:1024
	;; [unrolled: 1-line block ×7, first 2 shown]
	s_wait_dscnt 0x8
	v_fma_f64 v[38:39], v[59:60], v[55:56], v[38:39]
	v_fma_f64 v[36:37], v[61:62], v[55:56], v[36:37]
	s_wait_dscnt 0x7
	v_fma_f64 v[34:35], v[63:64], v[55:56], v[34:35]
	v_fma_f64 v[32:33], v[65:66], v[55:56], v[32:33]
	;; [unrolled: 3-line block ×3, first 2 shown]
	v_fma_f64 v[26:27], v[63:64], v[67:68], v[26:27]
	v_fma_f64 v[24:25], v[65:66], v[67:68], v[24:25]
	s_wait_dscnt 0x5
	v_fma_f64 v[22:23], v[59:60], v[71:72], v[22:23]
	v_fma_f64 v[20:21], v[61:62], v[71:72], v[20:21]
	;; [unrolled: 1-line block ×4, first 2 shown]
	s_wait_dscnt 0x4
	v_fma_f64 v[55:56], v[59:60], v[75:76], v[12:13]
	v_fma_f64 v[59:60], v[61:62], v[75:76], v[10:11]
	;; [unrolled: 1-line block ×4, first 2 shown]
	ds_load_2addr_b64 v[6:9], v49 offset0:64 offset1:80
	ds_load_2addr_b64 v[10:13], v49 offset0:96 offset1:112
	s_wait_dscnt 0x1
	v_fma_f64 v[38:39], v[6:7], v[57:58], v[38:39]
	v_fma_f64 v[36:37], v[8:9], v[57:58], v[36:37]
	s_wait_dscnt 0x0
	v_fma_f64 v[34:35], v[10:11], v[57:58], v[34:35]
	v_fma_f64 v[32:33], v[12:13], v[57:58], v[32:33]
	;; [unrolled: 1-line block ×14, first 2 shown]
	ds_load_2addr_b64 v[6:9], v49 offset0:128 offset1:144
	ds_load_2addr_b64 v[10:13], v49 offset0:160 offset1:176
	s_wait_dscnt 0x1
	v_fma_f64 v[38:39], v[6:7], v[79:80], v[38:39]
	v_fma_f64 v[36:37], v[8:9], v[79:80], v[36:37]
	s_wait_dscnt 0x0
	v_fma_f64 v[34:35], v[10:11], v[79:80], v[34:35]
	v_fma_f64 v[32:33], v[12:13], v[79:80], v[32:33]
	;; [unrolled: 1-line block ×14, first 2 shown]
	ds_load_2addr_b64 v[6:9], v49 offset0:192 offset1:208
	ds_load_2addr_b64 v[55:58], v49 offset0:224 offset1:240
	s_wait_loadcnt_dscnt 0x0
	s_barrier_signal -1
	s_barrier_wait -1
	global_inv scope:SCOPE_SE
	v_fma_f64 v[38:39], v[6:7], v[81:82], v[38:39]
	v_fma_f64 v[36:37], v[8:9], v[81:82], v[36:37]
	;; [unrolled: 1-line block ×16, first 2 shown]
	s_wait_alu 0xfffe
	s_cbranch_vccnz .LBB210_5
; %bb.6:                                ;   in Loop: Header=BB210_3 Depth=1
	v_add_co_u32 v40, vcc_lo, v40, s10
	s_wait_alu 0xfffd
	v_add_co_ci_u32_e64 v41, null, s11, v41, vcc_lo
	s_and_not1_b32 vcc_lo, exec_lo, s26
	s_wait_alu 0xfffe
	s_cbranch_vccnz .LBB210_9
.LBB210_7:                              ;   in Loop: Header=BB210_3 Depth=1
	v_mul_f64_e32 v[42:43], s[6:7], v[38:39]
	v_mul_f64_e32 v[44:45], s[6:7], v[36:37]
	;; [unrolled: 1-line block ×16, first 2 shown]
	v_add_co_u32 v83, vcc_lo, v40, v2
	s_wait_alu 0xfffd
	v_add_co_ci_u32_e64 v84, null, v41, v3, vcc_lo
	s_delay_alu instid0(VALU_DEP_2) | instskip(SKIP_1) | instid1(VALU_DEP_2)
	v_add_co_u32 v87, vcc_lo, v83, s18
	s_wait_alu 0xfffd
	v_add_co_ci_u32_e64 v88, null, s19, v84, vcc_lo
	v_add_co_u32 v83, vcc_lo, v83, v4
	s_wait_alu 0xfffd
	v_add_co_ci_u32_e64 v84, null, v84, v5, vcc_lo
	v_add_co_u32 v85, vcc_lo, v87, v4
	s_wait_alu 0xfffd
	v_add_co_ci_u32_e64 v86, null, v88, v5, vcc_lo
	s_clause 0x3
	flat_store_b64 v[83:84], v[42:43]
	flat_store_b64 v[83:84], v[44:45] offset:128
	flat_store_b64 v[83:84], v[55:56] offset:256
	;; [unrolled: 1-line block ×3, first 2 shown]
	v_add_co_u32 v42, vcc_lo, v87, s18
	s_wait_alu 0xfffd
	v_add_co_ci_u32_e64 v43, null, s19, v88, vcc_lo
	s_clause 0x3
	flat_store_b64 v[85:86], v[59:60]
	flat_store_b64 v[85:86], v[61:62] offset:128
	flat_store_b64 v[85:86], v[63:64] offset:256
	;; [unrolled: 1-line block ×3, first 2 shown]
	v_add_co_u32 v44, vcc_lo, v42, s18
	s_wait_alu 0xfffd
	v_add_co_ci_u32_e64 v45, null, s19, v43, vcc_lo
	v_add_co_u32 v42, vcc_lo, v42, v4
	s_wait_alu 0xfffd
	v_add_co_ci_u32_e64 v43, null, v43, v5, vcc_lo
	;; [unrolled: 3-line block ×3, first 2 shown]
	s_clause 0x7
	flat_store_b64 v[42:43], v[67:68]
	flat_store_b64 v[42:43], v[69:70] offset:128
	flat_store_b64 v[42:43], v[71:72] offset:256
	;; [unrolled: 1-line block ×3, first 2 shown]
	flat_store_b64 v[44:45], v[75:76]
	flat_store_b64 v[44:45], v[77:78] offset:128
	flat_store_b64 v[44:45], v[79:80] offset:256
	;; [unrolled: 1-line block ×3, first 2 shown]
	s_cbranch_execnz .LBB210_2
	s_branch .LBB210_10
.LBB210_8:                              ;   in Loop: Header=BB210_3 Depth=1
	v_mov_b32_e32 v38, 0
	v_mov_b32_e32 v34, 0
	;; [unrolled: 1-line block ×7, first 2 shown]
	v_dual_mov_b32 v8, 0 :: v_dual_mov_b32 v39, 0
	v_dual_mov_b32 v36, 0 :: v_dual_mov_b32 v35, 0
	;; [unrolled: 1-line block ×9, first 2 shown]
	v_mov_b32_e32 v33, 0
	v_mov_b32_e32 v29, 0
	;; [unrolled: 1-line block ×7, first 2 shown]
	s_wait_loadcnt 0x0
	v_add_co_u32 v40, vcc_lo, v40, s10
	s_wait_alu 0xfffd
	v_add_co_ci_u32_e64 v41, null, s11, v41, vcc_lo
	s_and_not1_b32 vcc_lo, exec_lo, s26
	s_wait_alu 0xfffe
	s_cbranch_vccz .LBB210_7
.LBB210_9:                              ;   in Loop: Header=BB210_3 Depth=1
.LBB210_10:                             ;   in Loop: Header=BB210_3 Depth=1
	v_add_co_u32 v14, vcc_lo, v14, s12
	s_wait_alu 0xfffd
	v_add_co_ci_u32_e64 v15, null, s13, v15, vcc_lo
	s_delay_alu instid0(VALU_DEP_2) | instskip(SKIP_1) | instid1(VALU_DEP_2)
	v_add_co_u32 v44, vcc_lo, v14, v0
	s_wait_alu 0xfffd
	v_add_co_ci_u32_e64 v45, null, v15, v1, vcc_lo
	s_delay_alu instid0(VALU_DEP_2) | instskip(SKIP_1) | instid1(VALU_DEP_2)
	v_add_co_u32 v14, vcc_lo, v44, v4
	s_wait_alu 0xfffd
	v_add_co_ci_u32_e64 v15, null, v45, v5, vcc_lo
	flat_load_b64 v[42:43], v[14:15]
	s_wait_loadcnt_dscnt 0x0
	v_mul_f64_e32 v[42:43], s[36:37], v[42:43]
	s_delay_alu instid0(VALU_DEP_1) | instskip(SKIP_3) | instid1(VALU_DEP_2)
	v_fma_f64 v[38:39], s[6:7], v[38:39], v[42:43]
	v_add_co_u32 v42, vcc_lo, v40, v2
	s_wait_alu 0xfffd
	v_add_co_ci_u32_e64 v43, null, v41, v3, vcc_lo
	v_add_co_u32 v40, vcc_lo, v42, v4
	s_wait_alu 0xfffd
	s_delay_alu instid0(VALU_DEP_2) | instskip(SKIP_4) | instid1(VALU_DEP_1)
	v_add_co_ci_u32_e64 v41, null, v43, v5, vcc_lo
	flat_store_b64 v[40:41], v[38:39]
	flat_load_b64 v[38:39], v[14:15] offset:128
	s_wait_loadcnt_dscnt 0x0
	v_mul_f64_e32 v[38:39], s[36:37], v[38:39]
	v_fma_f64 v[36:37], s[6:7], v[36:37], v[38:39]
	flat_store_b64 v[40:41], v[36:37] offset:128
	flat_load_b64 v[36:37], v[14:15] offset:256
	s_wait_loadcnt_dscnt 0x0
	v_mul_f64_e32 v[36:37], s[36:37], v[36:37]
	s_delay_alu instid0(VALU_DEP_1)
	v_fma_f64 v[34:35], s[6:7], v[34:35], v[36:37]
	flat_store_b64 v[40:41], v[34:35] offset:256
	flat_load_b64 v[14:15], v[14:15] offset:384
	v_add_co_u32 v34, vcc_lo, v44, s16
	s_wait_alu 0xfffd
	v_add_co_ci_u32_e64 v35, null, s17, v45, vcc_lo
	s_wait_loadcnt_dscnt 0x0
	v_mul_f64_e32 v[14:15], s[36:37], v[14:15]
	s_delay_alu instid0(VALU_DEP_1)
	v_fma_f64 v[14:15], s[6:7], v[32:33], v[14:15]
	v_add_co_u32 v32, vcc_lo, v34, v4
	s_wait_alu 0xfffd
	v_add_co_ci_u32_e64 v33, null, v35, v5, vcc_lo
	v_add_co_u32 v36, vcc_lo, v42, s18
	s_wait_alu 0xfffd
	v_add_co_ci_u32_e64 v37, null, s19, v43, vcc_lo
	flat_store_b64 v[40:41], v[14:15] offset:384
	flat_load_b64 v[14:15], v[32:33]
	s_wait_loadcnt_dscnt 0x0
	v_mul_f64_e32 v[14:15], s[36:37], v[14:15]
	s_delay_alu instid0(VALU_DEP_1)
	v_fma_f64 v[14:15], s[6:7], v[30:31], v[14:15]
	v_add_co_u32 v30, vcc_lo, v36, v4
	s_wait_alu 0xfffd
	v_add_co_ci_u32_e64 v31, null, v37, v5, vcc_lo
	flat_store_b64 v[30:31], v[14:15]
	flat_load_b64 v[14:15], v[32:33] offset:128
	s_wait_loadcnt_dscnt 0x0
	v_mul_f64_e32 v[14:15], s[36:37], v[14:15]
	s_delay_alu instid0(VALU_DEP_1) | instskip(SKIP_4) | instid1(VALU_DEP_1)
	v_fma_f64 v[14:15], s[6:7], v[28:29], v[14:15]
	flat_store_b64 v[30:31], v[14:15] offset:128
	flat_load_b64 v[14:15], v[32:33] offset:256
	s_wait_loadcnt_dscnt 0x0
	v_mul_f64_e32 v[14:15], s[36:37], v[14:15]
	v_fma_f64 v[14:15], s[6:7], v[26:27], v[14:15]
	v_add_co_u32 v26, vcc_lo, v34, s16
	s_wait_alu 0xfffd
	v_add_co_ci_u32_e64 v27, null, s17, v35, vcc_lo
	flat_store_b64 v[30:31], v[14:15] offset:256
	flat_load_b64 v[14:15], v[32:33] offset:384
	s_wait_loadcnt_dscnt 0x0
	v_mul_f64_e32 v[14:15], s[36:37], v[14:15]
	s_delay_alu instid0(VALU_DEP_1)
	v_fma_f64 v[14:15], s[6:7], v[24:25], v[14:15]
	v_add_co_u32 v24, vcc_lo, v26, v4
	s_wait_alu 0xfffd
	v_add_co_ci_u32_e64 v25, null, v27, v5, vcc_lo
	v_add_co_u32 v28, vcc_lo, v36, s18
	s_wait_alu 0xfffd
	v_add_co_ci_u32_e64 v29, null, s19, v37, vcc_lo
	flat_store_b64 v[30:31], v[14:15] offset:384
	flat_load_b64 v[14:15], v[24:25]
	s_wait_loadcnt_dscnt 0x0
	v_mul_f64_e32 v[14:15], s[36:37], v[14:15]
	s_delay_alu instid0(VALU_DEP_1)
	v_fma_f64 v[14:15], s[6:7], v[22:23], v[14:15]
	v_add_co_u32 v22, vcc_lo, v28, v4
	s_wait_alu 0xfffd
	v_add_co_ci_u32_e64 v23, null, v29, v5, vcc_lo
	flat_store_b64 v[22:23], v[14:15]
	flat_load_b64 v[14:15], v[24:25] offset:128
	s_wait_loadcnt_dscnt 0x0
	v_mul_f64_e32 v[14:15], s[36:37], v[14:15]
	s_delay_alu instid0(VALU_DEP_1) | instskip(SKIP_4) | instid1(VALU_DEP_1)
	v_fma_f64 v[14:15], s[6:7], v[20:21], v[14:15]
	flat_store_b64 v[22:23], v[14:15] offset:128
	flat_load_b64 v[14:15], v[24:25] offset:256
	s_wait_loadcnt_dscnt 0x0
	v_mul_f64_e32 v[14:15], s[36:37], v[14:15]
	v_fma_f64 v[14:15], s[6:7], v[18:19], v[14:15]
	flat_store_b64 v[22:23], v[14:15] offset:256
	flat_load_b64 v[14:15], v[24:25] offset:384
	s_wait_loadcnt_dscnt 0x0
	v_mul_f64_e32 v[14:15], s[36:37], v[14:15]
	s_delay_alu instid0(VALU_DEP_1) | instskip(SKIP_3) | instid1(VALU_DEP_2)
	v_fma_f64 v[14:15], s[6:7], v[16:17], v[14:15]
	v_add_co_u32 v16, vcc_lo, v26, s16
	s_wait_alu 0xfffd
	v_add_co_ci_u32_e64 v17, null, s17, v27, vcc_lo
	v_add_co_u32 v16, vcc_lo, v16, v4
	s_wait_alu 0xfffd
	s_delay_alu instid0(VALU_DEP_2) | instskip(SKIP_4) | instid1(VALU_DEP_1)
	v_add_co_ci_u32_e64 v17, null, v17, v5, vcc_lo
	flat_store_b64 v[22:23], v[14:15] offset:384
	flat_load_b64 v[14:15], v[16:17]
	s_wait_loadcnt_dscnt 0x0
	v_mul_f64_e32 v[14:15], s[36:37], v[14:15]
	v_fma_f64 v[12:13], s[6:7], v[12:13], v[14:15]
	v_add_co_u32 v14, vcc_lo, v28, s18
	s_wait_alu 0xfffd
	v_add_co_ci_u32_e64 v15, null, s19, v29, vcc_lo
	s_delay_alu instid0(VALU_DEP_2) | instskip(SKIP_1) | instid1(VALU_DEP_2)
	v_add_co_u32 v14, vcc_lo, v14, v4
	s_wait_alu 0xfffd
	v_add_co_ci_u32_e64 v15, null, v15, v5, vcc_lo
	flat_store_b64 v[14:15], v[12:13]
	flat_load_b64 v[12:13], v[16:17] offset:128
	s_wait_loadcnt_dscnt 0x0
	v_mul_f64_e32 v[12:13], s[36:37], v[12:13]
	s_delay_alu instid0(VALU_DEP_1) | instskip(SKIP_4) | instid1(VALU_DEP_1)
	v_fma_f64 v[10:11], s[6:7], v[10:11], v[12:13]
	flat_store_b64 v[14:15], v[10:11] offset:128
	flat_load_b64 v[10:11], v[16:17] offset:256
	s_wait_loadcnt_dscnt 0x0
	v_mul_f64_e32 v[10:11], s[36:37], v[10:11]
	v_fma_f64 v[8:9], s[6:7], v[8:9], v[10:11]
	flat_store_b64 v[14:15], v[8:9] offset:256
	flat_load_b64 v[8:9], v[16:17] offset:384
	s_wait_loadcnt_dscnt 0x0
	v_mul_f64_e32 v[8:9], s[36:37], v[8:9]
	s_delay_alu instid0(VALU_DEP_1)
	v_fma_f64 v[6:7], s[6:7], v[6:7], v[8:9]
	flat_store_b64 v[14:15], v[6:7] offset:384
	s_branch .LBB210_2
.LBB210_11:
	s_endpgm
	.section	.rodata,"a",@progbits
	.p2align	6, 0x0
	.amdhsa_kernel _ZN12_GLOBAL__N_127rocblas_gemm_batched_kernelIdLi16ELi16ELi64ELi64ELi4ELi64ELi4ELi4ELi64ELc67ELc78EKPKdS3_KPdEEvlllT_PT11_llS8_llS6_PT12_llPT13_lli
		.amdhsa_group_segment_fixed_size 4096
		.amdhsa_private_segment_fixed_size 0
		.amdhsa_kernarg_size 140
		.amdhsa_user_sgpr_count 2
		.amdhsa_user_sgpr_dispatch_ptr 0
		.amdhsa_user_sgpr_queue_ptr 0
		.amdhsa_user_sgpr_kernarg_segment_ptr 1
		.amdhsa_user_sgpr_dispatch_id 0
		.amdhsa_user_sgpr_private_segment_size 0
		.amdhsa_wavefront_size32 1
		.amdhsa_uses_dynamic_stack 0
		.amdhsa_enable_private_segment 0
		.amdhsa_system_sgpr_workgroup_id_x 1
		.amdhsa_system_sgpr_workgroup_id_y 1
		.amdhsa_system_sgpr_workgroup_id_z 1
		.amdhsa_system_sgpr_workgroup_info 0
		.amdhsa_system_vgpr_workitem_id 1
		.amdhsa_next_free_vgpr 95
		.amdhsa_next_free_sgpr 44
		.amdhsa_reserve_vcc 1
		.amdhsa_float_round_mode_32 0
		.amdhsa_float_round_mode_16_64 0
		.amdhsa_float_denorm_mode_32 3
		.amdhsa_float_denorm_mode_16_64 3
		.amdhsa_fp16_overflow 0
		.amdhsa_workgroup_processor_mode 1
		.amdhsa_memory_ordered 1
		.amdhsa_forward_progress 1
		.amdhsa_inst_pref_size 26
		.amdhsa_round_robin_scheduling 0
		.amdhsa_exception_fp_ieee_invalid_op 0
		.amdhsa_exception_fp_denorm_src 0
		.amdhsa_exception_fp_ieee_div_zero 0
		.amdhsa_exception_fp_ieee_overflow 0
		.amdhsa_exception_fp_ieee_underflow 0
		.amdhsa_exception_fp_ieee_inexact 0
		.amdhsa_exception_int_div_zero 0
	.end_amdhsa_kernel
	.section	.text._ZN12_GLOBAL__N_127rocblas_gemm_batched_kernelIdLi16ELi16ELi64ELi64ELi4ELi64ELi4ELi4ELi64ELc67ELc78EKPKdS3_KPdEEvlllT_PT11_llS8_llS6_PT12_llPT13_lli,"axG",@progbits,_ZN12_GLOBAL__N_127rocblas_gemm_batched_kernelIdLi16ELi16ELi64ELi64ELi4ELi64ELi4ELi4ELi64ELc67ELc78EKPKdS3_KPdEEvlllT_PT11_llS8_llS6_PT12_llPT13_lli,comdat
.Lfunc_end210:
	.size	_ZN12_GLOBAL__N_127rocblas_gemm_batched_kernelIdLi16ELi16ELi64ELi64ELi4ELi64ELi4ELi4ELi64ELc67ELc78EKPKdS3_KPdEEvlllT_PT11_llS8_llS6_PT12_llPT13_lli, .Lfunc_end210-_ZN12_GLOBAL__N_127rocblas_gemm_batched_kernelIdLi16ELi16ELi64ELi64ELi4ELi64ELi4ELi4ELi64ELc67ELc78EKPKdS3_KPdEEvlllT_PT11_llS8_llS6_PT12_llPT13_lli
                                        ; -- End function
	.set _ZN12_GLOBAL__N_127rocblas_gemm_batched_kernelIdLi16ELi16ELi64ELi64ELi4ELi64ELi4ELi4ELi64ELc67ELc78EKPKdS3_KPdEEvlllT_PT11_llS8_llS6_PT12_llPT13_lli.num_vgpr, 95
	.set _ZN12_GLOBAL__N_127rocblas_gemm_batched_kernelIdLi16ELi16ELi64ELi64ELi4ELi64ELi4ELi4ELi64ELc67ELc78EKPKdS3_KPdEEvlllT_PT11_llS8_llS6_PT12_llPT13_lli.num_agpr, 0
	.set _ZN12_GLOBAL__N_127rocblas_gemm_batched_kernelIdLi16ELi16ELi64ELi64ELi4ELi64ELi4ELi4ELi64ELc67ELc78EKPKdS3_KPdEEvlllT_PT11_llS8_llS6_PT12_llPT13_lli.numbered_sgpr, 44
	.set _ZN12_GLOBAL__N_127rocblas_gemm_batched_kernelIdLi16ELi16ELi64ELi64ELi4ELi64ELi4ELi4ELi64ELc67ELc78EKPKdS3_KPdEEvlllT_PT11_llS8_llS6_PT12_llPT13_lli.num_named_barrier, 0
	.set _ZN12_GLOBAL__N_127rocblas_gemm_batched_kernelIdLi16ELi16ELi64ELi64ELi4ELi64ELi4ELi4ELi64ELc67ELc78EKPKdS3_KPdEEvlllT_PT11_llS8_llS6_PT12_llPT13_lli.private_seg_size, 0
	.set _ZN12_GLOBAL__N_127rocblas_gemm_batched_kernelIdLi16ELi16ELi64ELi64ELi4ELi64ELi4ELi4ELi64ELc67ELc78EKPKdS3_KPdEEvlllT_PT11_llS8_llS6_PT12_llPT13_lli.uses_vcc, 1
	.set _ZN12_GLOBAL__N_127rocblas_gemm_batched_kernelIdLi16ELi16ELi64ELi64ELi4ELi64ELi4ELi4ELi64ELc67ELc78EKPKdS3_KPdEEvlllT_PT11_llS8_llS6_PT12_llPT13_lli.uses_flat_scratch, 1
	.set _ZN12_GLOBAL__N_127rocblas_gemm_batched_kernelIdLi16ELi16ELi64ELi64ELi4ELi64ELi4ELi4ELi64ELc67ELc78EKPKdS3_KPdEEvlllT_PT11_llS8_llS6_PT12_llPT13_lli.has_dyn_sized_stack, 0
	.set _ZN12_GLOBAL__N_127rocblas_gemm_batched_kernelIdLi16ELi16ELi64ELi64ELi4ELi64ELi4ELi4ELi64ELc67ELc78EKPKdS3_KPdEEvlllT_PT11_llS8_llS6_PT12_llPT13_lli.has_recursion, 0
	.set _ZN12_GLOBAL__N_127rocblas_gemm_batched_kernelIdLi16ELi16ELi64ELi64ELi4ELi64ELi4ELi4ELi64ELc67ELc78EKPKdS3_KPdEEvlllT_PT11_llS8_llS6_PT12_llPT13_lli.has_indirect_call, 0
	.section	.AMDGPU.csdata,"",@progbits
; Kernel info:
; codeLenInByte = 3328
; TotalNumSgprs: 46
; NumVgprs: 95
; ScratchSize: 0
; MemoryBound: 0
; FloatMode: 240
; IeeeMode: 1
; LDSByteSize: 4096 bytes/workgroup (compile time only)
; SGPRBlocks: 0
; VGPRBlocks: 11
; NumSGPRsForWavesPerEU: 46
; NumVGPRsForWavesPerEU: 95
; Occupancy: 16
; WaveLimiterHint : 1
; COMPUTE_PGM_RSRC2:SCRATCH_EN: 0
; COMPUTE_PGM_RSRC2:USER_SGPR: 2
; COMPUTE_PGM_RSRC2:TRAP_HANDLER: 0
; COMPUTE_PGM_RSRC2:TGID_X_EN: 1
; COMPUTE_PGM_RSRC2:TGID_Y_EN: 1
; COMPUTE_PGM_RSRC2:TGID_Z_EN: 1
; COMPUTE_PGM_RSRC2:TIDIG_COMP_CNT: 1
	.section	.text._ZN12_GLOBAL__N_127rocblas_gemm_batched_kernelIdLi16ELi16ELi64ELi64ELi4ELi64ELi4ELi4ELi64ELc67ELc84EKPKdS3_KPdEEvlllT_PT11_llS8_llS6_PT12_llPT13_lli,"axG",@progbits,_ZN12_GLOBAL__N_127rocblas_gemm_batched_kernelIdLi16ELi16ELi64ELi64ELi4ELi64ELi4ELi4ELi64ELc67ELc84EKPKdS3_KPdEEvlllT_PT11_llS8_llS6_PT12_llPT13_lli,comdat
	.globl	_ZN12_GLOBAL__N_127rocblas_gemm_batched_kernelIdLi16ELi16ELi64ELi64ELi4ELi64ELi4ELi4ELi64ELc67ELc84EKPKdS3_KPdEEvlllT_PT11_llS8_llS6_PT12_llPT13_lli ; -- Begin function _ZN12_GLOBAL__N_127rocblas_gemm_batched_kernelIdLi16ELi16ELi64ELi64ELi4ELi64ELi4ELi4ELi64ELc67ELc84EKPKdS3_KPdEEvlllT_PT11_llS8_llS6_PT12_llPT13_lli
	.p2align	8
	.type	_ZN12_GLOBAL__N_127rocblas_gemm_batched_kernelIdLi16ELi16ELi64ELi64ELi4ELi64ELi4ELi4ELi64ELc67ELc84EKPKdS3_KPdEEvlllT_PT11_llS8_llS6_PT12_llPT13_lli,@function
_ZN12_GLOBAL__N_127rocblas_gemm_batched_kernelIdLi16ELi16ELi64ELi64ELi4ELi64ELi4ELi4ELi64ELc67ELc84EKPKdS3_KPdEEvlllT_PT11_llS8_llS6_PT12_llPT13_lli: ; @_ZN12_GLOBAL__N_127rocblas_gemm_batched_kernelIdLi16ELi16ELi64ELi64ELi4ELi64ELi4ELi4ELi64ELc67ELc84EKPKdS3_KPdEEvlllT_PT11_llS8_llS6_PT12_llPT13_lli
; %bb.0:
	s_load_b32 s28, s[0:1], 0x88
	s_lshr_b32 s2, ttmp7, 16
	s_wait_kmcnt 0x0
	s_cmp_ge_i32 s2, s28
	s_cbranch_scc1 .LBB211_11
; %bb.1:
	s_clause 0x1
	s_load_b256 s[20:27], s[0:1], 0x70
	s_load_b512 s[4:19], s[0:1], 0x10
	v_dual_mov_b32 v1, 0 :: v_dual_and_b32 v8, 0x3ff, v0
	v_bfe_u32 v2, v0, 10, 10
	s_load_b256 s[36:43], s[0:1], 0x50
	s_lshl_b32 s0, ttmp7, 6
	v_and_b32_e32 v12, 3, v0
	s_wait_kmcnt 0x0
	s_and_b32 s27, s0, 0x3fffc0
	v_lshl_add_u32 v3, v2, 4, v8
	v_add_nc_u32_e32 v14, s27, v2
	v_lshl_add_u32 v51, v2, 5, 0x800
	s_mov_b32 s30, ttmp9
	s_ashr_i32 s31, ttmp9, 31
	v_lshrrev_b32_e32 v15, 6, v3
	v_lshrrev_b32_e32 v0, 2, v3
	s_lshl_b64 s[0:1], s[30:31], 6
	v_lshlrev_b32_e32 v50, 3, v8
	v_add_co_u32 v8, s29, s0, v8
	v_mad_co_u64_u32 v[4:5], null, v14, s22, 0
	v_and_b32_e32 v13, 63, v3
	v_lshlrev_b32_e32 v3, 3, v12
	v_add_co_ci_u32_e64 v9, null, s1, 0, s29
	v_cmp_eq_f64_e64 s26, s[36:37], 0
	s_lshl_b64 s[30:31], s[40:41], 4
	v_lshl_or_b32 v3, v0, 5, v3
	s_mov_b32 s3, 0
	s_delay_alu instid0(VALU_DEP_1)
	v_add_nc_u32_e32 v49, 0x800, v3
	v_mad_co_u64_u32 v[2:3], null, s16, v12, v[0:1]
	v_mov_b32_e32 v0, v5
	v_lshlrev_b32_e32 v6, 3, v13
	v_or_b32_e32 v5, s0, v13
	s_mul_i32 s0, s10, s1
	s_delay_alu instid0(VALU_DEP_3) | instskip(NEXT) | instid1(VALU_DEP_3)
	v_mad_co_u64_u32 v[10:11], null, v14, s23, v[0:1]
	v_lshl_or_b32 v48, v15, 9, v6
	v_mad_co_u64_u32 v[6:7], null, v14, s40, 0
	v_mad_co_u64_u32 v[11:12], null, s17, v12, v[3:4]
	v_add_co_u32 v2, vcc_lo, v2, s27
	s_lshl_b64 s[22:23], s[22:23], 4
	v_mov_b32_e32 v0, v7
	s_wait_alu 0xfffe
	s_lshl_b64 s[22:23], s[22:23], 3
	v_add_co_ci_u32_e64 v3, null, 0, v11, vcc_lo
	s_delay_alu instid0(VALU_DEP_2) | instskip(SKIP_2) | instid1(VALU_DEP_4)
	v_mad_co_u64_u32 v[12:13], null, v14, s41, v[0:1]
	v_mul_lo_u32 v0, s11, v5
	v_mad_co_u64_u32 v[13:14], null, s10, v5, 0
	v_lshlrev_b64_e32 v[2:3], 3, v[2:3]
	v_mov_b32_e32 v5, v10
	s_lshl_b64 s[10:11], s[16:17], 5
	v_mov_b32_e32 v7, v12
	s_lshl_b64 s[16:17], s[42:43], 3
	s_delay_alu instid0(VALU_DEP_4)
	v_add3_u32 v14, v14, s0, v0
	s_lshl_b64 s[0:1], s[18:19], 3
	v_lshlrev_b64_e32 v[4:5], 3, v[4:5]
	s_wait_alu 0xfffe
	v_add_co_u32 v0, vcc_lo, s0, v2
	v_lshlrev_b64_e32 v[10:11], 3, v[13:14]
	s_wait_alu 0xfffd
	v_add_co_ci_u32_e64 v52, null, s1, v3, vcc_lo
	s_lshl_b64 s[0:1], s[12:13], 3
	v_lshlrev_b32_e32 v2, 3, v15
	s_lshl_b64 s[12:13], s[24:25], 3
	s_wait_alu 0xfffe
	v_add_co_u32 v3, vcc_lo, v10, s0
	v_cmp_gt_i64_e64 s0, s[4:5], 0
	s_wait_alu 0xfffd
	v_add_co_ci_u32_e64 v10, null, s1, v11, vcc_lo
	s_delay_alu instid0(VALU_DEP_3)
	v_add_co_u32 v53, vcc_lo, v3, v2
	v_lshlrev_b64_e32 v[2:3], 3, v[6:7]
	s_wait_alu 0xf1ff
	v_cndmask_b32_e64 v11, 0, 1, s0
	v_lshlrev_b64_e32 v[6:7], 3, v[8:9]
	s_wait_alu 0xfffd
	v_add_co_ci_u32_e64 v54, null, 0, v10, vcc_lo
	s_lshl_b64 s[18:19], s[30:31], 3
	v_cmp_ne_u32_e64 s0, 1, v11
	s_branch .LBB211_3
.LBB211_2:                              ;   in Loop: Header=BB211_3 Depth=1
	s_add_co_i32 s2, s2, 0x10000
	s_delay_alu instid0(SALU_CYCLE_1)
	s_cmp_lt_i32 s2, s28
	s_cbranch_scc0 .LBB211_11
.LBB211_3:                              ; =>This Loop Header: Depth=1
                                        ;     Child Loop BB211_5 Depth 2
	s_lshl_b64 s[24:25], s[2:3], 3
	s_delay_alu instid0(VALU_DEP_1)
	s_and_b32 vcc_lo, exec_lo, s0
	s_wait_alu 0xfffe
	s_add_nc_u64 s[30:31], s[38:39], s[24:25]
	s_add_nc_u64 s[34:35], s[20:21], s[24:25]
	s_clause 0x1
	global_load_b64 v[16:17], v1, s[30:31]
	global_load_b64 v[42:43], v1, s[34:35]
	s_cbranch_vccnz .LBB211_8
; %bb.4:                                ;   in Loop: Header=BB211_3 Depth=1
	s_add_nc_u64 s[30:31], s[14:15], s[24:25]
	s_add_nc_u64 s[24:25], s[8:9], s[24:25]
	s_clause 0x1
	global_load_b64 v[44:45], v1, s[30:31]
	global_load_b64 v[46:47], v1, s[24:25]
	v_mov_b32_e32 v8, 0
	v_mov_b32_e32 v12, 0
	v_mov_b32_e32 v18, 0
	v_mov_b32_e32 v22, 0
	v_mov_b32_e32 v26, 0
	v_mov_b32_e32 v30, 0
	v_mov_b32_e32 v34, 0
	v_dual_mov_b32 v38, 0 :: v_dual_mov_b32 v9, 0
	v_dual_mov_b32 v10, 0 :: v_dual_mov_b32 v13, 0
	v_dual_mov_b32 v14, 0 :: v_dual_mov_b32 v19, 0
	v_dual_mov_b32 v20, 0 :: v_dual_mov_b32 v23, 0
	v_dual_mov_b32 v24, 0 :: v_dual_mov_b32 v27, 0
	v_dual_mov_b32 v28, 0 :: v_dual_mov_b32 v31, 0
	v_dual_mov_b32 v32, 0 :: v_dual_mov_b32 v35, 0
	v_dual_mov_b32 v36, 0 :: v_dual_mov_b32 v39, 0
	v_dual_mov_b32 v40, 0 :: v_dual_mov_b32 v11, 0
	v_mov_b32_e32 v15, 0
	v_mov_b32_e32 v21, 0
	;; [unrolled: 1-line block ×7, first 2 shown]
	s_mov_b64 s[24:25], 0
	s_wait_loadcnt 0x1
	v_add_co_u32 v44, vcc_lo, v44, v0
	s_wait_alu 0xfffd
	v_add_co_ci_u32_e64 v45, null, v45, v52, vcc_lo
	s_wait_loadcnt 0x0
	v_add_co_u32 v46, vcc_lo, v46, v53
	s_wait_alu 0xfffd
	v_add_co_ci_u32_e64 v47, null, v47, v54, vcc_lo
.LBB211_5:                              ;   Parent Loop BB211_3 Depth=1
                                        ; =>  This Inner Loop Header: Depth=2
	flat_load_b64 v[55:56], v[46:47]
	s_wait_alu 0xfffe
	s_add_nc_u64 s[24:25], s[24:25], 4
	v_add_co_u32 v46, vcc_lo, v46, 32
	s_wait_alu 0xfffe
	v_cmp_lt_i64_e64 s1, s[24:25], s[4:5]
	s_wait_alu 0xfffd
	v_add_co_ci_u32_e64 v47, null, 0, v47, vcc_lo
	s_and_b32 vcc_lo, exec_lo, s1
	s_wait_loadcnt_dscnt 0x0
	ds_store_b64 v48, v[55:56]
	flat_load_b64 v[55:56], v[44:45]
	v_add_co_u32 v44, s1, v44, s10
	s_wait_alu 0xf1ff
	v_add_co_ci_u32_e64 v45, null, s11, v45, s1
	s_wait_loadcnt_dscnt 0x0
	ds_store_b64 v49, v[55:56]
	s_wait_dscnt 0x0
	s_barrier_signal -1
	s_barrier_wait -1
	global_inv scope:SCOPE_SE
	ds_load_b128 v[55:58], v51
	ds_load_2addr_b64 v[59:62], v50 offset1:16
	ds_load_2addr_b64 v[63:66], v50 offset0:32 offset1:48
	ds_load_b128 v[67:70], v51 offset:512
	ds_load_b128 v[71:74], v51 offset:1024
	;; [unrolled: 1-line block ×7, first 2 shown]
	s_wait_dscnt 0x8
	v_fma_f64 v[40:41], v[59:60], v[55:56], v[40:41]
	v_fma_f64 v[38:39], v[61:62], v[55:56], v[38:39]
	s_wait_dscnt 0x7
	v_fma_f64 v[36:37], v[63:64], v[55:56], v[36:37]
	v_fma_f64 v[34:35], v[65:66], v[55:56], v[34:35]
	;; [unrolled: 3-line block ×3, first 2 shown]
	v_fma_f64 v[28:29], v[63:64], v[67:68], v[28:29]
	v_fma_f64 v[26:27], v[65:66], v[67:68], v[26:27]
	s_wait_dscnt 0x5
	v_fma_f64 v[24:25], v[59:60], v[71:72], v[24:25]
	v_fma_f64 v[22:23], v[61:62], v[71:72], v[22:23]
	;; [unrolled: 1-line block ×4, first 2 shown]
	s_wait_dscnt 0x4
	v_fma_f64 v[55:56], v[59:60], v[75:76], v[14:15]
	v_fma_f64 v[59:60], v[61:62], v[75:76], v[12:13]
	v_fma_f64 v[61:62], v[63:64], v[75:76], v[10:11]
	v_fma_f64 v[63:64], v[65:66], v[75:76], v[8:9]
	ds_load_2addr_b64 v[8:11], v50 offset0:64 offset1:80
	ds_load_2addr_b64 v[12:15], v50 offset0:96 offset1:112
	s_wait_dscnt 0x1
	v_fma_f64 v[40:41], v[8:9], v[57:58], v[40:41]
	v_fma_f64 v[38:39], v[10:11], v[57:58], v[38:39]
	s_wait_dscnt 0x0
	v_fma_f64 v[36:37], v[12:13], v[57:58], v[36:37]
	v_fma_f64 v[34:35], v[14:15], v[57:58], v[34:35]
	;; [unrolled: 1-line block ×14, first 2 shown]
	ds_load_2addr_b64 v[8:11], v50 offset0:128 offset1:144
	ds_load_2addr_b64 v[12:15], v50 offset0:160 offset1:176
	s_wait_dscnt 0x1
	v_fma_f64 v[40:41], v[8:9], v[79:80], v[40:41]
	v_fma_f64 v[38:39], v[10:11], v[79:80], v[38:39]
	s_wait_dscnt 0x0
	v_fma_f64 v[36:37], v[12:13], v[79:80], v[36:37]
	v_fma_f64 v[34:35], v[14:15], v[79:80], v[34:35]
	;; [unrolled: 1-line block ×14, first 2 shown]
	ds_load_2addr_b64 v[8:11], v50 offset0:192 offset1:208
	ds_load_2addr_b64 v[55:58], v50 offset0:224 offset1:240
	s_wait_loadcnt_dscnt 0x0
	s_barrier_signal -1
	s_barrier_wait -1
	global_inv scope:SCOPE_SE
	v_fma_f64 v[40:41], v[8:9], v[81:82], v[40:41]
	v_fma_f64 v[38:39], v[10:11], v[81:82], v[38:39]
	;; [unrolled: 1-line block ×16, first 2 shown]
	s_wait_alu 0xfffe
	s_cbranch_vccnz .LBB211_5
; %bb.6:                                ;   in Loop: Header=BB211_3 Depth=1
	v_add_co_u32 v42, vcc_lo, v42, s12
	s_wait_alu 0xfffd
	v_add_co_ci_u32_e64 v43, null, s13, v43, vcc_lo
	s_and_not1_b32 vcc_lo, exec_lo, s26
	s_wait_alu 0xfffe
	s_cbranch_vccnz .LBB211_9
.LBB211_7:                              ;   in Loop: Header=BB211_3 Depth=1
	v_mul_f64_e32 v[44:45], s[6:7], v[40:41]
	v_mul_f64_e32 v[46:47], s[6:7], v[38:39]
	;; [unrolled: 1-line block ×16, first 2 shown]
	v_add_co_u32 v83, vcc_lo, v42, v4
	s_wait_alu 0xfffd
	v_add_co_ci_u32_e64 v84, null, v43, v5, vcc_lo
	s_delay_alu instid0(VALU_DEP_2) | instskip(SKIP_1) | instid1(VALU_DEP_2)
	v_add_co_u32 v87, vcc_lo, v83, s22
	s_wait_alu 0xfffd
	v_add_co_ci_u32_e64 v88, null, s23, v84, vcc_lo
	v_add_co_u32 v83, vcc_lo, v83, v6
	s_wait_alu 0xfffd
	v_add_co_ci_u32_e64 v84, null, v84, v7, vcc_lo
	;; [unrolled: 3-line block ×3, first 2 shown]
	s_clause 0x3
	flat_store_b64 v[83:84], v[44:45]
	flat_store_b64 v[83:84], v[46:47] offset:128
	flat_store_b64 v[83:84], v[55:56] offset:256
	;; [unrolled: 1-line block ×3, first 2 shown]
	v_add_co_u32 v44, vcc_lo, v87, s22
	s_wait_alu 0xfffd
	v_add_co_ci_u32_e64 v45, null, s23, v88, vcc_lo
	s_clause 0x3
	flat_store_b64 v[85:86], v[59:60]
	flat_store_b64 v[85:86], v[61:62] offset:128
	flat_store_b64 v[85:86], v[63:64] offset:256
	;; [unrolled: 1-line block ×3, first 2 shown]
	v_add_co_u32 v46, vcc_lo, v44, s22
	s_wait_alu 0xfffd
	v_add_co_ci_u32_e64 v47, null, s23, v45, vcc_lo
	v_add_co_u32 v44, vcc_lo, v44, v6
	s_wait_alu 0xfffd
	v_add_co_ci_u32_e64 v45, null, v45, v7, vcc_lo
	;; [unrolled: 3-line block ×3, first 2 shown]
	s_clause 0x7
	flat_store_b64 v[44:45], v[67:68]
	flat_store_b64 v[44:45], v[69:70] offset:128
	flat_store_b64 v[44:45], v[71:72] offset:256
	;; [unrolled: 1-line block ×3, first 2 shown]
	flat_store_b64 v[46:47], v[75:76]
	flat_store_b64 v[46:47], v[77:78] offset:128
	flat_store_b64 v[46:47], v[79:80] offset:256
	;; [unrolled: 1-line block ×3, first 2 shown]
	s_cbranch_execnz .LBB211_2
	s_branch .LBB211_10
.LBB211_8:                              ;   in Loop: Header=BB211_3 Depth=1
	v_mov_b32_e32 v40, 0
	v_mov_b32_e32 v36, 0
	;; [unrolled: 1-line block ×7, first 2 shown]
	v_dual_mov_b32 v10, 0 :: v_dual_mov_b32 v41, 0
	v_dual_mov_b32 v38, 0 :: v_dual_mov_b32 v37, 0
	;; [unrolled: 1-line block ×9, first 2 shown]
	v_mov_b32_e32 v35, 0
	v_mov_b32_e32 v31, 0
	v_mov_b32_e32 v27, 0
	v_mov_b32_e32 v23, 0
	v_mov_b32_e32 v19, 0
	v_mov_b32_e32 v13, 0
	v_mov_b32_e32 v9, 0
	s_wait_loadcnt 0x0
	v_add_co_u32 v42, vcc_lo, v42, s12
	s_wait_alu 0xfffd
	v_add_co_ci_u32_e64 v43, null, s13, v43, vcc_lo
	s_and_not1_b32 vcc_lo, exec_lo, s26
	s_wait_alu 0xfffe
	s_cbranch_vccz .LBB211_7
.LBB211_9:                              ;   in Loop: Header=BB211_3 Depth=1
.LBB211_10:                             ;   in Loop: Header=BB211_3 Depth=1
	v_add_co_u32 v16, vcc_lo, v16, s16
	s_wait_alu 0xfffd
	v_add_co_ci_u32_e64 v17, null, s17, v17, vcc_lo
	s_delay_alu instid0(VALU_DEP_2) | instskip(SKIP_1) | instid1(VALU_DEP_2)
	v_add_co_u32 v46, vcc_lo, v16, v2
	s_wait_alu 0xfffd
	v_add_co_ci_u32_e64 v47, null, v17, v3, vcc_lo
	s_delay_alu instid0(VALU_DEP_2) | instskip(SKIP_1) | instid1(VALU_DEP_2)
	v_add_co_u32 v16, vcc_lo, v46, v6
	s_wait_alu 0xfffd
	v_add_co_ci_u32_e64 v17, null, v47, v7, vcc_lo
	flat_load_b64 v[44:45], v[16:17]
	s_wait_loadcnt_dscnt 0x0
	v_mul_f64_e32 v[44:45], s[36:37], v[44:45]
	s_delay_alu instid0(VALU_DEP_1) | instskip(SKIP_3) | instid1(VALU_DEP_2)
	v_fma_f64 v[40:41], s[6:7], v[40:41], v[44:45]
	v_add_co_u32 v44, vcc_lo, v42, v4
	s_wait_alu 0xfffd
	v_add_co_ci_u32_e64 v45, null, v43, v5, vcc_lo
	v_add_co_u32 v42, vcc_lo, v44, v6
	s_wait_alu 0xfffd
	s_delay_alu instid0(VALU_DEP_2) | instskip(SKIP_4) | instid1(VALU_DEP_1)
	v_add_co_ci_u32_e64 v43, null, v45, v7, vcc_lo
	flat_store_b64 v[42:43], v[40:41]
	flat_load_b64 v[40:41], v[16:17] offset:128
	s_wait_loadcnt_dscnt 0x0
	v_mul_f64_e32 v[40:41], s[36:37], v[40:41]
	v_fma_f64 v[38:39], s[6:7], v[38:39], v[40:41]
	flat_store_b64 v[42:43], v[38:39] offset:128
	flat_load_b64 v[38:39], v[16:17] offset:256
	s_wait_loadcnt_dscnt 0x0
	v_mul_f64_e32 v[38:39], s[36:37], v[38:39]
	s_delay_alu instid0(VALU_DEP_1)
	v_fma_f64 v[36:37], s[6:7], v[36:37], v[38:39]
	flat_store_b64 v[42:43], v[36:37] offset:256
	flat_load_b64 v[16:17], v[16:17] offset:384
	v_add_co_u32 v36, vcc_lo, v46, s18
	s_wait_alu 0xfffd
	v_add_co_ci_u32_e64 v37, null, s19, v47, vcc_lo
	s_wait_loadcnt_dscnt 0x0
	v_mul_f64_e32 v[16:17], s[36:37], v[16:17]
	s_delay_alu instid0(VALU_DEP_1)
	v_fma_f64 v[16:17], s[6:7], v[34:35], v[16:17]
	v_add_co_u32 v34, vcc_lo, v36, v6
	s_wait_alu 0xfffd
	v_add_co_ci_u32_e64 v35, null, v37, v7, vcc_lo
	v_add_co_u32 v38, vcc_lo, v44, s22
	s_wait_alu 0xfffd
	v_add_co_ci_u32_e64 v39, null, s23, v45, vcc_lo
	flat_store_b64 v[42:43], v[16:17] offset:384
	flat_load_b64 v[16:17], v[34:35]
	s_wait_loadcnt_dscnt 0x0
	v_mul_f64_e32 v[16:17], s[36:37], v[16:17]
	s_delay_alu instid0(VALU_DEP_1)
	v_fma_f64 v[16:17], s[6:7], v[32:33], v[16:17]
	v_add_co_u32 v32, vcc_lo, v38, v6
	s_wait_alu 0xfffd
	v_add_co_ci_u32_e64 v33, null, v39, v7, vcc_lo
	flat_store_b64 v[32:33], v[16:17]
	flat_load_b64 v[16:17], v[34:35] offset:128
	s_wait_loadcnt_dscnt 0x0
	v_mul_f64_e32 v[16:17], s[36:37], v[16:17]
	s_delay_alu instid0(VALU_DEP_1) | instskip(SKIP_4) | instid1(VALU_DEP_1)
	v_fma_f64 v[16:17], s[6:7], v[30:31], v[16:17]
	flat_store_b64 v[32:33], v[16:17] offset:128
	flat_load_b64 v[16:17], v[34:35] offset:256
	s_wait_loadcnt_dscnt 0x0
	v_mul_f64_e32 v[16:17], s[36:37], v[16:17]
	v_fma_f64 v[16:17], s[6:7], v[28:29], v[16:17]
	v_add_co_u32 v28, vcc_lo, v36, s18
	s_wait_alu 0xfffd
	v_add_co_ci_u32_e64 v29, null, s19, v37, vcc_lo
	flat_store_b64 v[32:33], v[16:17] offset:256
	flat_load_b64 v[16:17], v[34:35] offset:384
	s_wait_loadcnt_dscnt 0x0
	v_mul_f64_e32 v[16:17], s[36:37], v[16:17]
	s_delay_alu instid0(VALU_DEP_1)
	v_fma_f64 v[16:17], s[6:7], v[26:27], v[16:17]
	v_add_co_u32 v26, vcc_lo, v28, v6
	s_wait_alu 0xfffd
	v_add_co_ci_u32_e64 v27, null, v29, v7, vcc_lo
	v_add_co_u32 v30, vcc_lo, v38, s22
	s_wait_alu 0xfffd
	v_add_co_ci_u32_e64 v31, null, s23, v39, vcc_lo
	flat_store_b64 v[32:33], v[16:17] offset:384
	flat_load_b64 v[16:17], v[26:27]
	s_wait_loadcnt_dscnt 0x0
	v_mul_f64_e32 v[16:17], s[36:37], v[16:17]
	s_delay_alu instid0(VALU_DEP_1)
	v_fma_f64 v[16:17], s[6:7], v[24:25], v[16:17]
	v_add_co_u32 v24, vcc_lo, v30, v6
	s_wait_alu 0xfffd
	v_add_co_ci_u32_e64 v25, null, v31, v7, vcc_lo
	flat_store_b64 v[24:25], v[16:17]
	flat_load_b64 v[16:17], v[26:27] offset:128
	s_wait_loadcnt_dscnt 0x0
	v_mul_f64_e32 v[16:17], s[36:37], v[16:17]
	s_delay_alu instid0(VALU_DEP_1) | instskip(SKIP_4) | instid1(VALU_DEP_1)
	v_fma_f64 v[16:17], s[6:7], v[22:23], v[16:17]
	flat_store_b64 v[24:25], v[16:17] offset:128
	flat_load_b64 v[16:17], v[26:27] offset:256
	s_wait_loadcnt_dscnt 0x0
	v_mul_f64_e32 v[16:17], s[36:37], v[16:17]
	v_fma_f64 v[16:17], s[6:7], v[20:21], v[16:17]
	flat_store_b64 v[24:25], v[16:17] offset:256
	flat_load_b64 v[16:17], v[26:27] offset:384
	s_wait_loadcnt_dscnt 0x0
	v_mul_f64_e32 v[16:17], s[36:37], v[16:17]
	s_delay_alu instid0(VALU_DEP_1) | instskip(SKIP_3) | instid1(VALU_DEP_2)
	v_fma_f64 v[16:17], s[6:7], v[18:19], v[16:17]
	v_add_co_u32 v18, vcc_lo, v28, s18
	s_wait_alu 0xfffd
	v_add_co_ci_u32_e64 v19, null, s19, v29, vcc_lo
	v_add_co_u32 v18, vcc_lo, v18, v6
	s_wait_alu 0xfffd
	s_delay_alu instid0(VALU_DEP_2) | instskip(SKIP_4) | instid1(VALU_DEP_1)
	v_add_co_ci_u32_e64 v19, null, v19, v7, vcc_lo
	flat_store_b64 v[24:25], v[16:17] offset:384
	flat_load_b64 v[16:17], v[18:19]
	s_wait_loadcnt_dscnt 0x0
	v_mul_f64_e32 v[16:17], s[36:37], v[16:17]
	v_fma_f64 v[14:15], s[6:7], v[14:15], v[16:17]
	v_add_co_u32 v16, vcc_lo, v30, s22
	s_wait_alu 0xfffd
	v_add_co_ci_u32_e64 v17, null, s23, v31, vcc_lo
	s_delay_alu instid0(VALU_DEP_2) | instskip(SKIP_1) | instid1(VALU_DEP_2)
	v_add_co_u32 v16, vcc_lo, v16, v6
	s_wait_alu 0xfffd
	v_add_co_ci_u32_e64 v17, null, v17, v7, vcc_lo
	flat_store_b64 v[16:17], v[14:15]
	flat_load_b64 v[14:15], v[18:19] offset:128
	s_wait_loadcnt_dscnt 0x0
	v_mul_f64_e32 v[14:15], s[36:37], v[14:15]
	s_delay_alu instid0(VALU_DEP_1) | instskip(SKIP_4) | instid1(VALU_DEP_1)
	v_fma_f64 v[12:13], s[6:7], v[12:13], v[14:15]
	flat_store_b64 v[16:17], v[12:13] offset:128
	flat_load_b64 v[12:13], v[18:19] offset:256
	s_wait_loadcnt_dscnt 0x0
	v_mul_f64_e32 v[12:13], s[36:37], v[12:13]
	v_fma_f64 v[10:11], s[6:7], v[10:11], v[12:13]
	flat_store_b64 v[16:17], v[10:11] offset:256
	flat_load_b64 v[10:11], v[18:19] offset:384
	s_wait_loadcnt_dscnt 0x0
	v_mul_f64_e32 v[10:11], s[36:37], v[10:11]
	s_delay_alu instid0(VALU_DEP_1)
	v_fma_f64 v[8:9], s[6:7], v[8:9], v[10:11]
	flat_store_b64 v[16:17], v[8:9] offset:384
	s_branch .LBB211_2
.LBB211_11:
	s_endpgm
	.section	.rodata,"a",@progbits
	.p2align	6, 0x0
	.amdhsa_kernel _ZN12_GLOBAL__N_127rocblas_gemm_batched_kernelIdLi16ELi16ELi64ELi64ELi4ELi64ELi4ELi4ELi64ELc67ELc84EKPKdS3_KPdEEvlllT_PT11_llS8_llS6_PT12_llPT13_lli
		.amdhsa_group_segment_fixed_size 4096
		.amdhsa_private_segment_fixed_size 0
		.amdhsa_kernarg_size 140
		.amdhsa_user_sgpr_count 2
		.amdhsa_user_sgpr_dispatch_ptr 0
		.amdhsa_user_sgpr_queue_ptr 0
		.amdhsa_user_sgpr_kernarg_segment_ptr 1
		.amdhsa_user_sgpr_dispatch_id 0
		.amdhsa_user_sgpr_private_segment_size 0
		.amdhsa_wavefront_size32 1
		.amdhsa_uses_dynamic_stack 0
		.amdhsa_enable_private_segment 0
		.amdhsa_system_sgpr_workgroup_id_x 1
		.amdhsa_system_sgpr_workgroup_id_y 1
		.amdhsa_system_sgpr_workgroup_id_z 1
		.amdhsa_system_sgpr_workgroup_info 0
		.amdhsa_system_vgpr_workitem_id 1
		.amdhsa_next_free_vgpr 95
		.amdhsa_next_free_sgpr 44
		.amdhsa_reserve_vcc 1
		.amdhsa_float_round_mode_32 0
		.amdhsa_float_round_mode_16_64 0
		.amdhsa_float_denorm_mode_32 3
		.amdhsa_float_denorm_mode_16_64 3
		.amdhsa_fp16_overflow 0
		.amdhsa_workgroup_processor_mode 1
		.amdhsa_memory_ordered 1
		.amdhsa_forward_progress 1
		.amdhsa_inst_pref_size 26
		.amdhsa_round_robin_scheduling 0
		.amdhsa_exception_fp_ieee_invalid_op 0
		.amdhsa_exception_fp_denorm_src 0
		.amdhsa_exception_fp_ieee_div_zero 0
		.amdhsa_exception_fp_ieee_overflow 0
		.amdhsa_exception_fp_ieee_underflow 0
		.amdhsa_exception_fp_ieee_inexact 0
		.amdhsa_exception_int_div_zero 0
	.end_amdhsa_kernel
	.section	.text._ZN12_GLOBAL__N_127rocblas_gemm_batched_kernelIdLi16ELi16ELi64ELi64ELi4ELi64ELi4ELi4ELi64ELc67ELc84EKPKdS3_KPdEEvlllT_PT11_llS8_llS6_PT12_llPT13_lli,"axG",@progbits,_ZN12_GLOBAL__N_127rocblas_gemm_batched_kernelIdLi16ELi16ELi64ELi64ELi4ELi64ELi4ELi4ELi64ELc67ELc84EKPKdS3_KPdEEvlllT_PT11_llS8_llS6_PT12_llPT13_lli,comdat
.Lfunc_end211:
	.size	_ZN12_GLOBAL__N_127rocblas_gemm_batched_kernelIdLi16ELi16ELi64ELi64ELi4ELi64ELi4ELi4ELi64ELc67ELc84EKPKdS3_KPdEEvlllT_PT11_llS8_llS6_PT12_llPT13_lli, .Lfunc_end211-_ZN12_GLOBAL__N_127rocblas_gemm_batched_kernelIdLi16ELi16ELi64ELi64ELi4ELi64ELi4ELi4ELi64ELc67ELc84EKPKdS3_KPdEEvlllT_PT11_llS8_llS6_PT12_llPT13_lli
                                        ; -- End function
	.set _ZN12_GLOBAL__N_127rocblas_gemm_batched_kernelIdLi16ELi16ELi64ELi64ELi4ELi64ELi4ELi4ELi64ELc67ELc84EKPKdS3_KPdEEvlllT_PT11_llS8_llS6_PT12_llPT13_lli.num_vgpr, 95
	.set _ZN12_GLOBAL__N_127rocblas_gemm_batched_kernelIdLi16ELi16ELi64ELi64ELi4ELi64ELi4ELi4ELi64ELc67ELc84EKPKdS3_KPdEEvlllT_PT11_llS8_llS6_PT12_llPT13_lli.num_agpr, 0
	.set _ZN12_GLOBAL__N_127rocblas_gemm_batched_kernelIdLi16ELi16ELi64ELi64ELi4ELi64ELi4ELi4ELi64ELc67ELc84EKPKdS3_KPdEEvlllT_PT11_llS8_llS6_PT12_llPT13_lli.numbered_sgpr, 44
	.set _ZN12_GLOBAL__N_127rocblas_gemm_batched_kernelIdLi16ELi16ELi64ELi64ELi4ELi64ELi4ELi4ELi64ELc67ELc84EKPKdS3_KPdEEvlllT_PT11_llS8_llS6_PT12_llPT13_lli.num_named_barrier, 0
	.set _ZN12_GLOBAL__N_127rocblas_gemm_batched_kernelIdLi16ELi16ELi64ELi64ELi4ELi64ELi4ELi4ELi64ELc67ELc84EKPKdS3_KPdEEvlllT_PT11_llS8_llS6_PT12_llPT13_lli.private_seg_size, 0
	.set _ZN12_GLOBAL__N_127rocblas_gemm_batched_kernelIdLi16ELi16ELi64ELi64ELi4ELi64ELi4ELi4ELi64ELc67ELc84EKPKdS3_KPdEEvlllT_PT11_llS8_llS6_PT12_llPT13_lli.uses_vcc, 1
	.set _ZN12_GLOBAL__N_127rocblas_gemm_batched_kernelIdLi16ELi16ELi64ELi64ELi4ELi64ELi4ELi4ELi64ELc67ELc84EKPKdS3_KPdEEvlllT_PT11_llS8_llS6_PT12_llPT13_lli.uses_flat_scratch, 1
	.set _ZN12_GLOBAL__N_127rocblas_gemm_batched_kernelIdLi16ELi16ELi64ELi64ELi4ELi64ELi4ELi4ELi64ELc67ELc84EKPKdS3_KPdEEvlllT_PT11_llS8_llS6_PT12_llPT13_lli.has_dyn_sized_stack, 0
	.set _ZN12_GLOBAL__N_127rocblas_gemm_batched_kernelIdLi16ELi16ELi64ELi64ELi4ELi64ELi4ELi4ELi64ELc67ELc84EKPKdS3_KPdEEvlllT_PT11_llS8_llS6_PT12_llPT13_lli.has_recursion, 0
	.set _ZN12_GLOBAL__N_127rocblas_gemm_batched_kernelIdLi16ELi16ELi64ELi64ELi4ELi64ELi4ELi4ELi64ELc67ELc84EKPKdS3_KPdEEvlllT_PT11_llS8_llS6_PT12_llPT13_lli.has_indirect_call, 0
	.section	.AMDGPU.csdata,"",@progbits
; Kernel info:
; codeLenInByte = 3324
; TotalNumSgprs: 46
; NumVgprs: 95
; ScratchSize: 0
; MemoryBound: 0
; FloatMode: 240
; IeeeMode: 1
; LDSByteSize: 4096 bytes/workgroup (compile time only)
; SGPRBlocks: 0
; VGPRBlocks: 11
; NumSGPRsForWavesPerEU: 46
; NumVGPRsForWavesPerEU: 95
; Occupancy: 16
; WaveLimiterHint : 1
; COMPUTE_PGM_RSRC2:SCRATCH_EN: 0
; COMPUTE_PGM_RSRC2:USER_SGPR: 2
; COMPUTE_PGM_RSRC2:TRAP_HANDLER: 0
; COMPUTE_PGM_RSRC2:TGID_X_EN: 1
; COMPUTE_PGM_RSRC2:TGID_Y_EN: 1
; COMPUTE_PGM_RSRC2:TGID_Z_EN: 1
; COMPUTE_PGM_RSRC2:TIDIG_COMP_CNT: 1
	.section	.text._ZN12_GLOBAL__N_127rocblas_gemm_batched_kernelIdLi16ELi16ELi64ELi64ELi4ELi64ELi4ELi4ELi64ELc78ELc67EKPKdS3_KPdEEvlllT_PT11_llS8_llS6_PT12_llPT13_lli,"axG",@progbits,_ZN12_GLOBAL__N_127rocblas_gemm_batched_kernelIdLi16ELi16ELi64ELi64ELi4ELi64ELi4ELi4ELi64ELc78ELc67EKPKdS3_KPdEEvlllT_PT11_llS8_llS6_PT12_llPT13_lli,comdat
	.globl	_ZN12_GLOBAL__N_127rocblas_gemm_batched_kernelIdLi16ELi16ELi64ELi64ELi4ELi64ELi4ELi4ELi64ELc78ELc67EKPKdS3_KPdEEvlllT_PT11_llS8_llS6_PT12_llPT13_lli ; -- Begin function _ZN12_GLOBAL__N_127rocblas_gemm_batched_kernelIdLi16ELi16ELi64ELi64ELi4ELi64ELi4ELi4ELi64ELc78ELc67EKPKdS3_KPdEEvlllT_PT11_llS8_llS6_PT12_llPT13_lli
	.p2align	8
	.type	_ZN12_GLOBAL__N_127rocblas_gemm_batched_kernelIdLi16ELi16ELi64ELi64ELi4ELi64ELi4ELi4ELi64ELc78ELc67EKPKdS3_KPdEEvlllT_PT11_llS8_llS6_PT12_llPT13_lli,@function
_ZN12_GLOBAL__N_127rocblas_gemm_batched_kernelIdLi16ELi16ELi64ELi64ELi4ELi64ELi4ELi4ELi64ELc78ELc67EKPKdS3_KPdEEvlllT_PT11_llS8_llS6_PT12_llPT13_lli: ; @_ZN12_GLOBAL__N_127rocblas_gemm_batched_kernelIdLi16ELi16ELi64ELi64ELi4ELi64ELi4ELi4ELi64ELc78ELc67EKPKdS3_KPdEEvlllT_PT11_llS8_llS6_PT12_llPT13_lli
; %bb.0:
	s_load_b32 s28, s[0:1], 0x88
	s_lshr_b32 s2, ttmp7, 16
	s_wait_kmcnt 0x0
	s_cmp_ge_i32 s2, s28
	s_cbranch_scc1 .LBB212_11
; %bb.1:
	s_clause 0x2
	s_load_b256 s[20:27], s[0:1], 0x70
	s_load_b512 s[4:19], s[0:1], 0x10
	s_load_b256 s[36:43], s[0:1], 0x50
	v_bfe_u32 v2, v0, 10, 10
	s_lshl_b32 s0, ttmp7, 6
	v_dual_mov_b32 v1, 0 :: v_dual_and_b32 v10, 0x3ff, v0
	s_and_b32 s33, s0, 0x3fffc0
	v_and_b32_e32 v14, 3, v0
	v_add_nc_u32_e32 v16, s33, v2
	s_delay_alu instid0(VALU_DEP_3)
	v_lshl_add_u32 v3, v2, 4, v10
	v_lshl_add_u32 v49, v2, 5, 0x800
	s_mov_b32 s30, ttmp9
	s_ashr_i32 s31, ttmp9, 31
	v_lshlrev_b32_e32 v48, 3, v10
	v_lshrrev_b32_e32 v0, 2, v3
	v_lshrrev_b32_e32 v18, 6, v3
	s_lshl_b64 s[0:1], s[30:31], 6
	s_mov_b32 s3, 0
	s_wait_kmcnt 0x0
	v_add_co_u32 v10, s26, s0, v10
	v_mad_co_u64_u32 v[4:5], null, v16, s22, 0
	v_and_b32_e32 v17, 63, v3
	v_mad_co_u64_u32 v[8:9], null, v16, s40, 0
	v_mad_co_u64_u32 v[12:13], null, s10, v18, s[0:1]
	v_cmp_eq_f64_e64 s29, s[36:37], 0
	s_delay_alu instid0(VALU_DEP_4)
	v_dual_mov_b32 v2, v5 :: v_dual_lshlrev_b32 v3, 3, v17
	v_add_co_ci_u32_e64 v11, null, s1, 0, s26
	s_lshl_b64 s[0:1], s[18:19], 3
	s_lshl_b64 s[26:27], s[22:23], 4
	v_lshl_or_b32 v50, v18, 9, v3
	v_mad_co_u64_u32 v[2:3], null, v16, s23, v[2:3]
	s_lshl_b64 s[22:23], s[40:41], 4
	s_lshl_b64 s[18:19], s[42:43], 3
	s_wait_alu 0xfffe
	s_lshl_b64 s[22:23], s[22:23], 3
	v_dual_mov_b32 v5, v2 :: v_dual_mov_b32 v2, v9
	s_delay_alu instid0(VALU_DEP_1) | instskip(NEXT) | instid1(VALU_DEP_2)
	v_lshlrev_b64_e32 v[4:5], 3, v[4:5]
	v_mad_co_u64_u32 v[2:3], null, v16, s41, v[2:3]
	s_delay_alu instid0(VALU_DEP_1) | instskip(NEXT) | instid1(VALU_DEP_1)
	v_dual_mov_b32 v9, v2 :: v_dual_lshlrev_b32 v6, 3, v14
	v_lshl_or_b32 v6, v0, 5, v6
	s_delay_alu instid0(VALU_DEP_1) | instskip(SKIP_1) | instid1(VALU_DEP_1)
	v_add_nc_u32_e32 v51, 0x800, v6
	v_mad_co_u64_u32 v[6:7], null, s16, v14, v[0:1]
	v_mov_b32_e32 v0, v7
	s_delay_alu instid0(VALU_DEP_2) | instskip(NEXT) | instid1(VALU_DEP_2)
	v_add_co_u32 v6, vcc_lo, v6, s33
	v_mad_co_u64_u32 v[14:15], null, s17, v14, v[0:1]
	v_mov_b32_e32 v0, v13
	s_lshl_b64 s[16:17], s[16:17], 5
	s_delay_alu instid0(VALU_DEP_2) | instskip(NEXT) | instid1(VALU_DEP_2)
	v_add_co_ci_u32_e64 v7, null, 0, v14, vcc_lo
	v_mad_co_u64_u32 v[13:14], null, s11, v18, v[0:1]
	s_lshl_b64 s[10:11], s[10:11], 5
	v_lshlrev_b64_e32 v[2:3], 3, v[6:7]
	v_add_co_u32 v6, vcc_lo, v12, v17
	s_wait_alu 0xfffd
	v_add_co_ci_u32_e64 v7, null, 0, v13, vcc_lo
	s_delay_alu instid0(VALU_DEP_3)
	v_add_co_u32 v0, vcc_lo, s0, v2
	s_wait_alu 0xfffd
	v_add_co_ci_u32_e64 v52, null, s1, v3, vcc_lo
	s_lshl_b64 s[0:1], s[12:13], 3
	v_cmp_gt_i64_e64 s12, s[4:5], 0
	v_lshlrev_b64_e32 v[2:3], 3, v[6:7]
	s_delay_alu instid0(VALU_DEP_2) | instskip(SKIP_1) | instid1(VALU_DEP_2)
	v_cndmask_b32_e64 v6, 0, 1, s12
	s_wait_alu 0xfffe
	v_add_co_u32 v53, vcc_lo, s0, v2
	s_wait_alu 0xfffd
	s_delay_alu instid0(VALU_DEP_3)
	v_add_co_ci_u32_e64 v54, null, s1, v3, vcc_lo
	v_cmp_ne_u32_e64 s0, 1, v6
	v_lshlrev_b64_e32 v[2:3], 3, v[8:9]
	v_lshlrev_b64_e32 v[6:7], 3, v[10:11]
	s_lshl_b64 s[12:13], s[24:25], 3
	s_lshl_b64 s[24:25], s[26:27], 3
	s_branch .LBB212_3
.LBB212_2:                              ;   in Loop: Header=BB212_3 Depth=1
	s_add_co_i32 s2, s2, 0x10000
	s_delay_alu instid0(SALU_CYCLE_1)
	s_cmp_lt_i32 s2, s28
	s_cbranch_scc0 .LBB212_11
.LBB212_3:                              ; =>This Loop Header: Depth=1
                                        ;     Child Loop BB212_5 Depth 2
	s_lshl_b64 s[26:27], s[2:3], 3
	s_and_b32 vcc_lo, exec_lo, s0
	s_wait_alu 0xfffe
	s_add_nc_u64 s[30:31], s[38:39], s[26:27]
	s_add_nc_u64 s[34:35], s[20:21], s[26:27]
	s_clause 0x1
	global_load_b64 v[16:17], v1, s[30:31]
	global_load_b64 v[42:43], v1, s[34:35]
	s_cbranch_vccnz .LBB212_8
; %bb.4:                                ;   in Loop: Header=BB212_3 Depth=1
	s_add_nc_u64 s[30:31], s[14:15], s[26:27]
	s_add_nc_u64 s[26:27], s[8:9], s[26:27]
	s_clause 0x1
	global_load_b64 v[44:45], v1, s[30:31]
	global_load_b64 v[46:47], v1, s[26:27]
	v_mov_b32_e32 v8, 0
	v_mov_b32_e32 v12, 0
	;; [unrolled: 1-line block ×7, first 2 shown]
	v_dual_mov_b32 v38, 0 :: v_dual_mov_b32 v9, 0
	v_dual_mov_b32 v10, 0 :: v_dual_mov_b32 v13, 0
	v_dual_mov_b32 v14, 0 :: v_dual_mov_b32 v19, 0
	v_dual_mov_b32 v20, 0 :: v_dual_mov_b32 v23, 0
	v_dual_mov_b32 v24, 0 :: v_dual_mov_b32 v27, 0
	v_dual_mov_b32 v28, 0 :: v_dual_mov_b32 v31, 0
	v_dual_mov_b32 v32, 0 :: v_dual_mov_b32 v35, 0
	v_dual_mov_b32 v36, 0 :: v_dual_mov_b32 v39, 0
	v_dual_mov_b32 v40, 0 :: v_dual_mov_b32 v11, 0
	v_mov_b32_e32 v15, 0
	v_mov_b32_e32 v21, 0
	;; [unrolled: 1-line block ×7, first 2 shown]
	s_mov_b64 s[26:27], 0
	s_wait_loadcnt 0x1
	v_add_co_u32 v44, vcc_lo, v44, v0
	s_wait_alu 0xfffd
	v_add_co_ci_u32_e64 v45, null, v45, v52, vcc_lo
	s_wait_loadcnt 0x0
	v_add_co_u32 v46, vcc_lo, v46, v53
	s_wait_alu 0xfffd
	v_add_co_ci_u32_e64 v47, null, v47, v54, vcc_lo
.LBB212_5:                              ;   Parent Loop BB212_3 Depth=1
                                        ; =>  This Inner Loop Header: Depth=2
	flat_load_b64 v[55:56], v[46:47]
	s_wait_alu 0xfffe
	s_add_nc_u64 s[26:27], s[26:27], 4
	v_add_co_u32 v46, vcc_lo, v46, s10
	s_wait_alu 0xfffe
	v_cmp_lt_i64_e64 s1, s[26:27], s[4:5]
	s_wait_alu 0xfffd
	v_add_co_ci_u32_e64 v47, null, s11, v47, vcc_lo
	s_and_b32 vcc_lo, exec_lo, s1
	s_wait_loadcnt_dscnt 0x0
	ds_store_b64 v50, v[55:56]
	flat_load_b64 v[55:56], v[44:45]
	v_add_co_u32 v44, s1, v44, s16
	s_wait_alu 0xf1ff
	v_add_co_ci_u32_e64 v45, null, s17, v45, s1
	s_wait_loadcnt_dscnt 0x0
	ds_store_b64 v51, v[55:56]
	s_wait_dscnt 0x0
	s_barrier_signal -1
	s_barrier_wait -1
	global_inv scope:SCOPE_SE
	ds_load_b128 v[55:58], v49
	ds_load_2addr_b64 v[59:62], v48 offset1:16
	ds_load_2addr_b64 v[63:66], v48 offset0:32 offset1:48
	ds_load_b128 v[67:70], v49 offset:512
	ds_load_b128 v[71:74], v49 offset:1024
	;; [unrolled: 1-line block ×7, first 2 shown]
	s_wait_dscnt 0x8
	v_fma_f64 v[40:41], v[59:60], v[55:56], v[40:41]
	v_fma_f64 v[38:39], v[61:62], v[55:56], v[38:39]
	s_wait_dscnt 0x7
	v_fma_f64 v[36:37], v[63:64], v[55:56], v[36:37]
	v_fma_f64 v[34:35], v[65:66], v[55:56], v[34:35]
	;; [unrolled: 3-line block ×3, first 2 shown]
	v_fma_f64 v[28:29], v[63:64], v[67:68], v[28:29]
	v_fma_f64 v[26:27], v[65:66], v[67:68], v[26:27]
	s_wait_dscnt 0x5
	v_fma_f64 v[24:25], v[59:60], v[71:72], v[24:25]
	v_fma_f64 v[22:23], v[61:62], v[71:72], v[22:23]
	;; [unrolled: 1-line block ×4, first 2 shown]
	s_wait_dscnt 0x4
	v_fma_f64 v[55:56], v[59:60], v[75:76], v[14:15]
	v_fma_f64 v[59:60], v[61:62], v[75:76], v[12:13]
	;; [unrolled: 1-line block ×4, first 2 shown]
	ds_load_2addr_b64 v[8:11], v48 offset0:64 offset1:80
	ds_load_2addr_b64 v[12:15], v48 offset0:96 offset1:112
	s_wait_dscnt 0x1
	v_fma_f64 v[40:41], v[8:9], v[57:58], v[40:41]
	v_fma_f64 v[38:39], v[10:11], v[57:58], v[38:39]
	s_wait_dscnt 0x0
	v_fma_f64 v[36:37], v[12:13], v[57:58], v[36:37]
	v_fma_f64 v[34:35], v[14:15], v[57:58], v[34:35]
	;; [unrolled: 1-line block ×14, first 2 shown]
	ds_load_2addr_b64 v[8:11], v48 offset0:128 offset1:144
	ds_load_2addr_b64 v[12:15], v48 offset0:160 offset1:176
	s_wait_dscnt 0x1
	v_fma_f64 v[40:41], v[8:9], v[79:80], v[40:41]
	v_fma_f64 v[38:39], v[10:11], v[79:80], v[38:39]
	s_wait_dscnt 0x0
	v_fma_f64 v[36:37], v[12:13], v[79:80], v[36:37]
	v_fma_f64 v[34:35], v[14:15], v[79:80], v[34:35]
	;; [unrolled: 1-line block ×14, first 2 shown]
	ds_load_2addr_b64 v[8:11], v48 offset0:192 offset1:208
	ds_load_2addr_b64 v[55:58], v48 offset0:224 offset1:240
	s_wait_loadcnt_dscnt 0x0
	s_barrier_signal -1
	s_barrier_wait -1
	global_inv scope:SCOPE_SE
	v_fma_f64 v[40:41], v[8:9], v[81:82], v[40:41]
	v_fma_f64 v[38:39], v[10:11], v[81:82], v[38:39]
	;; [unrolled: 1-line block ×16, first 2 shown]
	s_wait_alu 0xfffe
	s_cbranch_vccnz .LBB212_5
; %bb.6:                                ;   in Loop: Header=BB212_3 Depth=1
	v_add_co_u32 v42, vcc_lo, v42, s12
	s_wait_alu 0xfffd
	v_add_co_ci_u32_e64 v43, null, s13, v43, vcc_lo
	s_and_not1_b32 vcc_lo, exec_lo, s29
	s_wait_alu 0xfffe
	s_cbranch_vccnz .LBB212_9
.LBB212_7:                              ;   in Loop: Header=BB212_3 Depth=1
	v_mul_f64_e32 v[44:45], s[6:7], v[40:41]
	v_mul_f64_e32 v[46:47], s[6:7], v[38:39]
	;; [unrolled: 1-line block ×16, first 2 shown]
	v_add_co_u32 v83, vcc_lo, v42, v4
	s_wait_alu 0xfffd
	v_add_co_ci_u32_e64 v84, null, v43, v5, vcc_lo
	s_delay_alu instid0(VALU_DEP_2) | instskip(SKIP_1) | instid1(VALU_DEP_2)
	v_add_co_u32 v87, vcc_lo, v83, s24
	s_wait_alu 0xfffd
	v_add_co_ci_u32_e64 v88, null, s25, v84, vcc_lo
	v_add_co_u32 v83, vcc_lo, v83, v6
	s_wait_alu 0xfffd
	v_add_co_ci_u32_e64 v84, null, v84, v7, vcc_lo
	;; [unrolled: 3-line block ×3, first 2 shown]
	s_clause 0x3
	flat_store_b64 v[83:84], v[44:45]
	flat_store_b64 v[83:84], v[46:47] offset:128
	flat_store_b64 v[83:84], v[55:56] offset:256
	;; [unrolled: 1-line block ×3, first 2 shown]
	v_add_co_u32 v44, vcc_lo, v87, s24
	s_wait_alu 0xfffd
	v_add_co_ci_u32_e64 v45, null, s25, v88, vcc_lo
	s_clause 0x3
	flat_store_b64 v[85:86], v[59:60]
	flat_store_b64 v[85:86], v[61:62] offset:128
	flat_store_b64 v[85:86], v[63:64] offset:256
	;; [unrolled: 1-line block ×3, first 2 shown]
	v_add_co_u32 v46, vcc_lo, v44, s24
	s_wait_alu 0xfffd
	v_add_co_ci_u32_e64 v47, null, s25, v45, vcc_lo
	v_add_co_u32 v44, vcc_lo, v44, v6
	s_wait_alu 0xfffd
	v_add_co_ci_u32_e64 v45, null, v45, v7, vcc_lo
	;; [unrolled: 3-line block ×3, first 2 shown]
	s_clause 0x7
	flat_store_b64 v[44:45], v[67:68]
	flat_store_b64 v[44:45], v[69:70] offset:128
	flat_store_b64 v[44:45], v[71:72] offset:256
	;; [unrolled: 1-line block ×3, first 2 shown]
	flat_store_b64 v[46:47], v[75:76]
	flat_store_b64 v[46:47], v[77:78] offset:128
	flat_store_b64 v[46:47], v[79:80] offset:256
	flat_store_b64 v[46:47], v[81:82] offset:384
	s_cbranch_execnz .LBB212_2
	s_branch .LBB212_10
.LBB212_8:                              ;   in Loop: Header=BB212_3 Depth=1
	v_mov_b32_e32 v40, 0
	v_mov_b32_e32 v36, 0
	v_mov_b32_e32 v32, 0
	v_mov_b32_e32 v28, 0
	v_mov_b32_e32 v24, 0
	v_mov_b32_e32 v20, 0
	v_mov_b32_e32 v14, 0
	v_dual_mov_b32 v10, 0 :: v_dual_mov_b32 v41, 0
	v_dual_mov_b32 v38, 0 :: v_dual_mov_b32 v37, 0
	;; [unrolled: 1-line block ×9, first 2 shown]
	v_mov_b32_e32 v35, 0
	v_mov_b32_e32 v31, 0
	;; [unrolled: 1-line block ×7, first 2 shown]
	s_wait_loadcnt 0x0
	v_add_co_u32 v42, vcc_lo, v42, s12
	s_wait_alu 0xfffd
	v_add_co_ci_u32_e64 v43, null, s13, v43, vcc_lo
	s_and_not1_b32 vcc_lo, exec_lo, s29
	s_wait_alu 0xfffe
	s_cbranch_vccz .LBB212_7
.LBB212_9:                              ;   in Loop: Header=BB212_3 Depth=1
.LBB212_10:                             ;   in Loop: Header=BB212_3 Depth=1
	v_add_co_u32 v16, vcc_lo, v16, s18
	s_wait_alu 0xfffd
	v_add_co_ci_u32_e64 v17, null, s19, v17, vcc_lo
	s_delay_alu instid0(VALU_DEP_2) | instskip(SKIP_1) | instid1(VALU_DEP_2)
	v_add_co_u32 v46, vcc_lo, v16, v2
	s_wait_alu 0xfffd
	v_add_co_ci_u32_e64 v47, null, v17, v3, vcc_lo
	s_delay_alu instid0(VALU_DEP_2) | instskip(SKIP_1) | instid1(VALU_DEP_2)
	v_add_co_u32 v16, vcc_lo, v46, v6
	s_wait_alu 0xfffd
	v_add_co_ci_u32_e64 v17, null, v47, v7, vcc_lo
	flat_load_b64 v[44:45], v[16:17]
	s_wait_loadcnt_dscnt 0x0
	v_mul_f64_e32 v[44:45], s[36:37], v[44:45]
	s_delay_alu instid0(VALU_DEP_1) | instskip(SKIP_3) | instid1(VALU_DEP_2)
	v_fma_f64 v[40:41], s[6:7], v[40:41], v[44:45]
	v_add_co_u32 v44, vcc_lo, v42, v4
	s_wait_alu 0xfffd
	v_add_co_ci_u32_e64 v45, null, v43, v5, vcc_lo
	v_add_co_u32 v42, vcc_lo, v44, v6
	s_wait_alu 0xfffd
	s_delay_alu instid0(VALU_DEP_2) | instskip(SKIP_4) | instid1(VALU_DEP_1)
	v_add_co_ci_u32_e64 v43, null, v45, v7, vcc_lo
	flat_store_b64 v[42:43], v[40:41]
	flat_load_b64 v[40:41], v[16:17] offset:128
	s_wait_loadcnt_dscnt 0x0
	v_mul_f64_e32 v[40:41], s[36:37], v[40:41]
	v_fma_f64 v[38:39], s[6:7], v[38:39], v[40:41]
	flat_store_b64 v[42:43], v[38:39] offset:128
	flat_load_b64 v[38:39], v[16:17] offset:256
	s_wait_loadcnt_dscnt 0x0
	v_mul_f64_e32 v[38:39], s[36:37], v[38:39]
	s_delay_alu instid0(VALU_DEP_1)
	v_fma_f64 v[36:37], s[6:7], v[36:37], v[38:39]
	flat_store_b64 v[42:43], v[36:37] offset:256
	flat_load_b64 v[16:17], v[16:17] offset:384
	v_add_co_u32 v36, vcc_lo, v46, s22
	s_wait_alu 0xfffd
	v_add_co_ci_u32_e64 v37, null, s23, v47, vcc_lo
	s_wait_loadcnt_dscnt 0x0
	v_mul_f64_e32 v[16:17], s[36:37], v[16:17]
	s_delay_alu instid0(VALU_DEP_1)
	v_fma_f64 v[16:17], s[6:7], v[34:35], v[16:17]
	v_add_co_u32 v34, vcc_lo, v36, v6
	s_wait_alu 0xfffd
	v_add_co_ci_u32_e64 v35, null, v37, v7, vcc_lo
	v_add_co_u32 v38, vcc_lo, v44, s24
	s_wait_alu 0xfffd
	v_add_co_ci_u32_e64 v39, null, s25, v45, vcc_lo
	flat_store_b64 v[42:43], v[16:17] offset:384
	flat_load_b64 v[16:17], v[34:35]
	s_wait_loadcnt_dscnt 0x0
	v_mul_f64_e32 v[16:17], s[36:37], v[16:17]
	s_delay_alu instid0(VALU_DEP_1)
	v_fma_f64 v[16:17], s[6:7], v[32:33], v[16:17]
	v_add_co_u32 v32, vcc_lo, v38, v6
	s_wait_alu 0xfffd
	v_add_co_ci_u32_e64 v33, null, v39, v7, vcc_lo
	flat_store_b64 v[32:33], v[16:17]
	flat_load_b64 v[16:17], v[34:35] offset:128
	s_wait_loadcnt_dscnt 0x0
	v_mul_f64_e32 v[16:17], s[36:37], v[16:17]
	s_delay_alu instid0(VALU_DEP_1) | instskip(SKIP_4) | instid1(VALU_DEP_1)
	v_fma_f64 v[16:17], s[6:7], v[30:31], v[16:17]
	flat_store_b64 v[32:33], v[16:17] offset:128
	flat_load_b64 v[16:17], v[34:35] offset:256
	s_wait_loadcnt_dscnt 0x0
	v_mul_f64_e32 v[16:17], s[36:37], v[16:17]
	v_fma_f64 v[16:17], s[6:7], v[28:29], v[16:17]
	v_add_co_u32 v28, vcc_lo, v36, s22
	s_wait_alu 0xfffd
	v_add_co_ci_u32_e64 v29, null, s23, v37, vcc_lo
	flat_store_b64 v[32:33], v[16:17] offset:256
	flat_load_b64 v[16:17], v[34:35] offset:384
	s_wait_loadcnt_dscnt 0x0
	v_mul_f64_e32 v[16:17], s[36:37], v[16:17]
	s_delay_alu instid0(VALU_DEP_1)
	v_fma_f64 v[16:17], s[6:7], v[26:27], v[16:17]
	v_add_co_u32 v26, vcc_lo, v28, v6
	s_wait_alu 0xfffd
	v_add_co_ci_u32_e64 v27, null, v29, v7, vcc_lo
	v_add_co_u32 v30, vcc_lo, v38, s24
	s_wait_alu 0xfffd
	v_add_co_ci_u32_e64 v31, null, s25, v39, vcc_lo
	flat_store_b64 v[32:33], v[16:17] offset:384
	flat_load_b64 v[16:17], v[26:27]
	s_wait_loadcnt_dscnt 0x0
	v_mul_f64_e32 v[16:17], s[36:37], v[16:17]
	s_delay_alu instid0(VALU_DEP_1)
	v_fma_f64 v[16:17], s[6:7], v[24:25], v[16:17]
	v_add_co_u32 v24, vcc_lo, v30, v6
	s_wait_alu 0xfffd
	v_add_co_ci_u32_e64 v25, null, v31, v7, vcc_lo
	flat_store_b64 v[24:25], v[16:17]
	flat_load_b64 v[16:17], v[26:27] offset:128
	s_wait_loadcnt_dscnt 0x0
	v_mul_f64_e32 v[16:17], s[36:37], v[16:17]
	s_delay_alu instid0(VALU_DEP_1) | instskip(SKIP_4) | instid1(VALU_DEP_1)
	v_fma_f64 v[16:17], s[6:7], v[22:23], v[16:17]
	flat_store_b64 v[24:25], v[16:17] offset:128
	flat_load_b64 v[16:17], v[26:27] offset:256
	s_wait_loadcnt_dscnt 0x0
	v_mul_f64_e32 v[16:17], s[36:37], v[16:17]
	v_fma_f64 v[16:17], s[6:7], v[20:21], v[16:17]
	flat_store_b64 v[24:25], v[16:17] offset:256
	flat_load_b64 v[16:17], v[26:27] offset:384
	s_wait_loadcnt_dscnt 0x0
	v_mul_f64_e32 v[16:17], s[36:37], v[16:17]
	s_delay_alu instid0(VALU_DEP_1) | instskip(SKIP_3) | instid1(VALU_DEP_2)
	v_fma_f64 v[16:17], s[6:7], v[18:19], v[16:17]
	v_add_co_u32 v18, vcc_lo, v28, s22
	s_wait_alu 0xfffd
	v_add_co_ci_u32_e64 v19, null, s23, v29, vcc_lo
	v_add_co_u32 v18, vcc_lo, v18, v6
	s_wait_alu 0xfffd
	s_delay_alu instid0(VALU_DEP_2) | instskip(SKIP_4) | instid1(VALU_DEP_1)
	v_add_co_ci_u32_e64 v19, null, v19, v7, vcc_lo
	flat_store_b64 v[24:25], v[16:17] offset:384
	flat_load_b64 v[16:17], v[18:19]
	s_wait_loadcnt_dscnt 0x0
	v_mul_f64_e32 v[16:17], s[36:37], v[16:17]
	v_fma_f64 v[14:15], s[6:7], v[14:15], v[16:17]
	v_add_co_u32 v16, vcc_lo, v30, s24
	s_wait_alu 0xfffd
	v_add_co_ci_u32_e64 v17, null, s25, v31, vcc_lo
	s_delay_alu instid0(VALU_DEP_2) | instskip(SKIP_1) | instid1(VALU_DEP_2)
	v_add_co_u32 v16, vcc_lo, v16, v6
	s_wait_alu 0xfffd
	v_add_co_ci_u32_e64 v17, null, v17, v7, vcc_lo
	flat_store_b64 v[16:17], v[14:15]
	flat_load_b64 v[14:15], v[18:19] offset:128
	s_wait_loadcnt_dscnt 0x0
	v_mul_f64_e32 v[14:15], s[36:37], v[14:15]
	s_delay_alu instid0(VALU_DEP_1) | instskip(SKIP_4) | instid1(VALU_DEP_1)
	v_fma_f64 v[12:13], s[6:7], v[12:13], v[14:15]
	flat_store_b64 v[16:17], v[12:13] offset:128
	flat_load_b64 v[12:13], v[18:19] offset:256
	s_wait_loadcnt_dscnt 0x0
	v_mul_f64_e32 v[12:13], s[36:37], v[12:13]
	v_fma_f64 v[10:11], s[6:7], v[10:11], v[12:13]
	flat_store_b64 v[16:17], v[10:11] offset:256
	flat_load_b64 v[10:11], v[18:19] offset:384
	s_wait_loadcnt_dscnt 0x0
	v_mul_f64_e32 v[10:11], s[36:37], v[10:11]
	s_delay_alu instid0(VALU_DEP_1)
	v_fma_f64 v[8:9], s[6:7], v[8:9], v[10:11]
	flat_store_b64 v[16:17], v[8:9] offset:384
	s_branch .LBB212_2
.LBB212_11:
	s_endpgm
	.section	.rodata,"a",@progbits
	.p2align	6, 0x0
	.amdhsa_kernel _ZN12_GLOBAL__N_127rocblas_gemm_batched_kernelIdLi16ELi16ELi64ELi64ELi4ELi64ELi4ELi4ELi64ELc78ELc67EKPKdS3_KPdEEvlllT_PT11_llS8_llS6_PT12_llPT13_lli
		.amdhsa_group_segment_fixed_size 4096
		.amdhsa_private_segment_fixed_size 0
		.amdhsa_kernarg_size 140
		.amdhsa_user_sgpr_count 2
		.amdhsa_user_sgpr_dispatch_ptr 0
		.amdhsa_user_sgpr_queue_ptr 0
		.amdhsa_user_sgpr_kernarg_segment_ptr 1
		.amdhsa_user_sgpr_dispatch_id 0
		.amdhsa_user_sgpr_private_segment_size 0
		.amdhsa_wavefront_size32 1
		.amdhsa_uses_dynamic_stack 0
		.amdhsa_enable_private_segment 0
		.amdhsa_system_sgpr_workgroup_id_x 1
		.amdhsa_system_sgpr_workgroup_id_y 1
		.amdhsa_system_sgpr_workgroup_id_z 1
		.amdhsa_system_sgpr_workgroup_info 0
		.amdhsa_system_vgpr_workitem_id 1
		.amdhsa_next_free_vgpr 95
		.amdhsa_next_free_sgpr 44
		.amdhsa_reserve_vcc 1
		.amdhsa_float_round_mode_32 0
		.amdhsa_float_round_mode_16_64 0
		.amdhsa_float_denorm_mode_32 3
		.amdhsa_float_denorm_mode_16_64 3
		.amdhsa_fp16_overflow 0
		.amdhsa_workgroup_processor_mode 1
		.amdhsa_memory_ordered 1
		.amdhsa_forward_progress 1
		.amdhsa_inst_pref_size 26
		.amdhsa_round_robin_scheduling 0
		.amdhsa_exception_fp_ieee_invalid_op 0
		.amdhsa_exception_fp_denorm_src 0
		.amdhsa_exception_fp_ieee_div_zero 0
		.amdhsa_exception_fp_ieee_overflow 0
		.amdhsa_exception_fp_ieee_underflow 0
		.amdhsa_exception_fp_ieee_inexact 0
		.amdhsa_exception_int_div_zero 0
	.end_amdhsa_kernel
	.section	.text._ZN12_GLOBAL__N_127rocblas_gemm_batched_kernelIdLi16ELi16ELi64ELi64ELi4ELi64ELi4ELi4ELi64ELc78ELc67EKPKdS3_KPdEEvlllT_PT11_llS8_llS6_PT12_llPT13_lli,"axG",@progbits,_ZN12_GLOBAL__N_127rocblas_gemm_batched_kernelIdLi16ELi16ELi64ELi64ELi4ELi64ELi4ELi4ELi64ELc78ELc67EKPKdS3_KPdEEvlllT_PT11_llS8_llS6_PT12_llPT13_lli,comdat
.Lfunc_end212:
	.size	_ZN12_GLOBAL__N_127rocblas_gemm_batched_kernelIdLi16ELi16ELi64ELi64ELi4ELi64ELi4ELi4ELi64ELc78ELc67EKPKdS3_KPdEEvlllT_PT11_llS8_llS6_PT12_llPT13_lli, .Lfunc_end212-_ZN12_GLOBAL__N_127rocblas_gemm_batched_kernelIdLi16ELi16ELi64ELi64ELi4ELi64ELi4ELi4ELi64ELc78ELc67EKPKdS3_KPdEEvlllT_PT11_llS8_llS6_PT12_llPT13_lli
                                        ; -- End function
	.set _ZN12_GLOBAL__N_127rocblas_gemm_batched_kernelIdLi16ELi16ELi64ELi64ELi4ELi64ELi4ELi4ELi64ELc78ELc67EKPKdS3_KPdEEvlllT_PT11_llS8_llS6_PT12_llPT13_lli.num_vgpr, 95
	.set _ZN12_GLOBAL__N_127rocblas_gemm_batched_kernelIdLi16ELi16ELi64ELi64ELi4ELi64ELi4ELi4ELi64ELc78ELc67EKPKdS3_KPdEEvlllT_PT11_llS8_llS6_PT12_llPT13_lli.num_agpr, 0
	.set _ZN12_GLOBAL__N_127rocblas_gemm_batched_kernelIdLi16ELi16ELi64ELi64ELi4ELi64ELi4ELi4ELi64ELc78ELc67EKPKdS3_KPdEEvlllT_PT11_llS8_llS6_PT12_llPT13_lli.numbered_sgpr, 44
	.set _ZN12_GLOBAL__N_127rocblas_gemm_batched_kernelIdLi16ELi16ELi64ELi64ELi4ELi64ELi4ELi4ELi64ELc78ELc67EKPKdS3_KPdEEvlllT_PT11_llS8_llS6_PT12_llPT13_lli.num_named_barrier, 0
	.set _ZN12_GLOBAL__N_127rocblas_gemm_batched_kernelIdLi16ELi16ELi64ELi64ELi4ELi64ELi4ELi4ELi64ELc78ELc67EKPKdS3_KPdEEvlllT_PT11_llS8_llS6_PT12_llPT13_lli.private_seg_size, 0
	.set _ZN12_GLOBAL__N_127rocblas_gemm_batched_kernelIdLi16ELi16ELi64ELi64ELi4ELi64ELi4ELi4ELi64ELc78ELc67EKPKdS3_KPdEEvlllT_PT11_llS8_llS6_PT12_llPT13_lli.uses_vcc, 1
	.set _ZN12_GLOBAL__N_127rocblas_gemm_batched_kernelIdLi16ELi16ELi64ELi64ELi4ELi64ELi4ELi4ELi64ELc78ELc67EKPKdS3_KPdEEvlllT_PT11_llS8_llS6_PT12_llPT13_lli.uses_flat_scratch, 1
	.set _ZN12_GLOBAL__N_127rocblas_gemm_batched_kernelIdLi16ELi16ELi64ELi64ELi4ELi64ELi4ELi4ELi64ELc78ELc67EKPKdS3_KPdEEvlllT_PT11_llS8_llS6_PT12_llPT13_lli.has_dyn_sized_stack, 0
	.set _ZN12_GLOBAL__N_127rocblas_gemm_batched_kernelIdLi16ELi16ELi64ELi64ELi4ELi64ELi4ELi4ELi64ELc78ELc67EKPKdS3_KPdEEvlllT_PT11_llS8_llS6_PT12_llPT13_lli.has_recursion, 0
	.set _ZN12_GLOBAL__N_127rocblas_gemm_batched_kernelIdLi16ELi16ELi64ELi64ELi4ELi64ELi4ELi4ELi64ELc78ELc67EKPKdS3_KPdEEvlllT_PT11_llS8_llS6_PT12_llPT13_lli.has_indirect_call, 0
	.section	.AMDGPU.csdata,"",@progbits
; Kernel info:
; codeLenInByte = 3324
; TotalNumSgprs: 46
; NumVgprs: 95
; ScratchSize: 0
; MemoryBound: 0
; FloatMode: 240
; IeeeMode: 1
; LDSByteSize: 4096 bytes/workgroup (compile time only)
; SGPRBlocks: 0
; VGPRBlocks: 11
; NumSGPRsForWavesPerEU: 46
; NumVGPRsForWavesPerEU: 95
; Occupancy: 16
; WaveLimiterHint : 1
; COMPUTE_PGM_RSRC2:SCRATCH_EN: 0
; COMPUTE_PGM_RSRC2:USER_SGPR: 2
; COMPUTE_PGM_RSRC2:TRAP_HANDLER: 0
; COMPUTE_PGM_RSRC2:TGID_X_EN: 1
; COMPUTE_PGM_RSRC2:TGID_Y_EN: 1
; COMPUTE_PGM_RSRC2:TGID_Z_EN: 1
; COMPUTE_PGM_RSRC2:TIDIG_COMP_CNT: 1
	.section	.text._ZN12_GLOBAL__N_127rocblas_gemm_batched_kernelIdLi16ELi16ELi64ELi64ELi4ELi64ELi4ELi4ELi64ELc84ELc67EKPKdS3_KPdEEvlllT_PT11_llS8_llS6_PT12_llPT13_lli,"axG",@progbits,_ZN12_GLOBAL__N_127rocblas_gemm_batched_kernelIdLi16ELi16ELi64ELi64ELi4ELi64ELi4ELi4ELi64ELc84ELc67EKPKdS3_KPdEEvlllT_PT11_llS8_llS6_PT12_llPT13_lli,comdat
	.globl	_ZN12_GLOBAL__N_127rocblas_gemm_batched_kernelIdLi16ELi16ELi64ELi64ELi4ELi64ELi4ELi4ELi64ELc84ELc67EKPKdS3_KPdEEvlllT_PT11_llS8_llS6_PT12_llPT13_lli ; -- Begin function _ZN12_GLOBAL__N_127rocblas_gemm_batched_kernelIdLi16ELi16ELi64ELi64ELi4ELi64ELi4ELi4ELi64ELc84ELc67EKPKdS3_KPdEEvlllT_PT11_llS8_llS6_PT12_llPT13_lli
	.p2align	8
	.type	_ZN12_GLOBAL__N_127rocblas_gemm_batched_kernelIdLi16ELi16ELi64ELi64ELi4ELi64ELi4ELi4ELi64ELc84ELc67EKPKdS3_KPdEEvlllT_PT11_llS8_llS6_PT12_llPT13_lli,@function
_ZN12_GLOBAL__N_127rocblas_gemm_batched_kernelIdLi16ELi16ELi64ELi64ELi4ELi64ELi4ELi4ELi64ELc84ELc67EKPKdS3_KPdEEvlllT_PT11_llS8_llS6_PT12_llPT13_lli: ; @_ZN12_GLOBAL__N_127rocblas_gemm_batched_kernelIdLi16ELi16ELi64ELi64ELi4ELi64ELi4ELi4ELi64ELc84ELc67EKPKdS3_KPdEEvlllT_PT11_llS8_llS6_PT12_llPT13_lli
; %bb.0:
	s_load_b32 s28, s[0:1], 0x88
	s_lshr_b32 s2, ttmp7, 16
	s_wait_kmcnt 0x0
	s_cmp_ge_i32 s2, s28
	s_cbranch_scc1 .LBB213_11
; %bb.1:
	s_clause 0x1
	s_load_b256 s[20:27], s[0:1], 0x70
	s_load_b512 s[4:19], s[0:1], 0x10
	v_dual_mov_b32 v1, 0 :: v_dual_and_b32 v8, 0x3ff, v0
	v_bfe_u32 v2, v0, 10, 10
	s_load_b256 s[36:43], s[0:1], 0x50
	s_lshl_b32 s0, ttmp7, 6
	v_and_b32_e32 v12, 3, v0
	s_wait_kmcnt 0x0
	s_and_b32 s27, s0, 0x3fffc0
	v_lshl_add_u32 v3, v2, 4, v8
	v_add_nc_u32_e32 v14, s27, v2
	v_lshl_add_u32 v51, v2, 5, 0x800
	s_mov_b32 s30, ttmp9
	s_ashr_i32 s31, ttmp9, 31
	v_lshrrev_b32_e32 v15, 6, v3
	v_lshrrev_b32_e32 v0, 2, v3
	s_lshl_b64 s[0:1], s[30:31], 6
	v_lshlrev_b32_e32 v50, 3, v8
	v_add_co_u32 v8, s29, s0, v8
	v_mad_co_u64_u32 v[4:5], null, v14, s22, 0
	v_and_b32_e32 v13, 63, v3
	v_lshlrev_b32_e32 v3, 3, v12
	v_add_co_ci_u32_e64 v9, null, s1, 0, s29
	v_cmp_eq_f64_e64 s26, s[36:37], 0
	s_lshl_b64 s[30:31], s[40:41], 4
	v_lshl_or_b32 v3, v0, 5, v3
	s_mov_b32 s3, 0
	s_delay_alu instid0(VALU_DEP_1)
	v_add_nc_u32_e32 v49, 0x800, v3
	v_mad_co_u64_u32 v[2:3], null, s16, v12, v[0:1]
	v_mov_b32_e32 v0, v5
	v_lshlrev_b32_e32 v6, 3, v13
	v_or_b32_e32 v5, s0, v13
	s_mul_i32 s0, s10, s1
	s_delay_alu instid0(VALU_DEP_3) | instskip(NEXT) | instid1(VALU_DEP_3)
	v_mad_co_u64_u32 v[10:11], null, v14, s23, v[0:1]
	v_lshl_or_b32 v48, v15, 9, v6
	v_mad_co_u64_u32 v[6:7], null, v14, s40, 0
	v_mad_co_u64_u32 v[11:12], null, s17, v12, v[3:4]
	v_add_co_u32 v2, vcc_lo, v2, s27
	s_lshl_b64 s[22:23], s[22:23], 4
	v_mov_b32_e32 v0, v7
	s_wait_alu 0xfffe
	s_lshl_b64 s[22:23], s[22:23], 3
	v_add_co_ci_u32_e64 v3, null, 0, v11, vcc_lo
	s_delay_alu instid0(VALU_DEP_2) | instskip(SKIP_2) | instid1(VALU_DEP_4)
	v_mad_co_u64_u32 v[12:13], null, v14, s41, v[0:1]
	v_mul_lo_u32 v0, s11, v5
	v_mad_co_u64_u32 v[13:14], null, s10, v5, 0
	v_lshlrev_b64_e32 v[2:3], 3, v[2:3]
	v_mov_b32_e32 v5, v10
	s_lshl_b64 s[10:11], s[16:17], 5
	v_mov_b32_e32 v7, v12
	s_lshl_b64 s[16:17], s[42:43], 3
	s_delay_alu instid0(VALU_DEP_4)
	v_add3_u32 v14, v14, s0, v0
	s_lshl_b64 s[0:1], s[18:19], 3
	v_lshlrev_b64_e32 v[4:5], 3, v[4:5]
	s_wait_alu 0xfffe
	v_add_co_u32 v0, vcc_lo, s0, v2
	v_lshlrev_b64_e32 v[10:11], 3, v[13:14]
	s_wait_alu 0xfffd
	v_add_co_ci_u32_e64 v52, null, s1, v3, vcc_lo
	s_lshl_b64 s[0:1], s[12:13], 3
	v_lshlrev_b32_e32 v2, 3, v15
	s_lshl_b64 s[12:13], s[24:25], 3
	s_wait_alu 0xfffe
	v_add_co_u32 v3, vcc_lo, v10, s0
	v_cmp_gt_i64_e64 s0, s[4:5], 0
	s_wait_alu 0xfffd
	v_add_co_ci_u32_e64 v10, null, s1, v11, vcc_lo
	s_delay_alu instid0(VALU_DEP_3)
	v_add_co_u32 v53, vcc_lo, v3, v2
	v_lshlrev_b64_e32 v[2:3], 3, v[6:7]
	s_wait_alu 0xf1ff
	v_cndmask_b32_e64 v11, 0, 1, s0
	v_lshlrev_b64_e32 v[6:7], 3, v[8:9]
	s_wait_alu 0xfffd
	v_add_co_ci_u32_e64 v54, null, 0, v10, vcc_lo
	s_lshl_b64 s[18:19], s[30:31], 3
	v_cmp_ne_u32_e64 s0, 1, v11
	s_branch .LBB213_3
.LBB213_2:                              ;   in Loop: Header=BB213_3 Depth=1
	s_add_co_i32 s2, s2, 0x10000
	s_delay_alu instid0(SALU_CYCLE_1)
	s_cmp_lt_i32 s2, s28
	s_cbranch_scc0 .LBB213_11
.LBB213_3:                              ; =>This Loop Header: Depth=1
                                        ;     Child Loop BB213_5 Depth 2
	s_lshl_b64 s[24:25], s[2:3], 3
	s_delay_alu instid0(VALU_DEP_1)
	s_and_b32 vcc_lo, exec_lo, s0
	s_wait_alu 0xfffe
	s_add_nc_u64 s[30:31], s[38:39], s[24:25]
	s_add_nc_u64 s[34:35], s[20:21], s[24:25]
	s_clause 0x1
	global_load_b64 v[16:17], v1, s[30:31]
	global_load_b64 v[42:43], v1, s[34:35]
	s_cbranch_vccnz .LBB213_8
; %bb.4:                                ;   in Loop: Header=BB213_3 Depth=1
	s_add_nc_u64 s[30:31], s[14:15], s[24:25]
	s_add_nc_u64 s[24:25], s[8:9], s[24:25]
	s_clause 0x1
	global_load_b64 v[44:45], v1, s[30:31]
	global_load_b64 v[46:47], v1, s[24:25]
	v_mov_b32_e32 v8, 0
	v_mov_b32_e32 v12, 0
	;; [unrolled: 1-line block ×7, first 2 shown]
	v_dual_mov_b32 v38, 0 :: v_dual_mov_b32 v9, 0
	v_dual_mov_b32 v10, 0 :: v_dual_mov_b32 v13, 0
	;; [unrolled: 1-line block ×9, first 2 shown]
	v_mov_b32_e32 v15, 0
	v_mov_b32_e32 v21, 0
	v_mov_b32_e32 v25, 0
	v_mov_b32_e32 v29, 0
	v_mov_b32_e32 v33, 0
	v_mov_b32_e32 v37, 0
	v_mov_b32_e32 v41, 0
	s_mov_b64 s[24:25], 0
	s_wait_loadcnt 0x1
	v_add_co_u32 v44, vcc_lo, v44, v0
	s_wait_alu 0xfffd
	v_add_co_ci_u32_e64 v45, null, v45, v52, vcc_lo
	s_wait_loadcnt 0x0
	v_add_co_u32 v46, vcc_lo, v46, v53
	s_wait_alu 0xfffd
	v_add_co_ci_u32_e64 v47, null, v47, v54, vcc_lo
.LBB213_5:                              ;   Parent Loop BB213_3 Depth=1
                                        ; =>  This Inner Loop Header: Depth=2
	flat_load_b64 v[55:56], v[46:47]
	s_wait_alu 0xfffe
	s_add_nc_u64 s[24:25], s[24:25], 4
	v_add_co_u32 v46, vcc_lo, v46, 32
	s_wait_alu 0xfffe
	v_cmp_lt_i64_e64 s1, s[24:25], s[4:5]
	s_wait_alu 0xfffd
	v_add_co_ci_u32_e64 v47, null, 0, v47, vcc_lo
	s_and_b32 vcc_lo, exec_lo, s1
	s_wait_loadcnt_dscnt 0x0
	ds_store_b64 v48, v[55:56]
	flat_load_b64 v[55:56], v[44:45]
	v_add_co_u32 v44, s1, v44, s10
	s_wait_alu 0xf1ff
	v_add_co_ci_u32_e64 v45, null, s11, v45, s1
	s_wait_loadcnt_dscnt 0x0
	ds_store_b64 v49, v[55:56]
	s_wait_dscnt 0x0
	s_barrier_signal -1
	s_barrier_wait -1
	global_inv scope:SCOPE_SE
	ds_load_b128 v[55:58], v51
	ds_load_2addr_b64 v[59:62], v50 offset1:16
	ds_load_2addr_b64 v[63:66], v50 offset0:32 offset1:48
	ds_load_b128 v[67:70], v51 offset:512
	ds_load_b128 v[71:74], v51 offset:1024
	;; [unrolled: 1-line block ×7, first 2 shown]
	s_wait_dscnt 0x8
	v_fma_f64 v[40:41], v[59:60], v[55:56], v[40:41]
	v_fma_f64 v[38:39], v[61:62], v[55:56], v[38:39]
	s_wait_dscnt 0x7
	v_fma_f64 v[36:37], v[63:64], v[55:56], v[36:37]
	v_fma_f64 v[34:35], v[65:66], v[55:56], v[34:35]
	;; [unrolled: 3-line block ×3, first 2 shown]
	v_fma_f64 v[28:29], v[63:64], v[67:68], v[28:29]
	v_fma_f64 v[26:27], v[65:66], v[67:68], v[26:27]
	s_wait_dscnt 0x5
	v_fma_f64 v[24:25], v[59:60], v[71:72], v[24:25]
	v_fma_f64 v[22:23], v[61:62], v[71:72], v[22:23]
	v_fma_f64 v[20:21], v[63:64], v[71:72], v[20:21]
	v_fma_f64 v[18:19], v[65:66], v[71:72], v[18:19]
	s_wait_dscnt 0x4
	v_fma_f64 v[55:56], v[59:60], v[75:76], v[14:15]
	v_fma_f64 v[59:60], v[61:62], v[75:76], v[12:13]
	;; [unrolled: 1-line block ×4, first 2 shown]
	ds_load_2addr_b64 v[8:11], v50 offset0:64 offset1:80
	ds_load_2addr_b64 v[12:15], v50 offset0:96 offset1:112
	s_wait_dscnt 0x1
	v_fma_f64 v[40:41], v[8:9], v[57:58], v[40:41]
	v_fma_f64 v[38:39], v[10:11], v[57:58], v[38:39]
	s_wait_dscnt 0x0
	v_fma_f64 v[36:37], v[12:13], v[57:58], v[36:37]
	v_fma_f64 v[34:35], v[14:15], v[57:58], v[34:35]
	;; [unrolled: 1-line block ×14, first 2 shown]
	ds_load_2addr_b64 v[8:11], v50 offset0:128 offset1:144
	ds_load_2addr_b64 v[12:15], v50 offset0:160 offset1:176
	s_wait_dscnt 0x1
	v_fma_f64 v[40:41], v[8:9], v[79:80], v[40:41]
	v_fma_f64 v[38:39], v[10:11], v[79:80], v[38:39]
	s_wait_dscnt 0x0
	v_fma_f64 v[36:37], v[12:13], v[79:80], v[36:37]
	v_fma_f64 v[34:35], v[14:15], v[79:80], v[34:35]
	;; [unrolled: 1-line block ×14, first 2 shown]
	ds_load_2addr_b64 v[8:11], v50 offset0:192 offset1:208
	ds_load_2addr_b64 v[55:58], v50 offset0:224 offset1:240
	s_wait_loadcnt_dscnt 0x0
	s_barrier_signal -1
	s_barrier_wait -1
	global_inv scope:SCOPE_SE
	v_fma_f64 v[40:41], v[8:9], v[81:82], v[40:41]
	v_fma_f64 v[38:39], v[10:11], v[81:82], v[38:39]
	;; [unrolled: 1-line block ×16, first 2 shown]
	s_wait_alu 0xfffe
	s_cbranch_vccnz .LBB213_5
; %bb.6:                                ;   in Loop: Header=BB213_3 Depth=1
	v_add_co_u32 v42, vcc_lo, v42, s12
	s_wait_alu 0xfffd
	v_add_co_ci_u32_e64 v43, null, s13, v43, vcc_lo
	s_and_not1_b32 vcc_lo, exec_lo, s26
	s_wait_alu 0xfffe
	s_cbranch_vccnz .LBB213_9
.LBB213_7:                              ;   in Loop: Header=BB213_3 Depth=1
	v_mul_f64_e32 v[44:45], s[6:7], v[40:41]
	v_mul_f64_e32 v[46:47], s[6:7], v[38:39]
	;; [unrolled: 1-line block ×16, first 2 shown]
	v_add_co_u32 v83, vcc_lo, v42, v4
	s_wait_alu 0xfffd
	v_add_co_ci_u32_e64 v84, null, v43, v5, vcc_lo
	s_delay_alu instid0(VALU_DEP_2) | instskip(SKIP_1) | instid1(VALU_DEP_2)
	v_add_co_u32 v87, vcc_lo, v83, s22
	s_wait_alu 0xfffd
	v_add_co_ci_u32_e64 v88, null, s23, v84, vcc_lo
	v_add_co_u32 v83, vcc_lo, v83, v6
	s_wait_alu 0xfffd
	v_add_co_ci_u32_e64 v84, null, v84, v7, vcc_lo
	;; [unrolled: 3-line block ×3, first 2 shown]
	s_clause 0x3
	flat_store_b64 v[83:84], v[44:45]
	flat_store_b64 v[83:84], v[46:47] offset:128
	flat_store_b64 v[83:84], v[55:56] offset:256
	;; [unrolled: 1-line block ×3, first 2 shown]
	v_add_co_u32 v44, vcc_lo, v87, s22
	s_wait_alu 0xfffd
	v_add_co_ci_u32_e64 v45, null, s23, v88, vcc_lo
	s_clause 0x3
	flat_store_b64 v[85:86], v[59:60]
	flat_store_b64 v[85:86], v[61:62] offset:128
	flat_store_b64 v[85:86], v[63:64] offset:256
	;; [unrolled: 1-line block ×3, first 2 shown]
	v_add_co_u32 v46, vcc_lo, v44, s22
	s_wait_alu 0xfffd
	v_add_co_ci_u32_e64 v47, null, s23, v45, vcc_lo
	v_add_co_u32 v44, vcc_lo, v44, v6
	s_wait_alu 0xfffd
	v_add_co_ci_u32_e64 v45, null, v45, v7, vcc_lo
	;; [unrolled: 3-line block ×3, first 2 shown]
	s_clause 0x7
	flat_store_b64 v[44:45], v[67:68]
	flat_store_b64 v[44:45], v[69:70] offset:128
	flat_store_b64 v[44:45], v[71:72] offset:256
	;; [unrolled: 1-line block ×3, first 2 shown]
	flat_store_b64 v[46:47], v[75:76]
	flat_store_b64 v[46:47], v[77:78] offset:128
	flat_store_b64 v[46:47], v[79:80] offset:256
	;; [unrolled: 1-line block ×3, first 2 shown]
	s_cbranch_execnz .LBB213_2
	s_branch .LBB213_10
.LBB213_8:                              ;   in Loop: Header=BB213_3 Depth=1
	v_mov_b32_e32 v40, 0
	v_mov_b32_e32 v36, 0
	;; [unrolled: 1-line block ×7, first 2 shown]
	v_dual_mov_b32 v10, 0 :: v_dual_mov_b32 v41, 0
	v_dual_mov_b32 v38, 0 :: v_dual_mov_b32 v37, 0
	;; [unrolled: 1-line block ×9, first 2 shown]
	v_mov_b32_e32 v35, 0
	v_mov_b32_e32 v31, 0
	;; [unrolled: 1-line block ×7, first 2 shown]
	s_wait_loadcnt 0x0
	v_add_co_u32 v42, vcc_lo, v42, s12
	s_wait_alu 0xfffd
	v_add_co_ci_u32_e64 v43, null, s13, v43, vcc_lo
	s_and_not1_b32 vcc_lo, exec_lo, s26
	s_wait_alu 0xfffe
	s_cbranch_vccz .LBB213_7
.LBB213_9:                              ;   in Loop: Header=BB213_3 Depth=1
.LBB213_10:                             ;   in Loop: Header=BB213_3 Depth=1
	v_add_co_u32 v16, vcc_lo, v16, s16
	s_wait_alu 0xfffd
	v_add_co_ci_u32_e64 v17, null, s17, v17, vcc_lo
	s_delay_alu instid0(VALU_DEP_2) | instskip(SKIP_1) | instid1(VALU_DEP_2)
	v_add_co_u32 v46, vcc_lo, v16, v2
	s_wait_alu 0xfffd
	v_add_co_ci_u32_e64 v47, null, v17, v3, vcc_lo
	s_delay_alu instid0(VALU_DEP_2) | instskip(SKIP_1) | instid1(VALU_DEP_2)
	v_add_co_u32 v16, vcc_lo, v46, v6
	s_wait_alu 0xfffd
	v_add_co_ci_u32_e64 v17, null, v47, v7, vcc_lo
	flat_load_b64 v[44:45], v[16:17]
	s_wait_loadcnt_dscnt 0x0
	v_mul_f64_e32 v[44:45], s[36:37], v[44:45]
	s_delay_alu instid0(VALU_DEP_1) | instskip(SKIP_3) | instid1(VALU_DEP_2)
	v_fma_f64 v[40:41], s[6:7], v[40:41], v[44:45]
	v_add_co_u32 v44, vcc_lo, v42, v4
	s_wait_alu 0xfffd
	v_add_co_ci_u32_e64 v45, null, v43, v5, vcc_lo
	v_add_co_u32 v42, vcc_lo, v44, v6
	s_wait_alu 0xfffd
	s_delay_alu instid0(VALU_DEP_2) | instskip(SKIP_4) | instid1(VALU_DEP_1)
	v_add_co_ci_u32_e64 v43, null, v45, v7, vcc_lo
	flat_store_b64 v[42:43], v[40:41]
	flat_load_b64 v[40:41], v[16:17] offset:128
	s_wait_loadcnt_dscnt 0x0
	v_mul_f64_e32 v[40:41], s[36:37], v[40:41]
	v_fma_f64 v[38:39], s[6:7], v[38:39], v[40:41]
	flat_store_b64 v[42:43], v[38:39] offset:128
	flat_load_b64 v[38:39], v[16:17] offset:256
	s_wait_loadcnt_dscnt 0x0
	v_mul_f64_e32 v[38:39], s[36:37], v[38:39]
	s_delay_alu instid0(VALU_DEP_1)
	v_fma_f64 v[36:37], s[6:7], v[36:37], v[38:39]
	flat_store_b64 v[42:43], v[36:37] offset:256
	flat_load_b64 v[16:17], v[16:17] offset:384
	v_add_co_u32 v36, vcc_lo, v46, s18
	s_wait_alu 0xfffd
	v_add_co_ci_u32_e64 v37, null, s19, v47, vcc_lo
	s_wait_loadcnt_dscnt 0x0
	v_mul_f64_e32 v[16:17], s[36:37], v[16:17]
	s_delay_alu instid0(VALU_DEP_1)
	v_fma_f64 v[16:17], s[6:7], v[34:35], v[16:17]
	v_add_co_u32 v34, vcc_lo, v36, v6
	s_wait_alu 0xfffd
	v_add_co_ci_u32_e64 v35, null, v37, v7, vcc_lo
	v_add_co_u32 v38, vcc_lo, v44, s22
	s_wait_alu 0xfffd
	v_add_co_ci_u32_e64 v39, null, s23, v45, vcc_lo
	flat_store_b64 v[42:43], v[16:17] offset:384
	flat_load_b64 v[16:17], v[34:35]
	s_wait_loadcnt_dscnt 0x0
	v_mul_f64_e32 v[16:17], s[36:37], v[16:17]
	s_delay_alu instid0(VALU_DEP_1)
	v_fma_f64 v[16:17], s[6:7], v[32:33], v[16:17]
	v_add_co_u32 v32, vcc_lo, v38, v6
	s_wait_alu 0xfffd
	v_add_co_ci_u32_e64 v33, null, v39, v7, vcc_lo
	flat_store_b64 v[32:33], v[16:17]
	flat_load_b64 v[16:17], v[34:35] offset:128
	s_wait_loadcnt_dscnt 0x0
	v_mul_f64_e32 v[16:17], s[36:37], v[16:17]
	s_delay_alu instid0(VALU_DEP_1) | instskip(SKIP_4) | instid1(VALU_DEP_1)
	v_fma_f64 v[16:17], s[6:7], v[30:31], v[16:17]
	flat_store_b64 v[32:33], v[16:17] offset:128
	flat_load_b64 v[16:17], v[34:35] offset:256
	s_wait_loadcnt_dscnt 0x0
	v_mul_f64_e32 v[16:17], s[36:37], v[16:17]
	v_fma_f64 v[16:17], s[6:7], v[28:29], v[16:17]
	v_add_co_u32 v28, vcc_lo, v36, s18
	s_wait_alu 0xfffd
	v_add_co_ci_u32_e64 v29, null, s19, v37, vcc_lo
	flat_store_b64 v[32:33], v[16:17] offset:256
	flat_load_b64 v[16:17], v[34:35] offset:384
	s_wait_loadcnt_dscnt 0x0
	v_mul_f64_e32 v[16:17], s[36:37], v[16:17]
	s_delay_alu instid0(VALU_DEP_1)
	v_fma_f64 v[16:17], s[6:7], v[26:27], v[16:17]
	v_add_co_u32 v26, vcc_lo, v28, v6
	s_wait_alu 0xfffd
	v_add_co_ci_u32_e64 v27, null, v29, v7, vcc_lo
	v_add_co_u32 v30, vcc_lo, v38, s22
	s_wait_alu 0xfffd
	v_add_co_ci_u32_e64 v31, null, s23, v39, vcc_lo
	flat_store_b64 v[32:33], v[16:17] offset:384
	flat_load_b64 v[16:17], v[26:27]
	s_wait_loadcnt_dscnt 0x0
	v_mul_f64_e32 v[16:17], s[36:37], v[16:17]
	s_delay_alu instid0(VALU_DEP_1)
	v_fma_f64 v[16:17], s[6:7], v[24:25], v[16:17]
	v_add_co_u32 v24, vcc_lo, v30, v6
	s_wait_alu 0xfffd
	v_add_co_ci_u32_e64 v25, null, v31, v7, vcc_lo
	flat_store_b64 v[24:25], v[16:17]
	flat_load_b64 v[16:17], v[26:27] offset:128
	s_wait_loadcnt_dscnt 0x0
	v_mul_f64_e32 v[16:17], s[36:37], v[16:17]
	s_delay_alu instid0(VALU_DEP_1) | instskip(SKIP_4) | instid1(VALU_DEP_1)
	v_fma_f64 v[16:17], s[6:7], v[22:23], v[16:17]
	flat_store_b64 v[24:25], v[16:17] offset:128
	flat_load_b64 v[16:17], v[26:27] offset:256
	s_wait_loadcnt_dscnt 0x0
	v_mul_f64_e32 v[16:17], s[36:37], v[16:17]
	v_fma_f64 v[16:17], s[6:7], v[20:21], v[16:17]
	flat_store_b64 v[24:25], v[16:17] offset:256
	flat_load_b64 v[16:17], v[26:27] offset:384
	s_wait_loadcnt_dscnt 0x0
	v_mul_f64_e32 v[16:17], s[36:37], v[16:17]
	s_delay_alu instid0(VALU_DEP_1) | instskip(SKIP_3) | instid1(VALU_DEP_2)
	v_fma_f64 v[16:17], s[6:7], v[18:19], v[16:17]
	v_add_co_u32 v18, vcc_lo, v28, s18
	s_wait_alu 0xfffd
	v_add_co_ci_u32_e64 v19, null, s19, v29, vcc_lo
	v_add_co_u32 v18, vcc_lo, v18, v6
	s_wait_alu 0xfffd
	s_delay_alu instid0(VALU_DEP_2) | instskip(SKIP_4) | instid1(VALU_DEP_1)
	v_add_co_ci_u32_e64 v19, null, v19, v7, vcc_lo
	flat_store_b64 v[24:25], v[16:17] offset:384
	flat_load_b64 v[16:17], v[18:19]
	s_wait_loadcnt_dscnt 0x0
	v_mul_f64_e32 v[16:17], s[36:37], v[16:17]
	v_fma_f64 v[14:15], s[6:7], v[14:15], v[16:17]
	v_add_co_u32 v16, vcc_lo, v30, s22
	s_wait_alu 0xfffd
	v_add_co_ci_u32_e64 v17, null, s23, v31, vcc_lo
	s_delay_alu instid0(VALU_DEP_2) | instskip(SKIP_1) | instid1(VALU_DEP_2)
	v_add_co_u32 v16, vcc_lo, v16, v6
	s_wait_alu 0xfffd
	v_add_co_ci_u32_e64 v17, null, v17, v7, vcc_lo
	flat_store_b64 v[16:17], v[14:15]
	flat_load_b64 v[14:15], v[18:19] offset:128
	s_wait_loadcnt_dscnt 0x0
	v_mul_f64_e32 v[14:15], s[36:37], v[14:15]
	s_delay_alu instid0(VALU_DEP_1) | instskip(SKIP_4) | instid1(VALU_DEP_1)
	v_fma_f64 v[12:13], s[6:7], v[12:13], v[14:15]
	flat_store_b64 v[16:17], v[12:13] offset:128
	flat_load_b64 v[12:13], v[18:19] offset:256
	s_wait_loadcnt_dscnt 0x0
	v_mul_f64_e32 v[12:13], s[36:37], v[12:13]
	v_fma_f64 v[10:11], s[6:7], v[10:11], v[12:13]
	flat_store_b64 v[16:17], v[10:11] offset:256
	flat_load_b64 v[10:11], v[18:19] offset:384
	s_wait_loadcnt_dscnt 0x0
	v_mul_f64_e32 v[10:11], s[36:37], v[10:11]
	s_delay_alu instid0(VALU_DEP_1)
	v_fma_f64 v[8:9], s[6:7], v[8:9], v[10:11]
	flat_store_b64 v[16:17], v[8:9] offset:384
	s_branch .LBB213_2
.LBB213_11:
	s_endpgm
	.section	.rodata,"a",@progbits
	.p2align	6, 0x0
	.amdhsa_kernel _ZN12_GLOBAL__N_127rocblas_gemm_batched_kernelIdLi16ELi16ELi64ELi64ELi4ELi64ELi4ELi4ELi64ELc84ELc67EKPKdS3_KPdEEvlllT_PT11_llS8_llS6_PT12_llPT13_lli
		.amdhsa_group_segment_fixed_size 4096
		.amdhsa_private_segment_fixed_size 0
		.amdhsa_kernarg_size 140
		.amdhsa_user_sgpr_count 2
		.amdhsa_user_sgpr_dispatch_ptr 0
		.amdhsa_user_sgpr_queue_ptr 0
		.amdhsa_user_sgpr_kernarg_segment_ptr 1
		.amdhsa_user_sgpr_dispatch_id 0
		.amdhsa_user_sgpr_private_segment_size 0
		.amdhsa_wavefront_size32 1
		.amdhsa_uses_dynamic_stack 0
		.amdhsa_enable_private_segment 0
		.amdhsa_system_sgpr_workgroup_id_x 1
		.amdhsa_system_sgpr_workgroup_id_y 1
		.amdhsa_system_sgpr_workgroup_id_z 1
		.amdhsa_system_sgpr_workgroup_info 0
		.amdhsa_system_vgpr_workitem_id 1
		.amdhsa_next_free_vgpr 95
		.amdhsa_next_free_sgpr 44
		.amdhsa_reserve_vcc 1
		.amdhsa_float_round_mode_32 0
		.amdhsa_float_round_mode_16_64 0
		.amdhsa_float_denorm_mode_32 3
		.amdhsa_float_denorm_mode_16_64 3
		.amdhsa_fp16_overflow 0
		.amdhsa_workgroup_processor_mode 1
		.amdhsa_memory_ordered 1
		.amdhsa_forward_progress 1
		.amdhsa_inst_pref_size 26
		.amdhsa_round_robin_scheduling 0
		.amdhsa_exception_fp_ieee_invalid_op 0
		.amdhsa_exception_fp_denorm_src 0
		.amdhsa_exception_fp_ieee_div_zero 0
		.amdhsa_exception_fp_ieee_overflow 0
		.amdhsa_exception_fp_ieee_underflow 0
		.amdhsa_exception_fp_ieee_inexact 0
		.amdhsa_exception_int_div_zero 0
	.end_amdhsa_kernel
	.section	.text._ZN12_GLOBAL__N_127rocblas_gemm_batched_kernelIdLi16ELi16ELi64ELi64ELi4ELi64ELi4ELi4ELi64ELc84ELc67EKPKdS3_KPdEEvlllT_PT11_llS8_llS6_PT12_llPT13_lli,"axG",@progbits,_ZN12_GLOBAL__N_127rocblas_gemm_batched_kernelIdLi16ELi16ELi64ELi64ELi4ELi64ELi4ELi4ELi64ELc84ELc67EKPKdS3_KPdEEvlllT_PT11_llS8_llS6_PT12_llPT13_lli,comdat
.Lfunc_end213:
	.size	_ZN12_GLOBAL__N_127rocblas_gemm_batched_kernelIdLi16ELi16ELi64ELi64ELi4ELi64ELi4ELi4ELi64ELc84ELc67EKPKdS3_KPdEEvlllT_PT11_llS8_llS6_PT12_llPT13_lli, .Lfunc_end213-_ZN12_GLOBAL__N_127rocblas_gemm_batched_kernelIdLi16ELi16ELi64ELi64ELi4ELi64ELi4ELi4ELi64ELc84ELc67EKPKdS3_KPdEEvlllT_PT11_llS8_llS6_PT12_llPT13_lli
                                        ; -- End function
	.set _ZN12_GLOBAL__N_127rocblas_gemm_batched_kernelIdLi16ELi16ELi64ELi64ELi4ELi64ELi4ELi4ELi64ELc84ELc67EKPKdS3_KPdEEvlllT_PT11_llS8_llS6_PT12_llPT13_lli.num_vgpr, 95
	.set _ZN12_GLOBAL__N_127rocblas_gemm_batched_kernelIdLi16ELi16ELi64ELi64ELi4ELi64ELi4ELi4ELi64ELc84ELc67EKPKdS3_KPdEEvlllT_PT11_llS8_llS6_PT12_llPT13_lli.num_agpr, 0
	.set _ZN12_GLOBAL__N_127rocblas_gemm_batched_kernelIdLi16ELi16ELi64ELi64ELi4ELi64ELi4ELi4ELi64ELc84ELc67EKPKdS3_KPdEEvlllT_PT11_llS8_llS6_PT12_llPT13_lli.numbered_sgpr, 44
	.set _ZN12_GLOBAL__N_127rocblas_gemm_batched_kernelIdLi16ELi16ELi64ELi64ELi4ELi64ELi4ELi4ELi64ELc84ELc67EKPKdS3_KPdEEvlllT_PT11_llS8_llS6_PT12_llPT13_lli.num_named_barrier, 0
	.set _ZN12_GLOBAL__N_127rocblas_gemm_batched_kernelIdLi16ELi16ELi64ELi64ELi4ELi64ELi4ELi4ELi64ELc84ELc67EKPKdS3_KPdEEvlllT_PT11_llS8_llS6_PT12_llPT13_lli.private_seg_size, 0
	.set _ZN12_GLOBAL__N_127rocblas_gemm_batched_kernelIdLi16ELi16ELi64ELi64ELi4ELi64ELi4ELi4ELi64ELc84ELc67EKPKdS3_KPdEEvlllT_PT11_llS8_llS6_PT12_llPT13_lli.uses_vcc, 1
	.set _ZN12_GLOBAL__N_127rocblas_gemm_batched_kernelIdLi16ELi16ELi64ELi64ELi4ELi64ELi4ELi4ELi64ELc84ELc67EKPKdS3_KPdEEvlllT_PT11_llS8_llS6_PT12_llPT13_lli.uses_flat_scratch, 1
	.set _ZN12_GLOBAL__N_127rocblas_gemm_batched_kernelIdLi16ELi16ELi64ELi64ELi4ELi64ELi4ELi4ELi64ELc84ELc67EKPKdS3_KPdEEvlllT_PT11_llS8_llS6_PT12_llPT13_lli.has_dyn_sized_stack, 0
	.set _ZN12_GLOBAL__N_127rocblas_gemm_batched_kernelIdLi16ELi16ELi64ELi64ELi4ELi64ELi4ELi4ELi64ELc84ELc67EKPKdS3_KPdEEvlllT_PT11_llS8_llS6_PT12_llPT13_lli.has_recursion, 0
	.set _ZN12_GLOBAL__N_127rocblas_gemm_batched_kernelIdLi16ELi16ELi64ELi64ELi4ELi64ELi4ELi4ELi64ELc84ELc67EKPKdS3_KPdEEvlllT_PT11_llS8_llS6_PT12_llPT13_lli.has_indirect_call, 0
	.section	.AMDGPU.csdata,"",@progbits
; Kernel info:
; codeLenInByte = 3324
; TotalNumSgprs: 46
; NumVgprs: 95
; ScratchSize: 0
; MemoryBound: 0
; FloatMode: 240
; IeeeMode: 1
; LDSByteSize: 4096 bytes/workgroup (compile time only)
; SGPRBlocks: 0
; VGPRBlocks: 11
; NumSGPRsForWavesPerEU: 46
; NumVGPRsForWavesPerEU: 95
; Occupancy: 16
; WaveLimiterHint : 1
; COMPUTE_PGM_RSRC2:SCRATCH_EN: 0
; COMPUTE_PGM_RSRC2:USER_SGPR: 2
; COMPUTE_PGM_RSRC2:TRAP_HANDLER: 0
; COMPUTE_PGM_RSRC2:TGID_X_EN: 1
; COMPUTE_PGM_RSRC2:TGID_Y_EN: 1
; COMPUTE_PGM_RSRC2:TGID_Z_EN: 1
; COMPUTE_PGM_RSRC2:TIDIG_COMP_CNT: 1
	.section	.text._ZN12_GLOBAL__N_127rocblas_gemm_batched_kernelIdLi16ELi16ELi32ELi32ELi8ELi32ELi8ELi8ELi32ELc78ELc78EKPKdS3_KPdEEvlllT_PT11_llS8_llS6_PT12_llPT13_lli,"axG",@progbits,_ZN12_GLOBAL__N_127rocblas_gemm_batched_kernelIdLi16ELi16ELi32ELi32ELi8ELi32ELi8ELi8ELi32ELc78ELc78EKPKdS3_KPdEEvlllT_PT11_llS8_llS6_PT12_llPT13_lli,comdat
	.globl	_ZN12_GLOBAL__N_127rocblas_gemm_batched_kernelIdLi16ELi16ELi32ELi32ELi8ELi32ELi8ELi8ELi32ELc78ELc78EKPKdS3_KPdEEvlllT_PT11_llS8_llS6_PT12_llPT13_lli ; -- Begin function _ZN12_GLOBAL__N_127rocblas_gemm_batched_kernelIdLi16ELi16ELi32ELi32ELi8ELi32ELi8ELi8ELi32ELc78ELc78EKPKdS3_KPdEEvlllT_PT11_llS8_llS6_PT12_llPT13_lli
	.p2align	8
	.type	_ZN12_GLOBAL__N_127rocblas_gemm_batched_kernelIdLi16ELi16ELi32ELi32ELi8ELi32ELi8ELi8ELi32ELc78ELc78EKPKdS3_KPdEEvlllT_PT11_llS8_llS6_PT12_llPT13_lli,@function
_ZN12_GLOBAL__N_127rocblas_gemm_batched_kernelIdLi16ELi16ELi32ELi32ELi8ELi32ELi8ELi8ELi32ELc78ELc78EKPKdS3_KPdEEvlllT_PT11_llS8_llS6_PT12_llPT13_lli: ; @_ZN12_GLOBAL__N_127rocblas_gemm_batched_kernelIdLi16ELi16ELi32ELi32ELi8ELi32ELi8ELi8ELi32ELc78ELc78EKPKdS3_KPdEEvlllT_PT11_llS8_llS6_PT12_llPT13_lli
; %bb.0:
	s_load_b32 s30, s[0:1], 0x88
	s_lshr_b32 s28, ttmp7, 16
	s_wait_kmcnt 0x0
	s_cmp_ge_i32 s28, s30
	s_cbranch_scc1 .LBB214_11
; %bb.1:
	v_and_b32_e32 v12, 0x3ff, v0
	v_bfe_u32 v6, v0, 10, 10
	s_clause 0x2
	s_load_b256 s[20:27], s[0:1], 0x70
	s_load_b512 s[4:19], s[0:1], 0x10
	s_load_b256 s[36:43], s[0:1], 0x50
	v_lshlrev_b32_e32 v0, 3, v0
	v_mov_b32_e32 v22, 0
	s_mov_b32 s2, ttmp9
	v_lshl_add_u32 v1, v6, 4, v12
	s_ashr_i32 s3, ttmp9, 31
	v_and_b32_e32 v15, 56, v0
	s_wait_kmcnt 0x0
	s_lshl_b32 s26, ttmp7, 5
	s_lshl_b64 s[0:1], s[2:3], 5
	v_lshrrev_b32_e32 v0, 3, v1
	s_and_b32 s2, s26, 0x1fffe0
	v_and_b32_e32 v16, 31, v1
	v_add_nc_u32_e32 v9, s2, v6
	v_lshrrev_b32_e32 v13, 5, v1
	v_add_nc_u32_e32 v11, s2, v0
	v_lshl_or_b32 v8, v0, 6, v15
	v_lshlrev_b32_e32 v7, 3, v16
	v_lshl_add_u32 v24, v6, 6, 0x800
	v_mad_co_u64_u32 v[2:3], null, v9, s22, 0
	v_mad_co_u64_u32 v[4:5], null, s16, v11, 0
	;; [unrolled: 1-line block ×3, first 2 shown]
	v_lshl_or_b32 v25, v13, 8, v7
	s_lshl_b64 s[2:3], s[22:23], 4
	s_mov_b32 s29, 0
	s_delay_alu instid0(VALU_DEP_3) | instskip(NEXT) | instid1(VALU_DEP_4)
	v_mad_co_u64_u32 v[6:7], null, v9, s23, v[3:4]
	v_mov_b32_e32 v3, v5
	s_delay_alu instid0(VALU_DEP_4) | instskip(SKIP_2) | instid1(VALU_DEP_3)
	v_mad_co_u64_u32 v[9:10], null, v9, s41, v[1:2]
	v_lshlrev_b32_e32 v23, 3, v12
	s_lshl_b64 s[22:23], s[40:41], 4
	v_mad_co_u64_u32 v[10:11], null, s17, v11, v[3:4]
	v_add_nc_u32_e32 v26, 0x800, v8
	v_mad_co_u64_u32 v[7:8], null, s10, v13, s[0:1]
	v_mov_b32_e32 v3, v6
	v_add_co_u32 v11, s0, s0, v12
	v_mov_b32_e32 v5, v10
	s_wait_alu 0xf1ff
	v_add_co_ci_u32_e64 v12, null, s1, 0, s0
	v_mov_b32_e32 v1, v8
	v_add_co_u32 v6, vcc_lo, v7, v16
	v_lshlrev_b64_e32 v[4:5], 3, v[4:5]
	s_lshl_b64 s[0:1], s[18:19], 3
	s_delay_alu instid0(VALU_DEP_3)
	v_mad_co_u64_u32 v[13:14], null, s11, v13, v[1:2]
	v_mov_b32_e32 v1, v9
	v_lshlrev_b64_e32 v[2:3], 3, v[2:3]
	s_lshl_b64 s[10:11], s[10:11], 6
	s_lshl_b64 s[16:17], s[42:43], 3
	s_wait_alu 0xfffe
	s_lshl_b64 s[18:19], s[22:23], 3
	v_lshlrev_b64_e32 v[0:1], 3, v[0:1]
	v_add_co_ci_u32_e64 v7, null, 0, v13, vcc_lo
	v_add_co_u32 v8, vcc_lo, v4, s0
	s_wait_alu 0xfffd
	v_add_co_ci_u32_e64 v9, null, s1, v5, vcc_lo
	s_delay_alu instid0(VALU_DEP_3) | instskip(NEXT) | instid1(VALU_DEP_3)
	v_lshlrev_b64_e32 v[4:5], 3, v[6:7]
	v_add_co_u32 v27, vcc_lo, v8, v15
	s_lshl_b64 s[0:1], s[12:13], 3
	s_wait_alu 0xfffd
	v_add_co_ci_u32_e64 v28, null, 0, v9, vcc_lo
	s_wait_alu 0xfffe
	v_add_co_u32 v29, vcc_lo, s0, v4
	s_wait_alu 0xfffd
	v_add_co_ci_u32_e64 v30, null, s1, v5, vcc_lo
	v_cmp_eq_f64_e64 s1, s[36:37], 0
	v_cmp_gt_i64_e64 s12, s[4:5], 0
	v_lshlrev_b64_e32 v[4:5], 3, v[11:12]
	s_lshl_b64 s[22:23], s[2:3], 3
	v_cndmask_b32_e64 v6, 0, 1, s12
	s_lshl_b64 s[12:13], s[24:25], 3
	s_delay_alu instid0(VALU_DEP_1) | instskip(SKIP_1) | instid1(VALU_DEP_1)
	v_cmp_ne_u32_e64 s0, 1, v6
	v_cndmask_b32_e64 v6, 0, 1, s1
	v_cmp_ne_u32_e64 s1, 1, v6
	s_branch .LBB214_3
.LBB214_2:                              ;   in Loop: Header=BB214_3 Depth=1
	s_add_co_i32 s28, s28, 0x10000
	s_delay_alu instid0(SALU_CYCLE_1)
	s_cmp_lt_i32 s28, s30
	s_cbranch_scc0 .LBB214_11
.LBB214_3:                              ; =>This Loop Header: Depth=1
                                        ;     Child Loop BB214_5 Depth 2
	s_lshl_b64 s[2:3], s[28:29], 3
	s_and_b32 vcc_lo, exec_lo, s0
	s_wait_alu 0xfffe
	s_add_nc_u64 s[24:25], s[38:39], s[2:3]
	s_add_nc_u64 s[26:27], s[20:21], s[2:3]
	s_clause 0x1
	global_load_b64 v[6:7], v22, s[24:25]
	global_load_b64 v[8:9], v22, s[26:27]
	s_cbranch_vccnz .LBB214_8
; %bb.4:                                ;   in Loop: Header=BB214_3 Depth=1
	s_add_nc_u64 s[24:25], s[14:15], s[2:3]
	s_add_nc_u64 s[2:3], s[8:9], s[2:3]
	s_clause 0x1
	global_load_b64 v[18:19], v22, s[24:25]
	global_load_b64 v[20:21], v22, s[2:3]
	v_mov_b32_e32 v10, 0
	v_dual_mov_b32 v14, 0 :: v_dual_mov_b32 v11, 0
	v_dual_mov_b32 v12, 0 :: v_dual_mov_b32 v15, 0
	;; [unrolled: 1-line block ×3, first 2 shown]
	v_mov_b32_e32 v17, 0
	s_mov_b64 s[24:25], 0
	s_wait_loadcnt 0x1
	v_add_co_u32 v18, vcc_lo, v18, v27
	s_wait_alu 0xfffd
	v_add_co_ci_u32_e64 v19, null, v19, v28, vcc_lo
	s_wait_loadcnt 0x0
	v_add_co_u32 v20, vcc_lo, v20, v29
	s_wait_alu 0xfffd
	v_add_co_ci_u32_e64 v21, null, v21, v30, vcc_lo
.LBB214_5:                              ;   Parent Loop BB214_3 Depth=1
                                        ; =>  This Inner Loop Header: Depth=2
	flat_load_b64 v[31:32], v[20:21]
	s_wait_alu 0xfffe
	s_add_nc_u64 s[24:25], s[24:25], 8
	v_add_co_u32 v20, vcc_lo, v20, s10
	s_wait_alu 0xfffe
	v_cmp_lt_i64_e64 s2, s[24:25], s[4:5]
	s_wait_alu 0xfffd
	v_add_co_ci_u32_e64 v21, null, s11, v21, vcc_lo
	s_and_b32 vcc_lo, exec_lo, s2
	s_wait_loadcnt_dscnt 0x0
	ds_store_b64 v25, v[31:32]
	flat_load_b64 v[31:32], v[18:19]
	v_add_co_u32 v18, s2, v18, 64
	s_wait_alu 0xf1ff
	v_add_co_ci_u32_e64 v19, null, 0, v19, s2
	s_wait_loadcnt_dscnt 0x0
	ds_store_b64 v26, v[31:32]
	s_wait_dscnt 0x0
	s_barrier_signal -1
	s_barrier_wait -1
	global_inv scope:SCOPE_SE
	ds_load_b128 v[31:34], v24
	ds_load_2addr_b64 v[35:38], v23 offset1:16
	ds_load_b128 v[39:42], v24 offset:1024
	ds_load_b128 v[43:46], v24 offset:16
	ds_load_b128 v[47:50], v24 offset:1040
	s_wait_dscnt 0x3
	v_fma_f64 v[16:17], v[35:36], v[31:32], v[16:17]
	v_fma_f64 v[14:15], v[37:38], v[31:32], v[14:15]
	s_wait_dscnt 0x2
	v_fma_f64 v[31:32], v[35:36], v[39:40], v[12:13]
	v_fma_f64 v[35:36], v[37:38], v[39:40], v[10:11]
	ds_load_2addr_b64 v[10:13], v23 offset0:32 offset1:48
	s_wait_dscnt 0x0
	v_fma_f64 v[16:17], v[10:11], v[33:34], v[16:17]
	v_fma_f64 v[14:15], v[12:13], v[33:34], v[14:15]
	v_fma_f64 v[31:32], v[10:11], v[41:42], v[31:32]
	v_fma_f64 v[33:34], v[12:13], v[41:42], v[35:36]
	ds_load_2addr_b64 v[10:13], v23 offset0:64 offset1:80
	s_wait_dscnt 0x0
	v_fma_f64 v[16:17], v[10:11], v[43:44], v[16:17]
	v_fma_f64 v[14:15], v[12:13], v[43:44], v[14:15]
	;; [unrolled: 6-line block ×3, first 2 shown]
	v_fma_f64 v[47:48], v[10:11], v[49:50], v[31:32]
	v_fma_f64 v[49:50], v[12:13], v[49:50], v[33:34]
	ds_load_b128 v[10:13], v24 offset:32
	ds_load_2addr_b64 v[14:17], v23 offset0:128 offset1:144
	ds_load_b128 v[31:34], v24 offset:1056
	ds_load_b128 v[35:38], v24 offset:48
	;; [unrolled: 1-line block ×3, first 2 shown]
	s_wait_dscnt 0x3
	v_fma_f64 v[43:44], v[14:15], v[10:11], v[43:44]
	v_fma_f64 v[10:11], v[16:17], v[10:11], v[45:46]
	s_wait_dscnt 0x2
	v_fma_f64 v[45:46], v[14:15], v[31:32], v[47:48]
	v_fma_f64 v[31:32], v[16:17], v[31:32], v[49:50]
	ds_load_2addr_b64 v[14:17], v23 offset0:160 offset1:176
	s_wait_dscnt 0x0
	v_fma_f64 v[43:44], v[14:15], v[12:13], v[43:44]
	v_fma_f64 v[47:48], v[16:17], v[12:13], v[10:11]
	;; [unrolled: 1-line block ×4, first 2 shown]
	ds_load_2addr_b64 v[10:13], v23 offset0:192 offset1:208
	ds_load_2addr_b64 v[31:34], v23 offset0:224 offset1:240
	s_wait_loadcnt_dscnt 0x0
	s_barrier_signal -1
	s_barrier_wait -1
	global_inv scope:SCOPE_SE
	v_fma_f64 v[43:44], v[10:11], v[35:36], v[43:44]
	v_fma_f64 v[35:36], v[12:13], v[35:36], v[47:48]
	;; [unrolled: 1-line block ×4, first 2 shown]
	s_delay_alu instid0(VALU_DEP_4) | instskip(NEXT) | instid1(VALU_DEP_4)
	v_fma_f64 v[16:17], v[31:32], v[37:38], v[43:44]
	v_fma_f64 v[14:15], v[33:34], v[37:38], v[35:36]
	s_delay_alu instid0(VALU_DEP_4) | instskip(NEXT) | instid1(VALU_DEP_4)
	v_fma_f64 v[12:13], v[31:32], v[41:42], v[10:11]
	v_fma_f64 v[10:11], v[33:34], v[41:42], v[39:40]
	s_wait_alu 0xfffe
	s_cbranch_vccnz .LBB214_5
; %bb.6:                                ;   in Loop: Header=BB214_3 Depth=1
	v_add_co_u32 v8, vcc_lo, v8, s12
	s_wait_alu 0xfffd
	v_add_co_ci_u32_e64 v9, null, s13, v9, vcc_lo
	s_and_b32 vcc_lo, exec_lo, s1
	s_wait_alu 0xfffe
	s_cbranch_vccnz .LBB214_9
.LBB214_7:                              ;   in Loop: Header=BB214_3 Depth=1
	v_mul_f64_e32 v[18:19], s[6:7], v[16:17]
	v_mul_f64_e32 v[20:21], s[6:7], v[14:15]
	;; [unrolled: 1-line block ×4, first 2 shown]
	v_add_co_u32 v35, vcc_lo, v8, v2
	s_wait_alu 0xfffd
	v_add_co_ci_u32_e64 v36, null, v9, v3, vcc_lo
	s_delay_alu instid0(VALU_DEP_2) | instskip(SKIP_1) | instid1(VALU_DEP_2)
	v_add_co_u32 v37, vcc_lo, v35, s22
	s_wait_alu 0xfffd
	v_add_co_ci_u32_e64 v38, null, s23, v36, vcc_lo
	v_add_co_u32 v35, vcc_lo, v35, v4
	s_wait_alu 0xfffd
	v_add_co_ci_u32_e64 v36, null, v36, v5, vcc_lo
	;; [unrolled: 3-line block ×3, first 2 shown]
	s_clause 0x3
	flat_store_b64 v[35:36], v[18:19]
	flat_store_b64 v[35:36], v[20:21] offset:128
	flat_store_b64 v[37:38], v[31:32]
	flat_store_b64 v[37:38], v[33:34] offset:128
	s_cbranch_execnz .LBB214_2
	s_branch .LBB214_10
.LBB214_8:                              ;   in Loop: Header=BB214_3 Depth=1
	v_mov_b32_e32 v16, 0
	v_dual_mov_b32 v12, 0 :: v_dual_mov_b32 v17, 0
	v_dual_mov_b32 v14, 0 :: v_dual_mov_b32 v13, 0
	;; [unrolled: 1-line block ×3, first 2 shown]
	v_mov_b32_e32 v11, 0
	s_wait_loadcnt 0x0
	v_add_co_u32 v8, vcc_lo, v8, s12
	s_wait_alu 0xfffd
	v_add_co_ci_u32_e64 v9, null, s13, v9, vcc_lo
	s_and_b32 vcc_lo, exec_lo, s1
	s_wait_alu 0xfffe
	s_cbranch_vccz .LBB214_7
.LBB214_9:                              ;   in Loop: Header=BB214_3 Depth=1
.LBB214_10:                             ;   in Loop: Header=BB214_3 Depth=1
	v_add_co_u32 v6, vcc_lo, v6, s16
	s_wait_alu 0xfffd
	v_add_co_ci_u32_e64 v7, null, s17, v7, vcc_lo
	s_delay_alu instid0(VALU_DEP_2) | instskip(SKIP_1) | instid1(VALU_DEP_2)
	v_add_co_u32 v20, vcc_lo, v6, v0
	s_wait_alu 0xfffd
	v_add_co_ci_u32_e64 v21, null, v7, v1, vcc_lo
	s_delay_alu instid0(VALU_DEP_2) | instskip(SKIP_1) | instid1(VALU_DEP_2)
	v_add_co_u32 v6, vcc_lo, v20, v4
	s_wait_alu 0xfffd
	v_add_co_ci_u32_e64 v7, null, v21, v5, vcc_lo
	flat_load_b64 v[18:19], v[6:7]
	s_wait_loadcnt_dscnt 0x0
	v_mul_f64_e32 v[18:19], s[36:37], v[18:19]
	s_delay_alu instid0(VALU_DEP_1) | instskip(SKIP_3) | instid1(VALU_DEP_2)
	v_fma_f64 v[16:17], s[6:7], v[16:17], v[18:19]
	v_add_co_u32 v18, vcc_lo, v8, v2
	s_wait_alu 0xfffd
	v_add_co_ci_u32_e64 v19, null, v9, v3, vcc_lo
	v_add_co_u32 v8, vcc_lo, v18, v4
	s_wait_alu 0xfffd
	s_delay_alu instid0(VALU_DEP_2) | instskip(SKIP_4) | instid1(VALU_DEP_1)
	v_add_co_ci_u32_e64 v9, null, v19, v5, vcc_lo
	flat_store_b64 v[8:9], v[16:17]
	flat_load_b64 v[6:7], v[6:7] offset:128
	s_wait_loadcnt_dscnt 0x0
	v_mul_f64_e32 v[6:7], s[36:37], v[6:7]
	v_fma_f64 v[6:7], s[6:7], v[14:15], v[6:7]
	v_add_co_u32 v14, vcc_lo, v20, s18
	s_wait_alu 0xfffd
	v_add_co_ci_u32_e64 v15, null, s19, v21, vcc_lo
	s_delay_alu instid0(VALU_DEP_2) | instskip(SKIP_1) | instid1(VALU_DEP_2)
	v_add_co_u32 v14, vcc_lo, v14, v4
	s_wait_alu 0xfffd
	v_add_co_ci_u32_e64 v15, null, v15, v5, vcc_lo
	flat_store_b64 v[8:9], v[6:7] offset:128
	flat_load_b64 v[6:7], v[14:15]
	v_add_co_u32 v8, vcc_lo, v18, s22
	s_wait_alu 0xfffd
	v_add_co_ci_u32_e64 v9, null, s23, v19, vcc_lo
	s_delay_alu instid0(VALU_DEP_2) | instskip(SKIP_1) | instid1(VALU_DEP_2)
	v_add_co_u32 v8, vcc_lo, v8, v4
	s_wait_alu 0xfffd
	v_add_co_ci_u32_e64 v9, null, v9, v5, vcc_lo
	s_wait_loadcnt_dscnt 0x0
	v_mul_f64_e32 v[6:7], s[36:37], v[6:7]
	s_delay_alu instid0(VALU_DEP_1) | instskip(SKIP_4) | instid1(VALU_DEP_1)
	v_fma_f64 v[6:7], s[6:7], v[12:13], v[6:7]
	flat_store_b64 v[8:9], v[6:7]
	flat_load_b64 v[6:7], v[14:15] offset:128
	s_wait_loadcnt_dscnt 0x0
	v_mul_f64_e32 v[6:7], s[36:37], v[6:7]
	v_fma_f64 v[6:7], s[6:7], v[10:11], v[6:7]
	flat_store_b64 v[8:9], v[6:7] offset:128
	s_branch .LBB214_2
.LBB214_11:
	s_endpgm
	.section	.rodata,"a",@progbits
	.p2align	6, 0x0
	.amdhsa_kernel _ZN12_GLOBAL__N_127rocblas_gemm_batched_kernelIdLi16ELi16ELi32ELi32ELi8ELi32ELi8ELi8ELi32ELc78ELc78EKPKdS3_KPdEEvlllT_PT11_llS8_llS6_PT12_llPT13_lli
		.amdhsa_group_segment_fixed_size 4096
		.amdhsa_private_segment_fixed_size 0
		.amdhsa_kernarg_size 140
		.amdhsa_user_sgpr_count 2
		.amdhsa_user_sgpr_dispatch_ptr 0
		.amdhsa_user_sgpr_queue_ptr 0
		.amdhsa_user_sgpr_kernarg_segment_ptr 1
		.amdhsa_user_sgpr_dispatch_id 0
		.amdhsa_user_sgpr_private_segment_size 0
		.amdhsa_wavefront_size32 1
		.amdhsa_uses_dynamic_stack 0
		.amdhsa_enable_private_segment 0
		.amdhsa_system_sgpr_workgroup_id_x 1
		.amdhsa_system_sgpr_workgroup_id_y 1
		.amdhsa_system_sgpr_workgroup_id_z 1
		.amdhsa_system_sgpr_workgroup_info 0
		.amdhsa_system_vgpr_workitem_id 1
		.amdhsa_next_free_vgpr 51
		.amdhsa_next_free_sgpr 44
		.amdhsa_reserve_vcc 1
		.amdhsa_float_round_mode_32 0
		.amdhsa_float_round_mode_16_64 0
		.amdhsa_float_denorm_mode_32 3
		.amdhsa_float_denorm_mode_16_64 3
		.amdhsa_fp16_overflow 0
		.amdhsa_workgroup_processor_mode 1
		.amdhsa_memory_ordered 1
		.amdhsa_forward_progress 1
		.amdhsa_inst_pref_size 15
		.amdhsa_round_robin_scheduling 0
		.amdhsa_exception_fp_ieee_invalid_op 0
		.amdhsa_exception_fp_denorm_src 0
		.amdhsa_exception_fp_ieee_div_zero 0
		.amdhsa_exception_fp_ieee_overflow 0
		.amdhsa_exception_fp_ieee_underflow 0
		.amdhsa_exception_fp_ieee_inexact 0
		.amdhsa_exception_int_div_zero 0
	.end_amdhsa_kernel
	.section	.text._ZN12_GLOBAL__N_127rocblas_gemm_batched_kernelIdLi16ELi16ELi32ELi32ELi8ELi32ELi8ELi8ELi32ELc78ELc78EKPKdS3_KPdEEvlllT_PT11_llS8_llS6_PT12_llPT13_lli,"axG",@progbits,_ZN12_GLOBAL__N_127rocblas_gemm_batched_kernelIdLi16ELi16ELi32ELi32ELi8ELi32ELi8ELi8ELi32ELc78ELc78EKPKdS3_KPdEEvlllT_PT11_llS8_llS6_PT12_llPT13_lli,comdat
.Lfunc_end214:
	.size	_ZN12_GLOBAL__N_127rocblas_gemm_batched_kernelIdLi16ELi16ELi32ELi32ELi8ELi32ELi8ELi8ELi32ELc78ELc78EKPKdS3_KPdEEvlllT_PT11_llS8_llS6_PT12_llPT13_lli, .Lfunc_end214-_ZN12_GLOBAL__N_127rocblas_gemm_batched_kernelIdLi16ELi16ELi32ELi32ELi8ELi32ELi8ELi8ELi32ELc78ELc78EKPKdS3_KPdEEvlllT_PT11_llS8_llS6_PT12_llPT13_lli
                                        ; -- End function
	.set _ZN12_GLOBAL__N_127rocblas_gemm_batched_kernelIdLi16ELi16ELi32ELi32ELi8ELi32ELi8ELi8ELi32ELc78ELc78EKPKdS3_KPdEEvlllT_PT11_llS8_llS6_PT12_llPT13_lli.num_vgpr, 51
	.set _ZN12_GLOBAL__N_127rocblas_gemm_batched_kernelIdLi16ELi16ELi32ELi32ELi8ELi32ELi8ELi8ELi32ELc78ELc78EKPKdS3_KPdEEvlllT_PT11_llS8_llS6_PT12_llPT13_lli.num_agpr, 0
	.set _ZN12_GLOBAL__N_127rocblas_gemm_batched_kernelIdLi16ELi16ELi32ELi32ELi8ELi32ELi8ELi8ELi32ELc78ELc78EKPKdS3_KPdEEvlllT_PT11_llS8_llS6_PT12_llPT13_lli.numbered_sgpr, 44
	.set _ZN12_GLOBAL__N_127rocblas_gemm_batched_kernelIdLi16ELi16ELi32ELi32ELi8ELi32ELi8ELi8ELi32ELc78ELc78EKPKdS3_KPdEEvlllT_PT11_llS8_llS6_PT12_llPT13_lli.num_named_barrier, 0
	.set _ZN12_GLOBAL__N_127rocblas_gemm_batched_kernelIdLi16ELi16ELi32ELi32ELi8ELi32ELi8ELi8ELi32ELc78ELc78EKPKdS3_KPdEEvlllT_PT11_llS8_llS6_PT12_llPT13_lli.private_seg_size, 0
	.set _ZN12_GLOBAL__N_127rocblas_gemm_batched_kernelIdLi16ELi16ELi32ELi32ELi8ELi32ELi8ELi8ELi32ELc78ELc78EKPKdS3_KPdEEvlllT_PT11_llS8_llS6_PT12_llPT13_lli.uses_vcc, 1
	.set _ZN12_GLOBAL__N_127rocblas_gemm_batched_kernelIdLi16ELi16ELi32ELi32ELi8ELi32ELi8ELi8ELi32ELc78ELc78EKPKdS3_KPdEEvlllT_PT11_llS8_llS6_PT12_llPT13_lli.uses_flat_scratch, 1
	.set _ZN12_GLOBAL__N_127rocblas_gemm_batched_kernelIdLi16ELi16ELi32ELi32ELi8ELi32ELi8ELi8ELi32ELc78ELc78EKPKdS3_KPdEEvlllT_PT11_llS8_llS6_PT12_llPT13_lli.has_dyn_sized_stack, 0
	.set _ZN12_GLOBAL__N_127rocblas_gemm_batched_kernelIdLi16ELi16ELi32ELi32ELi8ELi32ELi8ELi8ELi32ELc78ELc78EKPKdS3_KPdEEvlllT_PT11_llS8_llS6_PT12_llPT13_lli.has_recursion, 0
	.set _ZN12_GLOBAL__N_127rocblas_gemm_batched_kernelIdLi16ELi16ELi32ELi32ELi8ELi32ELi8ELi8ELi32ELc78ELc78EKPKdS3_KPdEEvlllT_PT11_llS8_llS6_PT12_llPT13_lli.has_indirect_call, 0
	.section	.AMDGPU.csdata,"",@progbits
; Kernel info:
; codeLenInByte = 1920
; TotalNumSgprs: 46
; NumVgprs: 51
; ScratchSize: 0
; MemoryBound: 0
; FloatMode: 240
; IeeeMode: 1
; LDSByteSize: 4096 bytes/workgroup (compile time only)
; SGPRBlocks: 0
; VGPRBlocks: 6
; NumSGPRsForWavesPerEU: 46
; NumVGPRsForWavesPerEU: 51
; Occupancy: 16
; WaveLimiterHint : 1
; COMPUTE_PGM_RSRC2:SCRATCH_EN: 0
; COMPUTE_PGM_RSRC2:USER_SGPR: 2
; COMPUTE_PGM_RSRC2:TRAP_HANDLER: 0
; COMPUTE_PGM_RSRC2:TGID_X_EN: 1
; COMPUTE_PGM_RSRC2:TGID_Y_EN: 1
; COMPUTE_PGM_RSRC2:TGID_Z_EN: 1
; COMPUTE_PGM_RSRC2:TIDIG_COMP_CNT: 1
	.section	.text._ZN12_GLOBAL__N_127rocblas_gemm_batched_kernelIdLi16ELi16ELi32ELi32ELi8ELi32ELi8ELi8ELi32ELc84ELc78EKPKdS3_KPdEEvlllT_PT11_llS8_llS6_PT12_llPT13_lli,"axG",@progbits,_ZN12_GLOBAL__N_127rocblas_gemm_batched_kernelIdLi16ELi16ELi32ELi32ELi8ELi32ELi8ELi8ELi32ELc84ELc78EKPKdS3_KPdEEvlllT_PT11_llS8_llS6_PT12_llPT13_lli,comdat
	.globl	_ZN12_GLOBAL__N_127rocblas_gemm_batched_kernelIdLi16ELi16ELi32ELi32ELi8ELi32ELi8ELi8ELi32ELc84ELc78EKPKdS3_KPdEEvlllT_PT11_llS8_llS6_PT12_llPT13_lli ; -- Begin function _ZN12_GLOBAL__N_127rocblas_gemm_batched_kernelIdLi16ELi16ELi32ELi32ELi8ELi32ELi8ELi8ELi32ELc84ELc78EKPKdS3_KPdEEvlllT_PT11_llS8_llS6_PT12_llPT13_lli
	.p2align	8
	.type	_ZN12_GLOBAL__N_127rocblas_gemm_batched_kernelIdLi16ELi16ELi32ELi32ELi8ELi32ELi8ELi8ELi32ELc84ELc78EKPKdS3_KPdEEvlllT_PT11_llS8_llS6_PT12_llPT13_lli,@function
_ZN12_GLOBAL__N_127rocblas_gemm_batched_kernelIdLi16ELi16ELi32ELi32ELi8ELi32ELi8ELi8ELi32ELc84ELc78EKPKdS3_KPdEEvlllT_PT11_llS8_llS6_PT12_llPT13_lli: ; @_ZN12_GLOBAL__N_127rocblas_gemm_batched_kernelIdLi16ELi16ELi32ELi32ELi8ELi32ELi8ELi8ELi32ELc84ELc78EKPKdS3_KPdEEvlllT_PT11_llS8_llS6_PT12_llPT13_lli
; %bb.0:
	s_load_b32 s30, s[0:1], 0x88
	s_lshr_b32 s28, ttmp7, 16
	s_wait_kmcnt 0x0
	s_cmp_ge_i32 s28, s30
	s_cbranch_scc1 .LBB215_11
; %bb.1:
	s_clause 0x2
	s_load_b256 s[36:43], s[0:1], 0x50
	s_load_b256 s[20:27], s[0:1], 0x70
	s_load_b512 s[4:19], s[0:1], 0x10
	v_and_b32_e32 v10, 0x3ff, v0
	v_bfe_u32 v6, v0, 10, 10
	s_lshl_b32 s0, ttmp7, 5
	s_mov_b32 s2, ttmp9
	s_and_b32 s0, s0, 0x1fffe0
	s_ashr_i32 s3, ttmp9, 31
	v_lshl_add_u32 v1, v6, 4, v10
	v_dual_mov_b32 v22, 0 :: v_dual_add_nc_u32 v9, s0, v6
	v_lshl_add_u32 v26, v6, 6, 0x800
	s_mov_b32 s29, 0
	s_delay_alu instid0(VALU_DEP_3) | instskip(SKIP_2) | instid1(VALU_DEP_3)
	v_and_b32_e32 v11, 31, v1
	v_lshrrev_b32_e32 v13, 5, v1
	v_lshrrev_b32_e32 v1, 3, v1
	v_lshlrev_b32_e32 v7, 3, v11
	s_wait_kmcnt 0x0
	v_mad_co_u64_u32 v[2:3], null, v9, s22, 0
	v_mad_co_u64_u32 v[4:5], null, v9, s40, 0
	s_delay_alu instid0(VALU_DEP_3) | instskip(SKIP_3) | instid1(VALU_DEP_3)
	v_lshl_or_b32 v23, v13, 8, v7
	v_add_nc_u32_e32 v8, s0, v1
	s_lshl_b64 s[0:1], s[2:3], 5
	s_lshl_b64 s[2:3], s[22:23], 4
	v_mad_co_u64_u32 v[6:7], null, v9, s23, v[3:4]
	v_lshlrev_b32_e32 v0, 3, v0
	s_wait_alu 0xfffe
	v_or_b32_e32 v3, s0, v11
	s_delay_alu instid0(VALU_DEP_2) | instskip(NEXT) | instid1(VALU_DEP_1)
	v_and_b32_e32 v14, 56, v0
	v_lshl_or_b32 v12, v1, 6, v14
	v_mad_co_u64_u32 v[0:1], null, s16, v8, 0
	s_delay_alu instid0(VALU_DEP_2)
	v_add_nc_u32_e32 v24, 0x800, v12
	v_mad_co_u64_u32 v[11:12], null, s10, v3, 0
	s_mul_i32 s10, s10, s1
	v_mad_co_u64_u32 v[7:8], null, s17, v8, v[1:2]
	v_mad_co_u64_u32 v[8:9], null, v9, s41, v[5:6]
	s_lshl_b64 s[16:17], s[40:41], 4
	s_wait_alu 0xfffe
	s_lshl_b64 s[16:17], s[16:17], 3
	v_mov_b32_e32 v1, v7
	v_mul_lo_u32 v7, s11, v3
	v_add_co_u32 v9, s0, s0, v10
	v_lshlrev_b32_e32 v25, 3, v10
	s_delay_alu instid0(VALU_DEP_4)
	v_lshlrev_b64_e32 v[0:1], 3, v[0:1]
	s_wait_alu 0xf1ff
	v_add_co_ci_u32_e64 v10, null, s1, 0, s0
	s_lshl_b64 s[0:1], s[18:19], 3
	v_add3_u32 v12, v12, s10, v7
	v_mov_b32_e32 v3, v6
	s_wait_alu 0xfffe
	v_add_co_u32 v6, vcc_lo, v0, s0
	s_delay_alu instid0(VALU_DEP_1) | instskip(SKIP_2) | instid1(VALU_DEP_4)
	v_add_co_ci_u32_e64 v7, null, s1, v1, vcc_lo
	v_lshlrev_b64_e32 v[0:1], 3, v[11:12]
	v_mov_b32_e32 v5, v8
	v_add_co_u32 v27, vcc_lo, v6, v14
	s_lshl_b64 s[0:1], s[12:13], 3
	s_wait_alu 0xfffd
	v_add_co_ci_u32_e64 v28, null, 0, v7, vcc_lo
	s_wait_alu 0xfffe
	v_add_co_u32 v0, vcc_lo, v0, s0
	s_wait_alu 0xfffd
	v_add_co_ci_u32_e64 v1, null, s1, v1, vcc_lo
	v_cmp_eq_f64_e64 s1, s[36:37], 0
	v_cmp_gt_i64_e64 s0, s[4:5], 0
	v_lshlrev_b32_e32 v6, 3, v13
	v_lshlrev_b64_e32 v[2:3], 3, v[2:3]
	s_lshl_b64 s[10:11], s[24:25], 3
	s_lshl_b64 s[12:13], s[42:43], 3
	;; [unrolled: 1-line block ×3, first 2 shown]
	s_wait_alu 0xf1ff
	v_cndmask_b32_e64 v7, 0, 1, s0
	v_add_co_u32 v29, vcc_lo, v0, v6
	s_wait_alu 0xfffd
	v_add_co_ci_u32_e64 v30, null, 0, v1, vcc_lo
	v_lshlrev_b64_e32 v[0:1], 3, v[4:5]
	v_lshlrev_b64_e32 v[4:5], 3, v[9:10]
	v_cmp_ne_u32_e64 s0, 1, v7
	v_cndmask_b32_e64 v6, 0, 1, s1
	s_delay_alu instid0(VALU_DEP_1)
	v_cmp_ne_u32_e64 s1, 1, v6
	s_branch .LBB215_3
.LBB215_2:                              ;   in Loop: Header=BB215_3 Depth=1
	s_add_co_i32 s28, s28, 0x10000
	s_delay_alu instid0(SALU_CYCLE_1)
	s_cmp_lt_i32 s28, s30
	s_cbranch_scc0 .LBB215_11
.LBB215_3:                              ; =>This Loop Header: Depth=1
                                        ;     Child Loop BB215_5 Depth 2
	s_lshl_b64 s[2:3], s[28:29], 3
	s_and_b32 vcc_lo, exec_lo, s0
	s_wait_alu 0xfffe
	s_add_nc_u64 s[22:23], s[38:39], s[2:3]
	s_add_nc_u64 s[24:25], s[20:21], s[2:3]
	s_clause 0x1
	global_load_b64 v[6:7], v22, s[22:23]
	global_load_b64 v[8:9], v22, s[24:25]
	s_cbranch_vccnz .LBB215_8
; %bb.4:                                ;   in Loop: Header=BB215_3 Depth=1
	s_add_nc_u64 s[22:23], s[14:15], s[2:3]
	s_add_nc_u64 s[2:3], s[8:9], s[2:3]
	s_clause 0x1
	global_load_b64 v[18:19], v22, s[22:23]
	global_load_b64 v[20:21], v22, s[2:3]
	v_mov_b32_e32 v10, 0
	v_dual_mov_b32 v14, 0 :: v_dual_mov_b32 v11, 0
	v_dual_mov_b32 v12, 0 :: v_dual_mov_b32 v15, 0
	v_dual_mov_b32 v16, 0 :: v_dual_mov_b32 v13, 0
	v_mov_b32_e32 v17, 0
	s_mov_b64 s[22:23], 0
	s_wait_loadcnt 0x1
	v_add_co_u32 v18, vcc_lo, v18, v27
	s_wait_alu 0xfffd
	v_add_co_ci_u32_e64 v19, null, v19, v28, vcc_lo
	s_wait_loadcnt 0x0
	v_add_co_u32 v20, vcc_lo, v20, v29
	s_wait_alu 0xfffd
	v_add_co_ci_u32_e64 v21, null, v21, v30, vcc_lo
.LBB215_5:                              ;   Parent Loop BB215_3 Depth=1
                                        ; =>  This Inner Loop Header: Depth=2
	flat_load_b64 v[31:32], v[20:21]
	s_wait_alu 0xfffe
	s_add_nc_u64 s[22:23], s[22:23], 8
	v_add_co_u32 v20, vcc_lo, v20, 64
	s_wait_alu 0xfffe
	v_cmp_lt_i64_e64 s2, s[22:23], s[4:5]
	s_wait_alu 0xfffd
	v_add_co_ci_u32_e64 v21, null, 0, v21, vcc_lo
	s_and_b32 vcc_lo, exec_lo, s2
	s_wait_loadcnt_dscnt 0x0
	ds_store_b64 v23, v[31:32]
	flat_load_b64 v[31:32], v[18:19]
	v_add_co_u32 v18, s2, v18, 64
	s_wait_alu 0xf1ff
	v_add_co_ci_u32_e64 v19, null, 0, v19, s2
	s_wait_loadcnt_dscnt 0x0
	ds_store_b64 v24, v[31:32]
	s_wait_dscnt 0x0
	s_barrier_signal -1
	s_barrier_wait -1
	global_inv scope:SCOPE_SE
	ds_load_b128 v[31:34], v26
	ds_load_2addr_b64 v[35:38], v25 offset1:16
	ds_load_b128 v[39:42], v26 offset:1024
	ds_load_b128 v[43:46], v26 offset:16
	;; [unrolled: 1-line block ×3, first 2 shown]
	s_wait_dscnt 0x3
	v_fma_f64 v[16:17], v[35:36], v[31:32], v[16:17]
	v_fma_f64 v[14:15], v[37:38], v[31:32], v[14:15]
	s_wait_dscnt 0x2
	v_fma_f64 v[31:32], v[35:36], v[39:40], v[12:13]
	v_fma_f64 v[35:36], v[37:38], v[39:40], v[10:11]
	ds_load_2addr_b64 v[10:13], v25 offset0:32 offset1:48
	s_wait_dscnt 0x0
	v_fma_f64 v[16:17], v[10:11], v[33:34], v[16:17]
	v_fma_f64 v[14:15], v[12:13], v[33:34], v[14:15]
	v_fma_f64 v[31:32], v[10:11], v[41:42], v[31:32]
	v_fma_f64 v[33:34], v[12:13], v[41:42], v[35:36]
	ds_load_2addr_b64 v[10:13], v25 offset0:64 offset1:80
	s_wait_dscnt 0x0
	v_fma_f64 v[16:17], v[10:11], v[43:44], v[16:17]
	v_fma_f64 v[14:15], v[12:13], v[43:44], v[14:15]
	;; [unrolled: 6-line block ×3, first 2 shown]
	v_fma_f64 v[47:48], v[10:11], v[49:50], v[31:32]
	v_fma_f64 v[49:50], v[12:13], v[49:50], v[33:34]
	ds_load_b128 v[10:13], v26 offset:32
	ds_load_2addr_b64 v[14:17], v25 offset0:128 offset1:144
	ds_load_b128 v[31:34], v26 offset:1056
	ds_load_b128 v[35:38], v26 offset:48
	;; [unrolled: 1-line block ×3, first 2 shown]
	s_wait_dscnt 0x3
	v_fma_f64 v[43:44], v[14:15], v[10:11], v[43:44]
	v_fma_f64 v[10:11], v[16:17], v[10:11], v[45:46]
	s_wait_dscnt 0x2
	v_fma_f64 v[45:46], v[14:15], v[31:32], v[47:48]
	v_fma_f64 v[31:32], v[16:17], v[31:32], v[49:50]
	ds_load_2addr_b64 v[14:17], v25 offset0:160 offset1:176
	s_wait_dscnt 0x0
	v_fma_f64 v[43:44], v[14:15], v[12:13], v[43:44]
	v_fma_f64 v[47:48], v[16:17], v[12:13], v[10:11]
	;; [unrolled: 1-line block ×4, first 2 shown]
	ds_load_2addr_b64 v[10:13], v25 offset0:192 offset1:208
	ds_load_2addr_b64 v[31:34], v25 offset0:224 offset1:240
	s_wait_loadcnt_dscnt 0x0
	s_barrier_signal -1
	s_barrier_wait -1
	global_inv scope:SCOPE_SE
	v_fma_f64 v[43:44], v[10:11], v[35:36], v[43:44]
	v_fma_f64 v[35:36], v[12:13], v[35:36], v[47:48]
	;; [unrolled: 1-line block ×4, first 2 shown]
	s_delay_alu instid0(VALU_DEP_4) | instskip(NEXT) | instid1(VALU_DEP_4)
	v_fma_f64 v[16:17], v[31:32], v[37:38], v[43:44]
	v_fma_f64 v[14:15], v[33:34], v[37:38], v[35:36]
	s_delay_alu instid0(VALU_DEP_4) | instskip(NEXT) | instid1(VALU_DEP_4)
	v_fma_f64 v[12:13], v[31:32], v[41:42], v[10:11]
	v_fma_f64 v[10:11], v[33:34], v[41:42], v[39:40]
	s_wait_alu 0xfffe
	s_cbranch_vccnz .LBB215_5
; %bb.6:                                ;   in Loop: Header=BB215_3 Depth=1
	v_add_co_u32 v8, vcc_lo, v8, s10
	s_wait_alu 0xfffd
	v_add_co_ci_u32_e64 v9, null, s11, v9, vcc_lo
	s_and_b32 vcc_lo, exec_lo, s1
	s_wait_alu 0xfffe
	s_cbranch_vccnz .LBB215_9
.LBB215_7:                              ;   in Loop: Header=BB215_3 Depth=1
	v_mul_f64_e32 v[18:19], s[6:7], v[16:17]
	v_mul_f64_e32 v[20:21], s[6:7], v[14:15]
	;; [unrolled: 1-line block ×4, first 2 shown]
	v_add_co_u32 v35, vcc_lo, v8, v2
	s_wait_alu 0xfffd
	v_add_co_ci_u32_e64 v36, null, v9, v3, vcc_lo
	s_delay_alu instid0(VALU_DEP_2) | instskip(SKIP_1) | instid1(VALU_DEP_2)
	v_add_co_u32 v37, vcc_lo, v35, s18
	s_wait_alu 0xfffd
	v_add_co_ci_u32_e64 v38, null, s19, v36, vcc_lo
	v_add_co_u32 v35, vcc_lo, v35, v4
	s_wait_alu 0xfffd
	v_add_co_ci_u32_e64 v36, null, v36, v5, vcc_lo
	;; [unrolled: 3-line block ×3, first 2 shown]
	s_clause 0x3
	flat_store_b64 v[35:36], v[18:19]
	flat_store_b64 v[35:36], v[20:21] offset:128
	flat_store_b64 v[37:38], v[31:32]
	flat_store_b64 v[37:38], v[33:34] offset:128
	s_cbranch_execnz .LBB215_2
	s_branch .LBB215_10
.LBB215_8:                              ;   in Loop: Header=BB215_3 Depth=1
	v_mov_b32_e32 v16, 0
	v_dual_mov_b32 v12, 0 :: v_dual_mov_b32 v17, 0
	v_dual_mov_b32 v14, 0 :: v_dual_mov_b32 v13, 0
	v_dual_mov_b32 v10, 0 :: v_dual_mov_b32 v15, 0
	v_mov_b32_e32 v11, 0
	s_wait_loadcnt 0x0
	v_add_co_u32 v8, vcc_lo, v8, s10
	s_wait_alu 0xfffd
	v_add_co_ci_u32_e64 v9, null, s11, v9, vcc_lo
	s_and_b32 vcc_lo, exec_lo, s1
	s_wait_alu 0xfffe
	s_cbranch_vccz .LBB215_7
.LBB215_9:                              ;   in Loop: Header=BB215_3 Depth=1
.LBB215_10:                             ;   in Loop: Header=BB215_3 Depth=1
	v_add_co_u32 v6, vcc_lo, v6, s12
	s_wait_alu 0xfffd
	v_add_co_ci_u32_e64 v7, null, s13, v7, vcc_lo
	s_delay_alu instid0(VALU_DEP_2) | instskip(SKIP_1) | instid1(VALU_DEP_2)
	v_add_co_u32 v20, vcc_lo, v6, v0
	s_wait_alu 0xfffd
	v_add_co_ci_u32_e64 v21, null, v7, v1, vcc_lo
	s_delay_alu instid0(VALU_DEP_2) | instskip(SKIP_1) | instid1(VALU_DEP_2)
	v_add_co_u32 v6, vcc_lo, v20, v4
	s_wait_alu 0xfffd
	v_add_co_ci_u32_e64 v7, null, v21, v5, vcc_lo
	flat_load_b64 v[18:19], v[6:7]
	s_wait_loadcnt_dscnt 0x0
	v_mul_f64_e32 v[18:19], s[36:37], v[18:19]
	s_delay_alu instid0(VALU_DEP_1) | instskip(SKIP_3) | instid1(VALU_DEP_2)
	v_fma_f64 v[16:17], s[6:7], v[16:17], v[18:19]
	v_add_co_u32 v18, vcc_lo, v8, v2
	s_wait_alu 0xfffd
	v_add_co_ci_u32_e64 v19, null, v9, v3, vcc_lo
	v_add_co_u32 v8, vcc_lo, v18, v4
	s_wait_alu 0xfffd
	s_delay_alu instid0(VALU_DEP_2) | instskip(SKIP_4) | instid1(VALU_DEP_1)
	v_add_co_ci_u32_e64 v9, null, v19, v5, vcc_lo
	flat_store_b64 v[8:9], v[16:17]
	flat_load_b64 v[6:7], v[6:7] offset:128
	s_wait_loadcnt_dscnt 0x0
	v_mul_f64_e32 v[6:7], s[36:37], v[6:7]
	v_fma_f64 v[6:7], s[6:7], v[14:15], v[6:7]
	v_add_co_u32 v14, vcc_lo, v20, s16
	s_wait_alu 0xfffd
	v_add_co_ci_u32_e64 v15, null, s17, v21, vcc_lo
	s_delay_alu instid0(VALU_DEP_2) | instskip(SKIP_1) | instid1(VALU_DEP_2)
	v_add_co_u32 v14, vcc_lo, v14, v4
	s_wait_alu 0xfffd
	v_add_co_ci_u32_e64 v15, null, v15, v5, vcc_lo
	flat_store_b64 v[8:9], v[6:7] offset:128
	flat_load_b64 v[6:7], v[14:15]
	v_add_co_u32 v8, vcc_lo, v18, s18
	s_wait_alu 0xfffd
	v_add_co_ci_u32_e64 v9, null, s19, v19, vcc_lo
	s_delay_alu instid0(VALU_DEP_2) | instskip(SKIP_1) | instid1(VALU_DEP_2)
	v_add_co_u32 v8, vcc_lo, v8, v4
	s_wait_alu 0xfffd
	v_add_co_ci_u32_e64 v9, null, v9, v5, vcc_lo
	s_wait_loadcnt_dscnt 0x0
	v_mul_f64_e32 v[6:7], s[36:37], v[6:7]
	s_delay_alu instid0(VALU_DEP_1) | instskip(SKIP_4) | instid1(VALU_DEP_1)
	v_fma_f64 v[6:7], s[6:7], v[12:13], v[6:7]
	flat_store_b64 v[8:9], v[6:7]
	flat_load_b64 v[6:7], v[14:15] offset:128
	s_wait_loadcnt_dscnt 0x0
	v_mul_f64_e32 v[6:7], s[36:37], v[6:7]
	v_fma_f64 v[6:7], s[6:7], v[10:11], v[6:7]
	flat_store_b64 v[8:9], v[6:7] offset:128
	s_branch .LBB215_2
.LBB215_11:
	s_endpgm
	.section	.rodata,"a",@progbits
	.p2align	6, 0x0
	.amdhsa_kernel _ZN12_GLOBAL__N_127rocblas_gemm_batched_kernelIdLi16ELi16ELi32ELi32ELi8ELi32ELi8ELi8ELi32ELc84ELc78EKPKdS3_KPdEEvlllT_PT11_llS8_llS6_PT12_llPT13_lli
		.amdhsa_group_segment_fixed_size 4096
		.amdhsa_private_segment_fixed_size 0
		.amdhsa_kernarg_size 140
		.amdhsa_user_sgpr_count 2
		.amdhsa_user_sgpr_dispatch_ptr 0
		.amdhsa_user_sgpr_queue_ptr 0
		.amdhsa_user_sgpr_kernarg_segment_ptr 1
		.amdhsa_user_sgpr_dispatch_id 0
		.amdhsa_user_sgpr_private_segment_size 0
		.amdhsa_wavefront_size32 1
		.amdhsa_uses_dynamic_stack 0
		.amdhsa_enable_private_segment 0
		.amdhsa_system_sgpr_workgroup_id_x 1
		.amdhsa_system_sgpr_workgroup_id_y 1
		.amdhsa_system_sgpr_workgroup_id_z 1
		.amdhsa_system_sgpr_workgroup_info 0
		.amdhsa_system_vgpr_workitem_id 1
		.amdhsa_next_free_vgpr 51
		.amdhsa_next_free_sgpr 44
		.amdhsa_reserve_vcc 1
		.amdhsa_float_round_mode_32 0
		.amdhsa_float_round_mode_16_64 0
		.amdhsa_float_denorm_mode_32 3
		.amdhsa_float_denorm_mode_16_64 3
		.amdhsa_fp16_overflow 0
		.amdhsa_workgroup_processor_mode 1
		.amdhsa_memory_ordered 1
		.amdhsa_forward_progress 1
		.amdhsa_inst_pref_size 16
		.amdhsa_round_robin_scheduling 0
		.amdhsa_exception_fp_ieee_invalid_op 0
		.amdhsa_exception_fp_denorm_src 0
		.amdhsa_exception_fp_ieee_div_zero 0
		.amdhsa_exception_fp_ieee_overflow 0
		.amdhsa_exception_fp_ieee_underflow 0
		.amdhsa_exception_fp_ieee_inexact 0
		.amdhsa_exception_int_div_zero 0
	.end_amdhsa_kernel
	.section	.text._ZN12_GLOBAL__N_127rocblas_gemm_batched_kernelIdLi16ELi16ELi32ELi32ELi8ELi32ELi8ELi8ELi32ELc84ELc78EKPKdS3_KPdEEvlllT_PT11_llS8_llS6_PT12_llPT13_lli,"axG",@progbits,_ZN12_GLOBAL__N_127rocblas_gemm_batched_kernelIdLi16ELi16ELi32ELi32ELi8ELi32ELi8ELi8ELi32ELc84ELc78EKPKdS3_KPdEEvlllT_PT11_llS8_llS6_PT12_llPT13_lli,comdat
.Lfunc_end215:
	.size	_ZN12_GLOBAL__N_127rocblas_gemm_batched_kernelIdLi16ELi16ELi32ELi32ELi8ELi32ELi8ELi8ELi32ELc84ELc78EKPKdS3_KPdEEvlllT_PT11_llS8_llS6_PT12_llPT13_lli, .Lfunc_end215-_ZN12_GLOBAL__N_127rocblas_gemm_batched_kernelIdLi16ELi16ELi32ELi32ELi8ELi32ELi8ELi8ELi32ELc84ELc78EKPKdS3_KPdEEvlllT_PT11_llS8_llS6_PT12_llPT13_lli
                                        ; -- End function
	.set _ZN12_GLOBAL__N_127rocblas_gemm_batched_kernelIdLi16ELi16ELi32ELi32ELi8ELi32ELi8ELi8ELi32ELc84ELc78EKPKdS3_KPdEEvlllT_PT11_llS8_llS6_PT12_llPT13_lli.num_vgpr, 51
	.set _ZN12_GLOBAL__N_127rocblas_gemm_batched_kernelIdLi16ELi16ELi32ELi32ELi8ELi32ELi8ELi8ELi32ELc84ELc78EKPKdS3_KPdEEvlllT_PT11_llS8_llS6_PT12_llPT13_lli.num_agpr, 0
	.set _ZN12_GLOBAL__N_127rocblas_gemm_batched_kernelIdLi16ELi16ELi32ELi32ELi8ELi32ELi8ELi8ELi32ELc84ELc78EKPKdS3_KPdEEvlllT_PT11_llS8_llS6_PT12_llPT13_lli.numbered_sgpr, 44
	.set _ZN12_GLOBAL__N_127rocblas_gemm_batched_kernelIdLi16ELi16ELi32ELi32ELi8ELi32ELi8ELi8ELi32ELc84ELc78EKPKdS3_KPdEEvlllT_PT11_llS8_llS6_PT12_llPT13_lli.num_named_barrier, 0
	.set _ZN12_GLOBAL__N_127rocblas_gemm_batched_kernelIdLi16ELi16ELi32ELi32ELi8ELi32ELi8ELi8ELi32ELc84ELc78EKPKdS3_KPdEEvlllT_PT11_llS8_llS6_PT12_llPT13_lli.private_seg_size, 0
	.set _ZN12_GLOBAL__N_127rocblas_gemm_batched_kernelIdLi16ELi16ELi32ELi32ELi8ELi32ELi8ELi8ELi32ELc84ELc78EKPKdS3_KPdEEvlllT_PT11_llS8_llS6_PT12_llPT13_lli.uses_vcc, 1
	.set _ZN12_GLOBAL__N_127rocblas_gemm_batched_kernelIdLi16ELi16ELi32ELi32ELi8ELi32ELi8ELi8ELi32ELc84ELc78EKPKdS3_KPdEEvlllT_PT11_llS8_llS6_PT12_llPT13_lli.uses_flat_scratch, 1
	.set _ZN12_GLOBAL__N_127rocblas_gemm_batched_kernelIdLi16ELi16ELi32ELi32ELi8ELi32ELi8ELi8ELi32ELc84ELc78EKPKdS3_KPdEEvlllT_PT11_llS8_llS6_PT12_llPT13_lli.has_dyn_sized_stack, 0
	.set _ZN12_GLOBAL__N_127rocblas_gemm_batched_kernelIdLi16ELi16ELi32ELi32ELi8ELi32ELi8ELi8ELi32ELc84ELc78EKPKdS3_KPdEEvlllT_PT11_llS8_llS6_PT12_llPT13_lli.has_recursion, 0
	.set _ZN12_GLOBAL__N_127rocblas_gemm_batched_kernelIdLi16ELi16ELi32ELi32ELi8ELi32ELi8ELi8ELi32ELc84ELc78EKPKdS3_KPdEEvlllT_PT11_llS8_llS6_PT12_llPT13_lli.has_indirect_call, 0
	.section	.AMDGPU.csdata,"",@progbits
; Kernel info:
; codeLenInByte = 1948
; TotalNumSgprs: 46
; NumVgprs: 51
; ScratchSize: 0
; MemoryBound: 0
; FloatMode: 240
; IeeeMode: 1
; LDSByteSize: 4096 bytes/workgroup (compile time only)
; SGPRBlocks: 0
; VGPRBlocks: 6
; NumSGPRsForWavesPerEU: 46
; NumVGPRsForWavesPerEU: 51
; Occupancy: 16
; WaveLimiterHint : 1
; COMPUTE_PGM_RSRC2:SCRATCH_EN: 0
; COMPUTE_PGM_RSRC2:USER_SGPR: 2
; COMPUTE_PGM_RSRC2:TRAP_HANDLER: 0
; COMPUTE_PGM_RSRC2:TGID_X_EN: 1
; COMPUTE_PGM_RSRC2:TGID_Y_EN: 1
; COMPUTE_PGM_RSRC2:TGID_Z_EN: 1
; COMPUTE_PGM_RSRC2:TIDIG_COMP_CNT: 1
	.section	.text._ZN12_GLOBAL__N_127rocblas_gemm_batched_kernelIdLi16ELi16ELi32ELi32ELi8ELi32ELi8ELi8ELi32ELc78ELc84EKPKdS3_KPdEEvlllT_PT11_llS8_llS6_PT12_llPT13_lli,"axG",@progbits,_ZN12_GLOBAL__N_127rocblas_gemm_batched_kernelIdLi16ELi16ELi32ELi32ELi8ELi32ELi8ELi8ELi32ELc78ELc84EKPKdS3_KPdEEvlllT_PT11_llS8_llS6_PT12_llPT13_lli,comdat
	.globl	_ZN12_GLOBAL__N_127rocblas_gemm_batched_kernelIdLi16ELi16ELi32ELi32ELi8ELi32ELi8ELi8ELi32ELc78ELc84EKPKdS3_KPdEEvlllT_PT11_llS8_llS6_PT12_llPT13_lli ; -- Begin function _ZN12_GLOBAL__N_127rocblas_gemm_batched_kernelIdLi16ELi16ELi32ELi32ELi8ELi32ELi8ELi8ELi32ELc78ELc84EKPKdS3_KPdEEvlllT_PT11_llS8_llS6_PT12_llPT13_lli
	.p2align	8
	.type	_ZN12_GLOBAL__N_127rocblas_gemm_batched_kernelIdLi16ELi16ELi32ELi32ELi8ELi32ELi8ELi8ELi32ELc78ELc84EKPKdS3_KPdEEvlllT_PT11_llS8_llS6_PT12_llPT13_lli,@function
_ZN12_GLOBAL__N_127rocblas_gemm_batched_kernelIdLi16ELi16ELi32ELi32ELi8ELi32ELi8ELi8ELi32ELc78ELc84EKPKdS3_KPdEEvlllT_PT11_llS8_llS6_PT12_llPT13_lli: ; @_ZN12_GLOBAL__N_127rocblas_gemm_batched_kernelIdLi16ELi16ELi32ELi32ELi8ELi32ELi8ELi8ELi32ELc78ELc84EKPKdS3_KPdEEvlllT_PT11_llS8_llS6_PT12_llPT13_lli
; %bb.0:
	s_load_b32 s30, s[0:1], 0x88
	s_lshr_b32 s28, ttmp7, 16
	s_wait_kmcnt 0x0
	s_cmp_ge_i32 s28, s30
	s_cbranch_scc1 .LBB216_11
; %bb.1:
	s_clause 0x2
	s_load_b256 s[20:27], s[0:1], 0x70
	s_load_b512 s[4:19], s[0:1], 0x10
	s_load_b256 s[36:43], s[0:1], 0x50
	v_bfe_u32 v2, v0, 10, 10
	s_lshl_b32 s0, ttmp7, 5
	v_dual_mov_b32 v1, 0 :: v_dual_and_b32 v10, 0x3ff, v0
	s_wait_kmcnt 0x0
	s_and_b32 s26, s0, 0x1fffe0
	v_and_b32_e32 v14, 7, v0
	v_add_nc_u32_e32 v16, s26, v2
	v_lshl_add_u32 v3, v2, 4, v10
	v_lshl_add_u32 v25, v2, 6, 0x800
	s_mov_b32 s2, ttmp9
	s_ashr_i32 s3, ttmp9, 31
	s_mov_b32 s29, 0
	v_lshrrev_b32_e32 v0, 3, v3
	v_lshrrev_b32_e32 v18, 5, v3
	s_lshl_b64 s[0:1], s[2:3], 5
	v_mad_co_u64_u32 v[4:5], null, v16, s22, 0
	v_and_b32_e32 v17, 31, v3
	v_mad_co_u64_u32 v[8:9], null, s16, v14, v[0:1]
	s_delay_alu instid0(VALU_DEP_3) | instskip(NEXT) | instid1(VALU_DEP_3)
	v_mov_b32_e32 v2, v5
	v_lshlrev_b32_e32 v12, 3, v17
	s_delay_alu instid0(VALU_DEP_3) | instskip(NEXT) | instid1(VALU_DEP_3)
	v_add_co_u32 v8, vcc_lo, v8, s26
	v_mad_co_u64_u32 v[2:3], null, v16, s23, v[2:3]
	v_dual_mov_b32 v3, v9 :: v_dual_lshlrev_b32 v6, 3, v14
	s_delay_alu instid0(VALU_DEP_1) | instskip(NEXT) | instid1(VALU_DEP_2)
	v_mad_co_u64_u32 v[14:15], null, s17, v14, v[3:4]
	v_lshl_or_b32 v13, v0, 6, v6
	s_delay_alu instid0(VALU_DEP_4) | instskip(SKIP_2) | instid1(VALU_DEP_4)
	v_mov_b32_e32 v5, v2
	v_mad_co_u64_u32 v[6:7], null, v16, s40, 0
	v_lshl_or_b32 v0, v18, 8, v12
	v_add_nc_u32_e32 v26, 0x800, v13
	v_mad_co_u64_u32 v[12:13], null, s10, v18, s[0:1]
	v_add_co_ci_u32_e64 v9, null, 0, v14, vcc_lo
	v_mov_b32_e32 v2, v7
	s_lshl_b64 s[16:17], s[16:17], 6
	s_delay_alu instid0(VALU_DEP_1) | instskip(NEXT) | instid1(VALU_DEP_4)
	v_mad_co_u64_u32 v[2:3], null, v16, s41, v[2:3]
	v_dual_mov_b32 v3, v13 :: v_dual_lshlrev_b32 v24, 3, v10
	v_add_co_u32 v10, s2, s0, v10
	s_delay_alu instid0(VALU_DEP_1) | instskip(NEXT) | instid1(VALU_DEP_3)
	v_add_co_ci_u32_e64 v11, null, s1, 0, s2
	v_mad_co_u64_u32 v[13:14], null, s11, v18, v[3:4]
	v_mov_b32_e32 v7, v2
	v_lshlrev_b64_e32 v[2:3], 3, v[8:9]
	v_add_co_u32 v8, vcc_lo, v12, v17
	s_lshl_b64 s[0:1], s[18:19], 3
	v_lshlrev_b64_e32 v[4:5], 3, v[4:5]
	s_wait_alu 0xfffd
	v_add_co_ci_u32_e64 v9, null, 0, v13, vcc_lo
	s_wait_alu 0xfffe
	v_add_co_u32 v27, vcc_lo, s0, v2
	s_wait_alu 0xfffd
	v_add_co_ci_u32_e64 v28, null, s1, v3, vcc_lo
	v_lshlrev_b64_e32 v[2:3], 3, v[8:9]
	s_lshl_b64 s[0:1], s[12:13], 3
	v_cmp_gt_i64_e64 s12, s[4:5], 0
	s_lshl_b64 s[2:3], s[22:23], 4
	s_lshl_b64 s[22:23], s[40:41], 4
	;; [unrolled: 1-line block ×3, first 2 shown]
	s_wait_alu 0xfffe
	v_add_co_u32 v29, vcc_lo, s0, v2
	s_wait_alu 0xfffd
	v_add_co_ci_u32_e64 v30, null, s1, v3, vcc_lo
	v_cmp_eq_f64_e64 s1, s[36:37], 0
	v_cndmask_b32_e64 v8, 0, 1, s12
	v_lshlrev_b64_e32 v[2:3], 3, v[6:7]
	v_lshlrev_b64_e32 v[6:7], 3, v[10:11]
	s_lshl_b64 s[12:13], s[24:25], 3
	s_lshl_b64 s[18:19], s[42:43], 3
	v_cmp_ne_u32_e64 s0, 1, v8
	s_lshl_b64 s[22:23], s[22:23], 3
	s_lshl_b64 s[24:25], s[2:3], 3
	v_cndmask_b32_e64 v8, 0, 1, s1
	s_delay_alu instid0(VALU_DEP_1)
	v_cmp_ne_u32_e64 s1, 1, v8
	s_branch .LBB216_3
.LBB216_2:                              ;   in Loop: Header=BB216_3 Depth=1
	s_add_co_i32 s28, s28, 0x10000
	s_delay_alu instid0(SALU_CYCLE_1)
	s_cmp_lt_i32 s28, s30
	s_cbranch_scc0 .LBB216_11
.LBB216_3:                              ; =>This Loop Header: Depth=1
                                        ;     Child Loop BB216_5 Depth 2
	s_lshl_b64 s[2:3], s[28:29], 3
	s_and_b32 vcc_lo, exec_lo, s0
	s_wait_alu 0xfffe
	s_add_nc_u64 s[26:27], s[38:39], s[2:3]
	s_add_nc_u64 s[34:35], s[20:21], s[2:3]
	s_clause 0x1
	global_load_b64 v[8:9], v1, s[26:27]
	global_load_b64 v[10:11], v1, s[34:35]
	s_cbranch_vccnz .LBB216_8
; %bb.4:                                ;   in Loop: Header=BB216_3 Depth=1
	s_add_nc_u64 s[26:27], s[14:15], s[2:3]
	s_add_nc_u64 s[2:3], s[8:9], s[2:3]
	s_clause 0x1
	global_load_b64 v[20:21], v1, s[26:27]
	global_load_b64 v[22:23], v1, s[2:3]
	v_mov_b32_e32 v12, 0
	v_dual_mov_b32 v16, 0 :: v_dual_mov_b32 v13, 0
	v_dual_mov_b32 v14, 0 :: v_dual_mov_b32 v17, 0
	;; [unrolled: 1-line block ×3, first 2 shown]
	v_mov_b32_e32 v19, 0
	s_mov_b64 s[26:27], 0
	s_wait_loadcnt 0x1
	v_add_co_u32 v20, vcc_lo, v20, v27
	s_wait_alu 0xfffd
	v_add_co_ci_u32_e64 v21, null, v21, v28, vcc_lo
	s_wait_loadcnt 0x0
	v_add_co_u32 v22, vcc_lo, v22, v29
	s_wait_alu 0xfffd
	v_add_co_ci_u32_e64 v23, null, v23, v30, vcc_lo
.LBB216_5:                              ;   Parent Loop BB216_3 Depth=1
                                        ; =>  This Inner Loop Header: Depth=2
	flat_load_b64 v[31:32], v[22:23]
	s_wait_alu 0xfffe
	s_add_nc_u64 s[26:27], s[26:27], 8
	v_add_co_u32 v22, vcc_lo, v22, s10
	s_wait_alu 0xfffe
	v_cmp_lt_i64_e64 s2, s[26:27], s[4:5]
	s_wait_alu 0xfffd
	v_add_co_ci_u32_e64 v23, null, s11, v23, vcc_lo
	s_and_b32 vcc_lo, exec_lo, s2
	s_wait_loadcnt_dscnt 0x0
	ds_store_b64 v0, v[31:32]
	flat_load_b64 v[31:32], v[20:21]
	v_add_co_u32 v20, s2, v20, s16
	s_wait_alu 0xf1ff
	v_add_co_ci_u32_e64 v21, null, s17, v21, s2
	s_wait_loadcnt_dscnt 0x0
	ds_store_b64 v26, v[31:32]
	s_wait_dscnt 0x0
	s_barrier_signal -1
	s_barrier_wait -1
	global_inv scope:SCOPE_SE
	ds_load_b128 v[31:34], v25
	ds_load_2addr_b64 v[35:38], v24 offset1:16
	ds_load_b128 v[39:42], v25 offset:1024
	ds_load_b128 v[43:46], v25 offset:16
	;; [unrolled: 1-line block ×3, first 2 shown]
	s_wait_dscnt 0x3
	v_fma_f64 v[18:19], v[35:36], v[31:32], v[18:19]
	v_fma_f64 v[16:17], v[37:38], v[31:32], v[16:17]
	s_wait_dscnt 0x2
	v_fma_f64 v[31:32], v[35:36], v[39:40], v[14:15]
	v_fma_f64 v[35:36], v[37:38], v[39:40], v[12:13]
	ds_load_2addr_b64 v[12:15], v24 offset0:32 offset1:48
	s_wait_dscnt 0x0
	v_fma_f64 v[18:19], v[12:13], v[33:34], v[18:19]
	v_fma_f64 v[16:17], v[14:15], v[33:34], v[16:17]
	v_fma_f64 v[31:32], v[12:13], v[41:42], v[31:32]
	v_fma_f64 v[33:34], v[14:15], v[41:42], v[35:36]
	ds_load_2addr_b64 v[12:15], v24 offset0:64 offset1:80
	s_wait_dscnt 0x0
	v_fma_f64 v[18:19], v[12:13], v[43:44], v[18:19]
	v_fma_f64 v[16:17], v[14:15], v[43:44], v[16:17]
	;; [unrolled: 6-line block ×3, first 2 shown]
	v_fma_f64 v[47:48], v[12:13], v[49:50], v[31:32]
	v_fma_f64 v[49:50], v[14:15], v[49:50], v[33:34]
	ds_load_b128 v[12:15], v25 offset:32
	ds_load_2addr_b64 v[16:19], v24 offset0:128 offset1:144
	ds_load_b128 v[31:34], v25 offset:1056
	ds_load_b128 v[35:38], v25 offset:48
	;; [unrolled: 1-line block ×3, first 2 shown]
	s_wait_dscnt 0x3
	v_fma_f64 v[43:44], v[16:17], v[12:13], v[43:44]
	v_fma_f64 v[12:13], v[18:19], v[12:13], v[45:46]
	s_wait_dscnt 0x2
	v_fma_f64 v[45:46], v[16:17], v[31:32], v[47:48]
	v_fma_f64 v[31:32], v[18:19], v[31:32], v[49:50]
	ds_load_2addr_b64 v[16:19], v24 offset0:160 offset1:176
	s_wait_dscnt 0x0
	v_fma_f64 v[43:44], v[16:17], v[14:15], v[43:44]
	v_fma_f64 v[47:48], v[18:19], v[14:15], v[12:13]
	;; [unrolled: 1-line block ×4, first 2 shown]
	ds_load_2addr_b64 v[12:15], v24 offset0:192 offset1:208
	ds_load_2addr_b64 v[31:34], v24 offset0:224 offset1:240
	s_wait_loadcnt_dscnt 0x0
	s_barrier_signal -1
	s_barrier_wait -1
	global_inv scope:SCOPE_SE
	v_fma_f64 v[43:44], v[12:13], v[35:36], v[43:44]
	v_fma_f64 v[35:36], v[14:15], v[35:36], v[47:48]
	;; [unrolled: 1-line block ×4, first 2 shown]
	s_delay_alu instid0(VALU_DEP_4) | instskip(NEXT) | instid1(VALU_DEP_4)
	v_fma_f64 v[18:19], v[31:32], v[37:38], v[43:44]
	v_fma_f64 v[16:17], v[33:34], v[37:38], v[35:36]
	s_delay_alu instid0(VALU_DEP_4) | instskip(NEXT) | instid1(VALU_DEP_4)
	v_fma_f64 v[14:15], v[31:32], v[41:42], v[12:13]
	v_fma_f64 v[12:13], v[33:34], v[41:42], v[39:40]
	s_wait_alu 0xfffe
	s_cbranch_vccnz .LBB216_5
; %bb.6:                                ;   in Loop: Header=BB216_3 Depth=1
	v_add_co_u32 v10, vcc_lo, v10, s12
	s_wait_alu 0xfffd
	v_add_co_ci_u32_e64 v11, null, s13, v11, vcc_lo
	s_and_b32 vcc_lo, exec_lo, s1
	s_wait_alu 0xfffe
	s_cbranch_vccnz .LBB216_9
.LBB216_7:                              ;   in Loop: Header=BB216_3 Depth=1
	v_mul_f64_e32 v[20:21], s[6:7], v[18:19]
	v_mul_f64_e32 v[22:23], s[6:7], v[16:17]
	;; [unrolled: 1-line block ×4, first 2 shown]
	v_add_co_u32 v35, vcc_lo, v10, v4
	s_wait_alu 0xfffd
	v_add_co_ci_u32_e64 v36, null, v11, v5, vcc_lo
	s_delay_alu instid0(VALU_DEP_2) | instskip(SKIP_1) | instid1(VALU_DEP_2)
	v_add_co_u32 v37, vcc_lo, v35, s24
	s_wait_alu 0xfffd
	v_add_co_ci_u32_e64 v38, null, s25, v36, vcc_lo
	v_add_co_u32 v35, vcc_lo, v35, v6
	s_wait_alu 0xfffd
	v_add_co_ci_u32_e64 v36, null, v36, v7, vcc_lo
	;; [unrolled: 3-line block ×3, first 2 shown]
	s_clause 0x3
	flat_store_b64 v[35:36], v[20:21]
	flat_store_b64 v[35:36], v[22:23] offset:128
	flat_store_b64 v[37:38], v[31:32]
	flat_store_b64 v[37:38], v[33:34] offset:128
	s_cbranch_execnz .LBB216_2
	s_branch .LBB216_10
.LBB216_8:                              ;   in Loop: Header=BB216_3 Depth=1
	v_mov_b32_e32 v18, 0
	v_dual_mov_b32 v14, 0 :: v_dual_mov_b32 v19, 0
	v_dual_mov_b32 v16, 0 :: v_dual_mov_b32 v15, 0
	v_dual_mov_b32 v12, 0 :: v_dual_mov_b32 v17, 0
	v_mov_b32_e32 v13, 0
	s_wait_loadcnt 0x0
	v_add_co_u32 v10, vcc_lo, v10, s12
	s_wait_alu 0xfffd
	v_add_co_ci_u32_e64 v11, null, s13, v11, vcc_lo
	s_and_b32 vcc_lo, exec_lo, s1
	s_wait_alu 0xfffe
	s_cbranch_vccz .LBB216_7
.LBB216_9:                              ;   in Loop: Header=BB216_3 Depth=1
.LBB216_10:                             ;   in Loop: Header=BB216_3 Depth=1
	v_add_co_u32 v8, vcc_lo, v8, s18
	s_wait_alu 0xfffd
	v_add_co_ci_u32_e64 v9, null, s19, v9, vcc_lo
	s_delay_alu instid0(VALU_DEP_2) | instskip(SKIP_1) | instid1(VALU_DEP_2)
	v_add_co_u32 v22, vcc_lo, v8, v2
	s_wait_alu 0xfffd
	v_add_co_ci_u32_e64 v23, null, v9, v3, vcc_lo
	s_delay_alu instid0(VALU_DEP_2) | instskip(SKIP_1) | instid1(VALU_DEP_2)
	v_add_co_u32 v8, vcc_lo, v22, v6
	s_wait_alu 0xfffd
	v_add_co_ci_u32_e64 v9, null, v23, v7, vcc_lo
	flat_load_b64 v[20:21], v[8:9]
	s_wait_loadcnt_dscnt 0x0
	v_mul_f64_e32 v[20:21], s[36:37], v[20:21]
	s_delay_alu instid0(VALU_DEP_1) | instskip(SKIP_3) | instid1(VALU_DEP_2)
	v_fma_f64 v[18:19], s[6:7], v[18:19], v[20:21]
	v_add_co_u32 v20, vcc_lo, v10, v4
	s_wait_alu 0xfffd
	v_add_co_ci_u32_e64 v21, null, v11, v5, vcc_lo
	v_add_co_u32 v10, vcc_lo, v20, v6
	s_wait_alu 0xfffd
	s_delay_alu instid0(VALU_DEP_2) | instskip(SKIP_4) | instid1(VALU_DEP_1)
	v_add_co_ci_u32_e64 v11, null, v21, v7, vcc_lo
	flat_store_b64 v[10:11], v[18:19]
	flat_load_b64 v[8:9], v[8:9] offset:128
	s_wait_loadcnt_dscnt 0x0
	v_mul_f64_e32 v[8:9], s[36:37], v[8:9]
	v_fma_f64 v[8:9], s[6:7], v[16:17], v[8:9]
	v_add_co_u32 v16, vcc_lo, v22, s22
	s_wait_alu 0xfffd
	v_add_co_ci_u32_e64 v17, null, s23, v23, vcc_lo
	s_delay_alu instid0(VALU_DEP_2) | instskip(SKIP_1) | instid1(VALU_DEP_2)
	v_add_co_u32 v16, vcc_lo, v16, v6
	s_wait_alu 0xfffd
	v_add_co_ci_u32_e64 v17, null, v17, v7, vcc_lo
	flat_store_b64 v[10:11], v[8:9] offset:128
	flat_load_b64 v[8:9], v[16:17]
	v_add_co_u32 v10, vcc_lo, v20, s24
	s_wait_alu 0xfffd
	v_add_co_ci_u32_e64 v11, null, s25, v21, vcc_lo
	s_delay_alu instid0(VALU_DEP_2) | instskip(SKIP_1) | instid1(VALU_DEP_2)
	v_add_co_u32 v10, vcc_lo, v10, v6
	s_wait_alu 0xfffd
	v_add_co_ci_u32_e64 v11, null, v11, v7, vcc_lo
	s_wait_loadcnt_dscnt 0x0
	v_mul_f64_e32 v[8:9], s[36:37], v[8:9]
	s_delay_alu instid0(VALU_DEP_1) | instskip(SKIP_4) | instid1(VALU_DEP_1)
	v_fma_f64 v[8:9], s[6:7], v[14:15], v[8:9]
	flat_store_b64 v[10:11], v[8:9]
	flat_load_b64 v[8:9], v[16:17] offset:128
	s_wait_loadcnt_dscnt 0x0
	v_mul_f64_e32 v[8:9], s[36:37], v[8:9]
	v_fma_f64 v[8:9], s[6:7], v[12:13], v[8:9]
	flat_store_b64 v[10:11], v[8:9] offset:128
	s_branch .LBB216_2
.LBB216_11:
	s_endpgm
	.section	.rodata,"a",@progbits
	.p2align	6, 0x0
	.amdhsa_kernel _ZN12_GLOBAL__N_127rocblas_gemm_batched_kernelIdLi16ELi16ELi32ELi32ELi8ELi32ELi8ELi8ELi32ELc78ELc84EKPKdS3_KPdEEvlllT_PT11_llS8_llS6_PT12_llPT13_lli
		.amdhsa_group_segment_fixed_size 4096
		.amdhsa_private_segment_fixed_size 0
		.amdhsa_kernarg_size 140
		.amdhsa_user_sgpr_count 2
		.amdhsa_user_sgpr_dispatch_ptr 0
		.amdhsa_user_sgpr_queue_ptr 0
		.amdhsa_user_sgpr_kernarg_segment_ptr 1
		.amdhsa_user_sgpr_dispatch_id 0
		.amdhsa_user_sgpr_private_segment_size 0
		.amdhsa_wavefront_size32 1
		.amdhsa_uses_dynamic_stack 0
		.amdhsa_enable_private_segment 0
		.amdhsa_system_sgpr_workgroup_id_x 1
		.amdhsa_system_sgpr_workgroup_id_y 1
		.amdhsa_system_sgpr_workgroup_id_z 1
		.amdhsa_system_sgpr_workgroup_info 0
		.amdhsa_system_vgpr_workitem_id 1
		.amdhsa_next_free_vgpr 51
		.amdhsa_next_free_sgpr 44
		.amdhsa_reserve_vcc 1
		.amdhsa_float_round_mode_32 0
		.amdhsa_float_round_mode_16_64 0
		.amdhsa_float_denorm_mode_32 3
		.amdhsa_float_denorm_mode_16_64 3
		.amdhsa_fp16_overflow 0
		.amdhsa_workgroup_processor_mode 1
		.amdhsa_memory_ordered 1
		.amdhsa_forward_progress 1
		.amdhsa_inst_pref_size 16
		.amdhsa_round_robin_scheduling 0
		.amdhsa_exception_fp_ieee_invalid_op 0
		.amdhsa_exception_fp_denorm_src 0
		.amdhsa_exception_fp_ieee_div_zero 0
		.amdhsa_exception_fp_ieee_overflow 0
		.amdhsa_exception_fp_ieee_underflow 0
		.amdhsa_exception_fp_ieee_inexact 0
		.amdhsa_exception_int_div_zero 0
	.end_amdhsa_kernel
	.section	.text._ZN12_GLOBAL__N_127rocblas_gemm_batched_kernelIdLi16ELi16ELi32ELi32ELi8ELi32ELi8ELi8ELi32ELc78ELc84EKPKdS3_KPdEEvlllT_PT11_llS8_llS6_PT12_llPT13_lli,"axG",@progbits,_ZN12_GLOBAL__N_127rocblas_gemm_batched_kernelIdLi16ELi16ELi32ELi32ELi8ELi32ELi8ELi8ELi32ELc78ELc84EKPKdS3_KPdEEvlllT_PT11_llS8_llS6_PT12_llPT13_lli,comdat
.Lfunc_end216:
	.size	_ZN12_GLOBAL__N_127rocblas_gemm_batched_kernelIdLi16ELi16ELi32ELi32ELi8ELi32ELi8ELi8ELi32ELc78ELc84EKPKdS3_KPdEEvlllT_PT11_llS8_llS6_PT12_llPT13_lli, .Lfunc_end216-_ZN12_GLOBAL__N_127rocblas_gemm_batched_kernelIdLi16ELi16ELi32ELi32ELi8ELi32ELi8ELi8ELi32ELc78ELc84EKPKdS3_KPdEEvlllT_PT11_llS8_llS6_PT12_llPT13_lli
                                        ; -- End function
	.set _ZN12_GLOBAL__N_127rocblas_gemm_batched_kernelIdLi16ELi16ELi32ELi32ELi8ELi32ELi8ELi8ELi32ELc78ELc84EKPKdS3_KPdEEvlllT_PT11_llS8_llS6_PT12_llPT13_lli.num_vgpr, 51
	.set _ZN12_GLOBAL__N_127rocblas_gemm_batched_kernelIdLi16ELi16ELi32ELi32ELi8ELi32ELi8ELi8ELi32ELc78ELc84EKPKdS3_KPdEEvlllT_PT11_llS8_llS6_PT12_llPT13_lli.num_agpr, 0
	.set _ZN12_GLOBAL__N_127rocblas_gemm_batched_kernelIdLi16ELi16ELi32ELi32ELi8ELi32ELi8ELi8ELi32ELc78ELc84EKPKdS3_KPdEEvlllT_PT11_llS8_llS6_PT12_llPT13_lli.numbered_sgpr, 44
	.set _ZN12_GLOBAL__N_127rocblas_gemm_batched_kernelIdLi16ELi16ELi32ELi32ELi8ELi32ELi8ELi8ELi32ELc78ELc84EKPKdS3_KPdEEvlllT_PT11_llS8_llS6_PT12_llPT13_lli.num_named_barrier, 0
	.set _ZN12_GLOBAL__N_127rocblas_gemm_batched_kernelIdLi16ELi16ELi32ELi32ELi8ELi32ELi8ELi8ELi32ELc78ELc84EKPKdS3_KPdEEvlllT_PT11_llS8_llS6_PT12_llPT13_lli.private_seg_size, 0
	.set _ZN12_GLOBAL__N_127rocblas_gemm_batched_kernelIdLi16ELi16ELi32ELi32ELi8ELi32ELi8ELi8ELi32ELc78ELc84EKPKdS3_KPdEEvlllT_PT11_llS8_llS6_PT12_llPT13_lli.uses_vcc, 1
	.set _ZN12_GLOBAL__N_127rocblas_gemm_batched_kernelIdLi16ELi16ELi32ELi32ELi8ELi32ELi8ELi8ELi32ELc78ELc84EKPKdS3_KPdEEvlllT_PT11_llS8_llS6_PT12_llPT13_lli.uses_flat_scratch, 1
	.set _ZN12_GLOBAL__N_127rocblas_gemm_batched_kernelIdLi16ELi16ELi32ELi32ELi8ELi32ELi8ELi8ELi32ELc78ELc84EKPKdS3_KPdEEvlllT_PT11_llS8_llS6_PT12_llPT13_lli.has_dyn_sized_stack, 0
	.set _ZN12_GLOBAL__N_127rocblas_gemm_batched_kernelIdLi16ELi16ELi32ELi32ELi8ELi32ELi8ELi8ELi32ELc78ELc84EKPKdS3_KPdEEvlllT_PT11_llS8_llS6_PT12_llPT13_lli.has_recursion, 0
	.set _ZN12_GLOBAL__N_127rocblas_gemm_batched_kernelIdLi16ELi16ELi32ELi32ELi8ELi32ELi8ELi8ELi32ELc78ELc84EKPKdS3_KPdEEvlllT_PT11_llS8_llS6_PT12_llPT13_lli.has_indirect_call, 0
	.section	.AMDGPU.csdata,"",@progbits
; Kernel info:
; codeLenInByte = 1928
; TotalNumSgprs: 46
; NumVgprs: 51
; ScratchSize: 0
; MemoryBound: 0
; FloatMode: 240
; IeeeMode: 1
; LDSByteSize: 4096 bytes/workgroup (compile time only)
; SGPRBlocks: 0
; VGPRBlocks: 6
; NumSGPRsForWavesPerEU: 46
; NumVGPRsForWavesPerEU: 51
; Occupancy: 16
; WaveLimiterHint : 1
; COMPUTE_PGM_RSRC2:SCRATCH_EN: 0
; COMPUTE_PGM_RSRC2:USER_SGPR: 2
; COMPUTE_PGM_RSRC2:TRAP_HANDLER: 0
; COMPUTE_PGM_RSRC2:TGID_X_EN: 1
; COMPUTE_PGM_RSRC2:TGID_Y_EN: 1
; COMPUTE_PGM_RSRC2:TGID_Z_EN: 1
; COMPUTE_PGM_RSRC2:TIDIG_COMP_CNT: 1
	.section	.text._ZN12_GLOBAL__N_127rocblas_gemm_batched_kernelIdLi16ELi16ELi32ELi32ELi8ELi32ELi8ELi8ELi32ELc84ELc84EKPKdS3_KPdEEvlllT_PT11_llS8_llS6_PT12_llPT13_lli,"axG",@progbits,_ZN12_GLOBAL__N_127rocblas_gemm_batched_kernelIdLi16ELi16ELi32ELi32ELi8ELi32ELi8ELi8ELi32ELc84ELc84EKPKdS3_KPdEEvlllT_PT11_llS8_llS6_PT12_llPT13_lli,comdat
	.globl	_ZN12_GLOBAL__N_127rocblas_gemm_batched_kernelIdLi16ELi16ELi32ELi32ELi8ELi32ELi8ELi8ELi32ELc84ELc84EKPKdS3_KPdEEvlllT_PT11_llS8_llS6_PT12_llPT13_lli ; -- Begin function _ZN12_GLOBAL__N_127rocblas_gemm_batched_kernelIdLi16ELi16ELi32ELi32ELi8ELi32ELi8ELi8ELi32ELc84ELc84EKPKdS3_KPdEEvlllT_PT11_llS8_llS6_PT12_llPT13_lli
	.p2align	8
	.type	_ZN12_GLOBAL__N_127rocblas_gemm_batched_kernelIdLi16ELi16ELi32ELi32ELi8ELi32ELi8ELi8ELi32ELc84ELc84EKPKdS3_KPdEEvlllT_PT11_llS8_llS6_PT12_llPT13_lli,@function
_ZN12_GLOBAL__N_127rocblas_gemm_batched_kernelIdLi16ELi16ELi32ELi32ELi8ELi32ELi8ELi8ELi32ELc84ELc84EKPKdS3_KPdEEvlllT_PT11_llS8_llS6_PT12_llPT13_lli: ; @_ZN12_GLOBAL__N_127rocblas_gemm_batched_kernelIdLi16ELi16ELi32ELi32ELi8ELi32ELi8ELi8ELi32ELc84ELc84EKPKdS3_KPdEEvlllT_PT11_llS8_llS6_PT12_llPT13_lli
; %bb.0:
	s_load_b32 s30, s[0:1], 0x88
	s_lshr_b32 s28, ttmp7, 16
	s_wait_kmcnt 0x0
	s_cmp_ge_i32 s28, s30
	s_cbranch_scc1 .LBB217_11
; %bb.1:
	s_clause 0x1
	s_load_b256 s[20:27], s[0:1], 0x70
	s_load_b512 s[4:19], s[0:1], 0x10
	v_dual_mov_b32 v1, 0 :: v_dual_and_b32 v8, 0x3ff, v0
	v_bfe_u32 v2, v0, 10, 10
	s_load_b256 s[36:43], s[0:1], 0x50
	v_and_b32_e32 v12, 7, v0
	s_lshl_b32 s0, ttmp7, 5
	s_mov_b32 s2, ttmp9
	v_lshl_add_u32 v3, v2, 4, v8
	s_wait_kmcnt 0x0
	s_and_b32 s26, s0, 0x1fffe0
	v_lshlrev_b32_e32 v4, 3, v12
	v_add_nc_u32_e32 v14, s26, v2
	v_lshl_add_u32 v27, v2, 6, 0x800
	v_lshrrev_b32_e32 v0, 3, v3
	v_lshrrev_b32_e32 v15, 5, v3
	s_ashr_i32 s3, ttmp9, 31
	v_lshlrev_b32_e32 v26, 3, v8
	s_lshl_b64 s[0:1], s[2:3], 5
	v_lshl_or_b32 v6, v0, 6, v4
	v_mad_co_u64_u32 v[4:5], null, v14, s22, 0
	v_and_b32_e32 v13, 31, v3
	v_add_co_u32 v8, s2, s0, v8
	s_delay_alu instid0(VALU_DEP_4) | instskip(SKIP_1) | instid1(VALU_DEP_4)
	v_add_nc_u32_e32 v25, 0x800, v6
	v_mad_co_u64_u32 v[6:7], null, v14, s40, 0
	v_lshlrev_b32_e32 v3, 3, v13
	v_add_co_ci_u32_e64 v9, null, s1, 0, s2
	s_lshl_b64 s[2:3], s[22:23], 4
	s_mov_b32 s29, 0
	v_lshl_or_b32 v24, v15, 8, v3
	v_mad_co_u64_u32 v[2:3], null, s16, v12, v[0:1]
	v_mov_b32_e32 v0, v5
	v_or_b32_e32 v5, s0, v13
	s_mul_i32 s0, s10, s1
	s_delay_alu instid0(VALU_DEP_2) | instskip(SKIP_3) | instid1(VALU_DEP_3)
	v_mad_co_u64_u32 v[10:11], null, v14, s23, v[0:1]
	v_mov_b32_e32 v0, v7
	v_mad_co_u64_u32 v[11:12], null, s17, v12, v[3:4]
	v_add_co_u32 v2, vcc_lo, v2, s26
	v_mad_co_u64_u32 v[12:13], null, v14, s41, v[0:1]
	v_mul_lo_u32 v0, s11, v5
	v_mad_co_u64_u32 v[13:14], null, s10, v5, 0
	v_add_co_ci_u32_e64 v3, null, 0, v11, vcc_lo
	v_mov_b32_e32 v5, v10
	v_mov_b32_e32 v7, v12
	s_lshl_b64 s[22:23], s[40:41], 4
	s_delay_alu instid0(VALU_DEP_3)
	v_lshlrev_b64_e32 v[2:3], 3, v[2:3]
	s_wait_alu 0xfffe
	v_add3_u32 v14, v14, s0, v0
	s_lshl_b64 s[0:1], s[18:19], 3
	v_lshlrev_b64_e32 v[4:5], 3, v[4:5]
	s_lshl_b64 s[10:11], s[16:17], 6
	s_lshl_b64 s[16:17], s[42:43], 3
	v_lshlrev_b64_e32 v[10:11], 3, v[13:14]
	s_wait_alu 0xfffe
	v_add_co_u32 v0, vcc_lo, s0, v2
	s_wait_alu 0xfffd
	v_add_co_ci_u32_e64 v28, null, s1, v3, vcc_lo
	s_lshl_b64 s[0:1], s[12:13], 3
	v_lshlrev_b32_e32 v2, 3, v15
	s_wait_alu 0xfffe
	v_add_co_u32 v3, vcc_lo, v10, s0
	s_wait_alu 0xfffd
	v_add_co_ci_u32_e64 v10, null, s1, v11, vcc_lo
	v_cmp_eq_f64_e64 s1, s[36:37], 0
	v_cmp_gt_i64_e64 s0, s[4:5], 0
	v_add_co_u32 v29, vcc_lo, v3, v2
	s_wait_alu 0xfffd
	v_add_co_ci_u32_e64 v30, null, 0, v10, vcc_lo
	v_lshlrev_b64_e32 v[2:3], 3, v[6:7]
	s_wait_alu 0xf1ff
	v_cndmask_b32_e64 v11, 0, 1, s0
	v_lshlrev_b64_e32 v[6:7], 3, v[8:9]
	s_lshl_b64 s[12:13], s[24:25], 3
	s_lshl_b64 s[18:19], s[22:23], 3
	;; [unrolled: 1-line block ×3, first 2 shown]
	v_cmp_ne_u32_e64 s0, 1, v11
	v_cndmask_b32_e64 v10, 0, 1, s1
	s_delay_alu instid0(VALU_DEP_1)
	v_cmp_ne_u32_e64 s1, 1, v10
	s_branch .LBB217_3
.LBB217_2:                              ;   in Loop: Header=BB217_3 Depth=1
	s_add_co_i32 s28, s28, 0x10000
	s_delay_alu instid0(SALU_CYCLE_1)
	s_cmp_lt_i32 s28, s30
	s_cbranch_scc0 .LBB217_11
.LBB217_3:                              ; =>This Loop Header: Depth=1
                                        ;     Child Loop BB217_5 Depth 2
	s_lshl_b64 s[2:3], s[28:29], 3
	s_and_b32 vcc_lo, exec_lo, s0
	s_wait_alu 0xfffe
	s_add_nc_u64 s[24:25], s[38:39], s[2:3]
	s_add_nc_u64 s[26:27], s[20:21], s[2:3]
	s_clause 0x1
	global_load_b64 v[8:9], v1, s[24:25]
	global_load_b64 v[10:11], v1, s[26:27]
	s_cbranch_vccnz .LBB217_8
; %bb.4:                                ;   in Loop: Header=BB217_3 Depth=1
	s_add_nc_u64 s[24:25], s[14:15], s[2:3]
	s_add_nc_u64 s[2:3], s[8:9], s[2:3]
	s_clause 0x1
	global_load_b64 v[20:21], v1, s[24:25]
	global_load_b64 v[22:23], v1, s[2:3]
	v_mov_b32_e32 v12, 0
	v_dual_mov_b32 v16, 0 :: v_dual_mov_b32 v13, 0
	v_dual_mov_b32 v14, 0 :: v_dual_mov_b32 v17, 0
	;; [unrolled: 1-line block ×3, first 2 shown]
	v_mov_b32_e32 v19, 0
	s_mov_b64 s[24:25], 0
	s_wait_loadcnt 0x1
	v_add_co_u32 v20, vcc_lo, v20, v0
	s_wait_alu 0xfffd
	v_add_co_ci_u32_e64 v21, null, v21, v28, vcc_lo
	s_wait_loadcnt 0x0
	v_add_co_u32 v22, vcc_lo, v22, v29
	s_wait_alu 0xfffd
	v_add_co_ci_u32_e64 v23, null, v23, v30, vcc_lo
.LBB217_5:                              ;   Parent Loop BB217_3 Depth=1
                                        ; =>  This Inner Loop Header: Depth=2
	flat_load_b64 v[31:32], v[22:23]
	s_wait_alu 0xfffe
	s_add_nc_u64 s[24:25], s[24:25], 8
	v_add_co_u32 v22, vcc_lo, v22, 64
	s_wait_alu 0xfffe
	v_cmp_lt_i64_e64 s2, s[24:25], s[4:5]
	s_wait_alu 0xfffd
	v_add_co_ci_u32_e64 v23, null, 0, v23, vcc_lo
	s_and_b32 vcc_lo, exec_lo, s2
	s_wait_loadcnt_dscnt 0x0
	ds_store_b64 v24, v[31:32]
	flat_load_b64 v[31:32], v[20:21]
	v_add_co_u32 v20, s2, v20, s10
	s_wait_alu 0xf1ff
	v_add_co_ci_u32_e64 v21, null, s11, v21, s2
	s_wait_loadcnt_dscnt 0x0
	ds_store_b64 v25, v[31:32]
	s_wait_dscnt 0x0
	s_barrier_signal -1
	s_barrier_wait -1
	global_inv scope:SCOPE_SE
	ds_load_b128 v[31:34], v27
	ds_load_2addr_b64 v[35:38], v26 offset1:16
	ds_load_b128 v[39:42], v27 offset:1024
	ds_load_b128 v[43:46], v27 offset:16
	ds_load_b128 v[47:50], v27 offset:1040
	s_wait_dscnt 0x3
	v_fma_f64 v[18:19], v[35:36], v[31:32], v[18:19]
	v_fma_f64 v[16:17], v[37:38], v[31:32], v[16:17]
	s_wait_dscnt 0x2
	v_fma_f64 v[31:32], v[35:36], v[39:40], v[14:15]
	v_fma_f64 v[35:36], v[37:38], v[39:40], v[12:13]
	ds_load_2addr_b64 v[12:15], v26 offset0:32 offset1:48
	s_wait_dscnt 0x0
	v_fma_f64 v[18:19], v[12:13], v[33:34], v[18:19]
	v_fma_f64 v[16:17], v[14:15], v[33:34], v[16:17]
	v_fma_f64 v[31:32], v[12:13], v[41:42], v[31:32]
	v_fma_f64 v[33:34], v[14:15], v[41:42], v[35:36]
	ds_load_2addr_b64 v[12:15], v26 offset0:64 offset1:80
	s_wait_dscnt 0x0
	v_fma_f64 v[18:19], v[12:13], v[43:44], v[18:19]
	v_fma_f64 v[16:17], v[14:15], v[43:44], v[16:17]
	v_fma_f64 v[31:32], v[12:13], v[47:48], v[31:32]
	v_fma_f64 v[33:34], v[14:15], v[47:48], v[33:34]
	ds_load_2addr_b64 v[12:15], v26 offset0:96 offset1:112
	s_wait_dscnt 0x0
	v_fma_f64 v[43:44], v[12:13], v[45:46], v[18:19]
	v_fma_f64 v[45:46], v[14:15], v[45:46], v[16:17]
	v_fma_f64 v[47:48], v[12:13], v[49:50], v[31:32]
	v_fma_f64 v[49:50], v[14:15], v[49:50], v[33:34]
	ds_load_b128 v[12:15], v27 offset:32
	ds_load_2addr_b64 v[16:19], v26 offset0:128 offset1:144
	ds_load_b128 v[31:34], v27 offset:1056
	ds_load_b128 v[35:38], v27 offset:48
	;; [unrolled: 1-line block ×3, first 2 shown]
	s_wait_dscnt 0x3
	v_fma_f64 v[43:44], v[16:17], v[12:13], v[43:44]
	v_fma_f64 v[12:13], v[18:19], v[12:13], v[45:46]
	s_wait_dscnt 0x2
	v_fma_f64 v[45:46], v[16:17], v[31:32], v[47:48]
	v_fma_f64 v[31:32], v[18:19], v[31:32], v[49:50]
	ds_load_2addr_b64 v[16:19], v26 offset0:160 offset1:176
	s_wait_dscnt 0x0
	v_fma_f64 v[43:44], v[16:17], v[14:15], v[43:44]
	v_fma_f64 v[47:48], v[18:19], v[14:15], v[12:13]
	;; [unrolled: 1-line block ×4, first 2 shown]
	ds_load_2addr_b64 v[12:15], v26 offset0:192 offset1:208
	ds_load_2addr_b64 v[31:34], v26 offset0:224 offset1:240
	s_wait_loadcnt_dscnt 0x0
	s_barrier_signal -1
	s_barrier_wait -1
	global_inv scope:SCOPE_SE
	v_fma_f64 v[43:44], v[12:13], v[35:36], v[43:44]
	v_fma_f64 v[35:36], v[14:15], v[35:36], v[47:48]
	;; [unrolled: 1-line block ×4, first 2 shown]
	s_delay_alu instid0(VALU_DEP_4) | instskip(NEXT) | instid1(VALU_DEP_4)
	v_fma_f64 v[18:19], v[31:32], v[37:38], v[43:44]
	v_fma_f64 v[16:17], v[33:34], v[37:38], v[35:36]
	s_delay_alu instid0(VALU_DEP_4) | instskip(NEXT) | instid1(VALU_DEP_4)
	v_fma_f64 v[14:15], v[31:32], v[41:42], v[12:13]
	v_fma_f64 v[12:13], v[33:34], v[41:42], v[39:40]
	s_wait_alu 0xfffe
	s_cbranch_vccnz .LBB217_5
; %bb.6:                                ;   in Loop: Header=BB217_3 Depth=1
	v_add_co_u32 v10, vcc_lo, v10, s12
	s_wait_alu 0xfffd
	v_add_co_ci_u32_e64 v11, null, s13, v11, vcc_lo
	s_and_b32 vcc_lo, exec_lo, s1
	s_wait_alu 0xfffe
	s_cbranch_vccnz .LBB217_9
.LBB217_7:                              ;   in Loop: Header=BB217_3 Depth=1
	v_mul_f64_e32 v[20:21], s[6:7], v[18:19]
	v_mul_f64_e32 v[22:23], s[6:7], v[16:17]
	;; [unrolled: 1-line block ×4, first 2 shown]
	v_add_co_u32 v35, vcc_lo, v10, v4
	s_wait_alu 0xfffd
	v_add_co_ci_u32_e64 v36, null, v11, v5, vcc_lo
	s_delay_alu instid0(VALU_DEP_2) | instskip(SKIP_1) | instid1(VALU_DEP_2)
	v_add_co_u32 v37, vcc_lo, v35, s22
	s_wait_alu 0xfffd
	v_add_co_ci_u32_e64 v38, null, s23, v36, vcc_lo
	v_add_co_u32 v35, vcc_lo, v35, v6
	s_wait_alu 0xfffd
	v_add_co_ci_u32_e64 v36, null, v36, v7, vcc_lo
	;; [unrolled: 3-line block ×3, first 2 shown]
	s_clause 0x3
	flat_store_b64 v[35:36], v[20:21]
	flat_store_b64 v[35:36], v[22:23] offset:128
	flat_store_b64 v[37:38], v[31:32]
	flat_store_b64 v[37:38], v[33:34] offset:128
	s_cbranch_execnz .LBB217_2
	s_branch .LBB217_10
.LBB217_8:                              ;   in Loop: Header=BB217_3 Depth=1
	v_mov_b32_e32 v18, 0
	v_dual_mov_b32 v14, 0 :: v_dual_mov_b32 v19, 0
	v_dual_mov_b32 v16, 0 :: v_dual_mov_b32 v15, 0
	;; [unrolled: 1-line block ×3, first 2 shown]
	v_mov_b32_e32 v13, 0
	s_wait_loadcnt 0x0
	v_add_co_u32 v10, vcc_lo, v10, s12
	s_wait_alu 0xfffd
	v_add_co_ci_u32_e64 v11, null, s13, v11, vcc_lo
	s_and_b32 vcc_lo, exec_lo, s1
	s_wait_alu 0xfffe
	s_cbranch_vccz .LBB217_7
.LBB217_9:                              ;   in Loop: Header=BB217_3 Depth=1
.LBB217_10:                             ;   in Loop: Header=BB217_3 Depth=1
	v_add_co_u32 v8, vcc_lo, v8, s16
	s_wait_alu 0xfffd
	v_add_co_ci_u32_e64 v9, null, s17, v9, vcc_lo
	s_delay_alu instid0(VALU_DEP_2) | instskip(SKIP_1) | instid1(VALU_DEP_2)
	v_add_co_u32 v22, vcc_lo, v8, v2
	s_wait_alu 0xfffd
	v_add_co_ci_u32_e64 v23, null, v9, v3, vcc_lo
	s_delay_alu instid0(VALU_DEP_2) | instskip(SKIP_1) | instid1(VALU_DEP_2)
	v_add_co_u32 v8, vcc_lo, v22, v6
	s_wait_alu 0xfffd
	v_add_co_ci_u32_e64 v9, null, v23, v7, vcc_lo
	flat_load_b64 v[20:21], v[8:9]
	s_wait_loadcnt_dscnt 0x0
	v_mul_f64_e32 v[20:21], s[36:37], v[20:21]
	s_delay_alu instid0(VALU_DEP_1) | instskip(SKIP_3) | instid1(VALU_DEP_2)
	v_fma_f64 v[18:19], s[6:7], v[18:19], v[20:21]
	v_add_co_u32 v20, vcc_lo, v10, v4
	s_wait_alu 0xfffd
	v_add_co_ci_u32_e64 v21, null, v11, v5, vcc_lo
	v_add_co_u32 v10, vcc_lo, v20, v6
	s_wait_alu 0xfffd
	s_delay_alu instid0(VALU_DEP_2) | instskip(SKIP_4) | instid1(VALU_DEP_1)
	v_add_co_ci_u32_e64 v11, null, v21, v7, vcc_lo
	flat_store_b64 v[10:11], v[18:19]
	flat_load_b64 v[8:9], v[8:9] offset:128
	s_wait_loadcnt_dscnt 0x0
	v_mul_f64_e32 v[8:9], s[36:37], v[8:9]
	v_fma_f64 v[8:9], s[6:7], v[16:17], v[8:9]
	v_add_co_u32 v16, vcc_lo, v22, s18
	s_wait_alu 0xfffd
	v_add_co_ci_u32_e64 v17, null, s19, v23, vcc_lo
	s_delay_alu instid0(VALU_DEP_2) | instskip(SKIP_1) | instid1(VALU_DEP_2)
	v_add_co_u32 v16, vcc_lo, v16, v6
	s_wait_alu 0xfffd
	v_add_co_ci_u32_e64 v17, null, v17, v7, vcc_lo
	flat_store_b64 v[10:11], v[8:9] offset:128
	flat_load_b64 v[8:9], v[16:17]
	v_add_co_u32 v10, vcc_lo, v20, s22
	s_wait_alu 0xfffd
	v_add_co_ci_u32_e64 v11, null, s23, v21, vcc_lo
	s_delay_alu instid0(VALU_DEP_2) | instskip(SKIP_1) | instid1(VALU_DEP_2)
	v_add_co_u32 v10, vcc_lo, v10, v6
	s_wait_alu 0xfffd
	v_add_co_ci_u32_e64 v11, null, v11, v7, vcc_lo
	s_wait_loadcnt_dscnt 0x0
	v_mul_f64_e32 v[8:9], s[36:37], v[8:9]
	s_delay_alu instid0(VALU_DEP_1) | instskip(SKIP_4) | instid1(VALU_DEP_1)
	v_fma_f64 v[8:9], s[6:7], v[14:15], v[8:9]
	flat_store_b64 v[10:11], v[8:9]
	flat_load_b64 v[8:9], v[16:17] offset:128
	s_wait_loadcnt_dscnt 0x0
	v_mul_f64_e32 v[8:9], s[36:37], v[8:9]
	v_fma_f64 v[8:9], s[6:7], v[12:13], v[8:9]
	flat_store_b64 v[10:11], v[8:9] offset:128
	s_branch .LBB217_2
.LBB217_11:
	s_endpgm
	.section	.rodata,"a",@progbits
	.p2align	6, 0x0
	.amdhsa_kernel _ZN12_GLOBAL__N_127rocblas_gemm_batched_kernelIdLi16ELi16ELi32ELi32ELi8ELi32ELi8ELi8ELi32ELc84ELc84EKPKdS3_KPdEEvlllT_PT11_llS8_llS6_PT12_llPT13_lli
		.amdhsa_group_segment_fixed_size 4096
		.amdhsa_private_segment_fixed_size 0
		.amdhsa_kernarg_size 140
		.amdhsa_user_sgpr_count 2
		.amdhsa_user_sgpr_dispatch_ptr 0
		.amdhsa_user_sgpr_queue_ptr 0
		.amdhsa_user_sgpr_kernarg_segment_ptr 1
		.amdhsa_user_sgpr_dispatch_id 0
		.amdhsa_user_sgpr_private_segment_size 0
		.amdhsa_wavefront_size32 1
		.amdhsa_uses_dynamic_stack 0
		.amdhsa_enable_private_segment 0
		.amdhsa_system_sgpr_workgroup_id_x 1
		.amdhsa_system_sgpr_workgroup_id_y 1
		.amdhsa_system_sgpr_workgroup_id_z 1
		.amdhsa_system_sgpr_workgroup_info 0
		.amdhsa_system_vgpr_workitem_id 1
		.amdhsa_next_free_vgpr 51
		.amdhsa_next_free_sgpr 44
		.amdhsa_reserve_vcc 1
		.amdhsa_float_round_mode_32 0
		.amdhsa_float_round_mode_16_64 0
		.amdhsa_float_denorm_mode_32 3
		.amdhsa_float_denorm_mode_16_64 3
		.amdhsa_fp16_overflow 0
		.amdhsa_workgroup_processor_mode 1
		.amdhsa_memory_ordered 1
		.amdhsa_forward_progress 1
		.amdhsa_inst_pref_size 16
		.amdhsa_round_robin_scheduling 0
		.amdhsa_exception_fp_ieee_invalid_op 0
		.amdhsa_exception_fp_denorm_src 0
		.amdhsa_exception_fp_ieee_div_zero 0
		.amdhsa_exception_fp_ieee_overflow 0
		.amdhsa_exception_fp_ieee_underflow 0
		.amdhsa_exception_fp_ieee_inexact 0
		.amdhsa_exception_int_div_zero 0
	.end_amdhsa_kernel
	.section	.text._ZN12_GLOBAL__N_127rocblas_gemm_batched_kernelIdLi16ELi16ELi32ELi32ELi8ELi32ELi8ELi8ELi32ELc84ELc84EKPKdS3_KPdEEvlllT_PT11_llS8_llS6_PT12_llPT13_lli,"axG",@progbits,_ZN12_GLOBAL__N_127rocblas_gemm_batched_kernelIdLi16ELi16ELi32ELi32ELi8ELi32ELi8ELi8ELi32ELc84ELc84EKPKdS3_KPdEEvlllT_PT11_llS8_llS6_PT12_llPT13_lli,comdat
.Lfunc_end217:
	.size	_ZN12_GLOBAL__N_127rocblas_gemm_batched_kernelIdLi16ELi16ELi32ELi32ELi8ELi32ELi8ELi8ELi32ELc84ELc84EKPKdS3_KPdEEvlllT_PT11_llS8_llS6_PT12_llPT13_lli, .Lfunc_end217-_ZN12_GLOBAL__N_127rocblas_gemm_batched_kernelIdLi16ELi16ELi32ELi32ELi8ELi32ELi8ELi8ELi32ELc84ELc84EKPKdS3_KPdEEvlllT_PT11_llS8_llS6_PT12_llPT13_lli
                                        ; -- End function
	.set _ZN12_GLOBAL__N_127rocblas_gemm_batched_kernelIdLi16ELi16ELi32ELi32ELi8ELi32ELi8ELi8ELi32ELc84ELc84EKPKdS3_KPdEEvlllT_PT11_llS8_llS6_PT12_llPT13_lli.num_vgpr, 51
	.set _ZN12_GLOBAL__N_127rocblas_gemm_batched_kernelIdLi16ELi16ELi32ELi32ELi8ELi32ELi8ELi8ELi32ELc84ELc84EKPKdS3_KPdEEvlllT_PT11_llS8_llS6_PT12_llPT13_lli.num_agpr, 0
	.set _ZN12_GLOBAL__N_127rocblas_gemm_batched_kernelIdLi16ELi16ELi32ELi32ELi8ELi32ELi8ELi8ELi32ELc84ELc84EKPKdS3_KPdEEvlllT_PT11_llS8_llS6_PT12_llPT13_lli.numbered_sgpr, 44
	.set _ZN12_GLOBAL__N_127rocblas_gemm_batched_kernelIdLi16ELi16ELi32ELi32ELi8ELi32ELi8ELi8ELi32ELc84ELc84EKPKdS3_KPdEEvlllT_PT11_llS8_llS6_PT12_llPT13_lli.num_named_barrier, 0
	.set _ZN12_GLOBAL__N_127rocblas_gemm_batched_kernelIdLi16ELi16ELi32ELi32ELi8ELi32ELi8ELi8ELi32ELc84ELc84EKPKdS3_KPdEEvlllT_PT11_llS8_llS6_PT12_llPT13_lli.private_seg_size, 0
	.set _ZN12_GLOBAL__N_127rocblas_gemm_batched_kernelIdLi16ELi16ELi32ELi32ELi8ELi32ELi8ELi8ELi32ELc84ELc84EKPKdS3_KPdEEvlllT_PT11_llS8_llS6_PT12_llPT13_lli.uses_vcc, 1
	.set _ZN12_GLOBAL__N_127rocblas_gemm_batched_kernelIdLi16ELi16ELi32ELi32ELi8ELi32ELi8ELi8ELi32ELc84ELc84EKPKdS3_KPdEEvlllT_PT11_llS8_llS6_PT12_llPT13_lli.uses_flat_scratch, 1
	.set _ZN12_GLOBAL__N_127rocblas_gemm_batched_kernelIdLi16ELi16ELi32ELi32ELi8ELi32ELi8ELi8ELi32ELc84ELc84EKPKdS3_KPdEEvlllT_PT11_llS8_llS6_PT12_llPT13_lli.has_dyn_sized_stack, 0
	.set _ZN12_GLOBAL__N_127rocblas_gemm_batched_kernelIdLi16ELi16ELi32ELi32ELi8ELi32ELi8ELi8ELi32ELc84ELc84EKPKdS3_KPdEEvlllT_PT11_llS8_llS6_PT12_llPT13_lli.has_recursion, 0
	.set _ZN12_GLOBAL__N_127rocblas_gemm_batched_kernelIdLi16ELi16ELi32ELi32ELi8ELi32ELi8ELi8ELi32ELc84ELc84EKPKdS3_KPdEEvlllT_PT11_llS8_llS6_PT12_llPT13_lli.has_indirect_call, 0
	.section	.AMDGPU.csdata,"",@progbits
; Kernel info:
; codeLenInByte = 1932
; TotalNumSgprs: 46
; NumVgprs: 51
; ScratchSize: 0
; MemoryBound: 0
; FloatMode: 240
; IeeeMode: 1
; LDSByteSize: 4096 bytes/workgroup (compile time only)
; SGPRBlocks: 0
; VGPRBlocks: 6
; NumSGPRsForWavesPerEU: 46
; NumVGPRsForWavesPerEU: 51
; Occupancy: 16
; WaveLimiterHint : 1
; COMPUTE_PGM_RSRC2:SCRATCH_EN: 0
; COMPUTE_PGM_RSRC2:USER_SGPR: 2
; COMPUTE_PGM_RSRC2:TRAP_HANDLER: 0
; COMPUTE_PGM_RSRC2:TGID_X_EN: 1
; COMPUTE_PGM_RSRC2:TGID_Y_EN: 1
; COMPUTE_PGM_RSRC2:TGID_Z_EN: 1
; COMPUTE_PGM_RSRC2:TIDIG_COMP_CNT: 1
	.section	.text._ZN12_GLOBAL__N_127rocblas_gemm_batched_kernelIdLi16ELi16ELi32ELi32ELi8ELi32ELi8ELi8ELi32ELc67ELc67EKPKdS3_KPdEEvlllT_PT11_llS8_llS6_PT12_llPT13_lli,"axG",@progbits,_ZN12_GLOBAL__N_127rocblas_gemm_batched_kernelIdLi16ELi16ELi32ELi32ELi8ELi32ELi8ELi8ELi32ELc67ELc67EKPKdS3_KPdEEvlllT_PT11_llS8_llS6_PT12_llPT13_lli,comdat
	.globl	_ZN12_GLOBAL__N_127rocblas_gemm_batched_kernelIdLi16ELi16ELi32ELi32ELi8ELi32ELi8ELi8ELi32ELc67ELc67EKPKdS3_KPdEEvlllT_PT11_llS8_llS6_PT12_llPT13_lli ; -- Begin function _ZN12_GLOBAL__N_127rocblas_gemm_batched_kernelIdLi16ELi16ELi32ELi32ELi8ELi32ELi8ELi8ELi32ELc67ELc67EKPKdS3_KPdEEvlllT_PT11_llS8_llS6_PT12_llPT13_lli
	.p2align	8
	.type	_ZN12_GLOBAL__N_127rocblas_gemm_batched_kernelIdLi16ELi16ELi32ELi32ELi8ELi32ELi8ELi8ELi32ELc67ELc67EKPKdS3_KPdEEvlllT_PT11_llS8_llS6_PT12_llPT13_lli,@function
_ZN12_GLOBAL__N_127rocblas_gemm_batched_kernelIdLi16ELi16ELi32ELi32ELi8ELi32ELi8ELi8ELi32ELc67ELc67EKPKdS3_KPdEEvlllT_PT11_llS8_llS6_PT12_llPT13_lli: ; @_ZN12_GLOBAL__N_127rocblas_gemm_batched_kernelIdLi16ELi16ELi32ELi32ELi8ELi32ELi8ELi8ELi32ELc67ELc67EKPKdS3_KPdEEvlllT_PT11_llS8_llS6_PT12_llPT13_lli
; %bb.0:
	s_load_b32 s30, s[0:1], 0x88
	s_lshr_b32 s28, ttmp7, 16
	s_wait_kmcnt 0x0
	s_cmp_ge_i32 s28, s30
	s_cbranch_scc1 .LBB218_11
; %bb.1:
	s_clause 0x1
	s_load_b256 s[20:27], s[0:1], 0x70
	s_load_b512 s[4:19], s[0:1], 0x10
	v_dual_mov_b32 v1, 0 :: v_dual_and_b32 v8, 0x3ff, v0
	v_bfe_u32 v2, v0, 10, 10
	s_load_b256 s[36:43], s[0:1], 0x50
	v_and_b32_e32 v12, 7, v0
	s_lshl_b32 s0, ttmp7, 5
	s_mov_b32 s2, ttmp9
	v_lshl_add_u32 v3, v2, 4, v8
	s_wait_kmcnt 0x0
	s_and_b32 s26, s0, 0x1fffe0
	v_lshlrev_b32_e32 v4, 3, v12
	v_add_nc_u32_e32 v14, s26, v2
	v_lshl_add_u32 v27, v2, 6, 0x800
	v_lshrrev_b32_e32 v0, 3, v3
	v_lshrrev_b32_e32 v15, 5, v3
	s_ashr_i32 s3, ttmp9, 31
	v_lshlrev_b32_e32 v26, 3, v8
	s_lshl_b64 s[0:1], s[2:3], 5
	v_lshl_or_b32 v6, v0, 6, v4
	v_mad_co_u64_u32 v[4:5], null, v14, s22, 0
	v_and_b32_e32 v13, 31, v3
	v_add_co_u32 v8, s2, s0, v8
	s_delay_alu instid0(VALU_DEP_4) | instskip(SKIP_1) | instid1(VALU_DEP_4)
	v_add_nc_u32_e32 v25, 0x800, v6
	v_mad_co_u64_u32 v[6:7], null, v14, s40, 0
	v_lshlrev_b32_e32 v3, 3, v13
	v_add_co_ci_u32_e64 v9, null, s1, 0, s2
	s_lshl_b64 s[2:3], s[22:23], 4
	s_mov_b32 s29, 0
	v_lshl_or_b32 v24, v15, 8, v3
	v_mad_co_u64_u32 v[2:3], null, s16, v12, v[0:1]
	v_mov_b32_e32 v0, v5
	v_or_b32_e32 v5, s0, v13
	s_mul_i32 s0, s10, s1
	s_delay_alu instid0(VALU_DEP_2) | instskip(SKIP_3) | instid1(VALU_DEP_3)
	v_mad_co_u64_u32 v[10:11], null, v14, s23, v[0:1]
	v_mov_b32_e32 v0, v7
	v_mad_co_u64_u32 v[11:12], null, s17, v12, v[3:4]
	v_add_co_u32 v2, vcc_lo, v2, s26
	v_mad_co_u64_u32 v[12:13], null, v14, s41, v[0:1]
	v_mul_lo_u32 v0, s11, v5
	v_mad_co_u64_u32 v[13:14], null, s10, v5, 0
	v_add_co_ci_u32_e64 v3, null, 0, v11, vcc_lo
	v_mov_b32_e32 v5, v10
	v_mov_b32_e32 v7, v12
	s_lshl_b64 s[22:23], s[40:41], 4
	s_delay_alu instid0(VALU_DEP_3)
	v_lshlrev_b64_e32 v[2:3], 3, v[2:3]
	s_wait_alu 0xfffe
	v_add3_u32 v14, v14, s0, v0
	s_lshl_b64 s[0:1], s[18:19], 3
	v_lshlrev_b64_e32 v[4:5], 3, v[4:5]
	s_lshl_b64 s[10:11], s[16:17], 6
	s_lshl_b64 s[16:17], s[42:43], 3
	v_lshlrev_b64_e32 v[10:11], 3, v[13:14]
	s_wait_alu 0xfffe
	v_add_co_u32 v0, vcc_lo, s0, v2
	s_wait_alu 0xfffd
	v_add_co_ci_u32_e64 v28, null, s1, v3, vcc_lo
	s_lshl_b64 s[0:1], s[12:13], 3
	v_lshlrev_b32_e32 v2, 3, v15
	s_wait_alu 0xfffe
	v_add_co_u32 v3, vcc_lo, v10, s0
	s_wait_alu 0xfffd
	v_add_co_ci_u32_e64 v10, null, s1, v11, vcc_lo
	v_cmp_eq_f64_e64 s1, s[36:37], 0
	v_cmp_gt_i64_e64 s0, s[4:5], 0
	v_add_co_u32 v29, vcc_lo, v3, v2
	s_wait_alu 0xfffd
	v_add_co_ci_u32_e64 v30, null, 0, v10, vcc_lo
	v_lshlrev_b64_e32 v[2:3], 3, v[6:7]
	s_wait_alu 0xf1ff
	v_cndmask_b32_e64 v11, 0, 1, s0
	v_lshlrev_b64_e32 v[6:7], 3, v[8:9]
	s_lshl_b64 s[12:13], s[24:25], 3
	s_lshl_b64 s[18:19], s[22:23], 3
	;; [unrolled: 1-line block ×3, first 2 shown]
	v_cmp_ne_u32_e64 s0, 1, v11
	v_cndmask_b32_e64 v10, 0, 1, s1
	s_delay_alu instid0(VALU_DEP_1)
	v_cmp_ne_u32_e64 s1, 1, v10
	s_branch .LBB218_3
.LBB218_2:                              ;   in Loop: Header=BB218_3 Depth=1
	s_add_co_i32 s28, s28, 0x10000
	s_delay_alu instid0(SALU_CYCLE_1)
	s_cmp_lt_i32 s28, s30
	s_cbranch_scc0 .LBB218_11
.LBB218_3:                              ; =>This Loop Header: Depth=1
                                        ;     Child Loop BB218_5 Depth 2
	s_lshl_b64 s[2:3], s[28:29], 3
	s_and_b32 vcc_lo, exec_lo, s0
	s_wait_alu 0xfffe
	s_add_nc_u64 s[24:25], s[38:39], s[2:3]
	s_add_nc_u64 s[26:27], s[20:21], s[2:3]
	s_clause 0x1
	global_load_b64 v[8:9], v1, s[24:25]
	global_load_b64 v[10:11], v1, s[26:27]
	s_cbranch_vccnz .LBB218_8
; %bb.4:                                ;   in Loop: Header=BB218_3 Depth=1
	s_add_nc_u64 s[24:25], s[14:15], s[2:3]
	s_add_nc_u64 s[2:3], s[8:9], s[2:3]
	s_clause 0x1
	global_load_b64 v[20:21], v1, s[24:25]
	global_load_b64 v[22:23], v1, s[2:3]
	v_mov_b32_e32 v12, 0
	v_dual_mov_b32 v16, 0 :: v_dual_mov_b32 v13, 0
	v_dual_mov_b32 v14, 0 :: v_dual_mov_b32 v17, 0
	;; [unrolled: 1-line block ×3, first 2 shown]
	v_mov_b32_e32 v19, 0
	s_mov_b64 s[24:25], 0
	s_wait_loadcnt 0x1
	v_add_co_u32 v20, vcc_lo, v20, v0
	s_wait_alu 0xfffd
	v_add_co_ci_u32_e64 v21, null, v21, v28, vcc_lo
	s_wait_loadcnt 0x0
	v_add_co_u32 v22, vcc_lo, v22, v29
	s_wait_alu 0xfffd
	v_add_co_ci_u32_e64 v23, null, v23, v30, vcc_lo
.LBB218_5:                              ;   Parent Loop BB218_3 Depth=1
                                        ; =>  This Inner Loop Header: Depth=2
	flat_load_b64 v[31:32], v[22:23]
	s_wait_alu 0xfffe
	s_add_nc_u64 s[24:25], s[24:25], 8
	v_add_co_u32 v22, vcc_lo, v22, 64
	s_wait_alu 0xfffe
	v_cmp_lt_i64_e64 s2, s[24:25], s[4:5]
	s_wait_alu 0xfffd
	v_add_co_ci_u32_e64 v23, null, 0, v23, vcc_lo
	s_and_b32 vcc_lo, exec_lo, s2
	s_wait_loadcnt_dscnt 0x0
	ds_store_b64 v24, v[31:32]
	flat_load_b64 v[31:32], v[20:21]
	v_add_co_u32 v20, s2, v20, s10
	s_wait_alu 0xf1ff
	v_add_co_ci_u32_e64 v21, null, s11, v21, s2
	s_wait_loadcnt_dscnt 0x0
	ds_store_b64 v25, v[31:32]
	s_wait_dscnt 0x0
	s_barrier_signal -1
	s_barrier_wait -1
	global_inv scope:SCOPE_SE
	ds_load_b128 v[31:34], v27
	ds_load_2addr_b64 v[35:38], v26 offset1:16
	ds_load_b128 v[39:42], v27 offset:1024
	ds_load_b128 v[43:46], v27 offset:16
	;; [unrolled: 1-line block ×3, first 2 shown]
	s_wait_dscnt 0x3
	v_fma_f64 v[18:19], v[35:36], v[31:32], v[18:19]
	v_fma_f64 v[16:17], v[37:38], v[31:32], v[16:17]
	s_wait_dscnt 0x2
	v_fma_f64 v[31:32], v[35:36], v[39:40], v[14:15]
	v_fma_f64 v[35:36], v[37:38], v[39:40], v[12:13]
	ds_load_2addr_b64 v[12:15], v26 offset0:32 offset1:48
	s_wait_dscnt 0x0
	v_fma_f64 v[18:19], v[12:13], v[33:34], v[18:19]
	v_fma_f64 v[16:17], v[14:15], v[33:34], v[16:17]
	v_fma_f64 v[31:32], v[12:13], v[41:42], v[31:32]
	v_fma_f64 v[33:34], v[14:15], v[41:42], v[35:36]
	ds_load_2addr_b64 v[12:15], v26 offset0:64 offset1:80
	s_wait_dscnt 0x0
	v_fma_f64 v[18:19], v[12:13], v[43:44], v[18:19]
	v_fma_f64 v[16:17], v[14:15], v[43:44], v[16:17]
	;; [unrolled: 6-line block ×3, first 2 shown]
	v_fma_f64 v[47:48], v[12:13], v[49:50], v[31:32]
	v_fma_f64 v[49:50], v[14:15], v[49:50], v[33:34]
	ds_load_b128 v[12:15], v27 offset:32
	ds_load_2addr_b64 v[16:19], v26 offset0:128 offset1:144
	ds_load_b128 v[31:34], v27 offset:1056
	ds_load_b128 v[35:38], v27 offset:48
	;; [unrolled: 1-line block ×3, first 2 shown]
	s_wait_dscnt 0x3
	v_fma_f64 v[43:44], v[16:17], v[12:13], v[43:44]
	v_fma_f64 v[12:13], v[18:19], v[12:13], v[45:46]
	s_wait_dscnt 0x2
	v_fma_f64 v[45:46], v[16:17], v[31:32], v[47:48]
	v_fma_f64 v[31:32], v[18:19], v[31:32], v[49:50]
	ds_load_2addr_b64 v[16:19], v26 offset0:160 offset1:176
	s_wait_dscnt 0x0
	v_fma_f64 v[43:44], v[16:17], v[14:15], v[43:44]
	v_fma_f64 v[47:48], v[18:19], v[14:15], v[12:13]
	;; [unrolled: 1-line block ×4, first 2 shown]
	ds_load_2addr_b64 v[12:15], v26 offset0:192 offset1:208
	ds_load_2addr_b64 v[31:34], v26 offset0:224 offset1:240
	s_wait_loadcnt_dscnt 0x0
	s_barrier_signal -1
	s_barrier_wait -1
	global_inv scope:SCOPE_SE
	v_fma_f64 v[43:44], v[12:13], v[35:36], v[43:44]
	v_fma_f64 v[35:36], v[14:15], v[35:36], v[47:48]
	;; [unrolled: 1-line block ×4, first 2 shown]
	s_delay_alu instid0(VALU_DEP_4) | instskip(NEXT) | instid1(VALU_DEP_4)
	v_fma_f64 v[18:19], v[31:32], v[37:38], v[43:44]
	v_fma_f64 v[16:17], v[33:34], v[37:38], v[35:36]
	s_delay_alu instid0(VALU_DEP_4) | instskip(NEXT) | instid1(VALU_DEP_4)
	v_fma_f64 v[14:15], v[31:32], v[41:42], v[12:13]
	v_fma_f64 v[12:13], v[33:34], v[41:42], v[39:40]
	s_wait_alu 0xfffe
	s_cbranch_vccnz .LBB218_5
; %bb.6:                                ;   in Loop: Header=BB218_3 Depth=1
	v_add_co_u32 v10, vcc_lo, v10, s12
	s_wait_alu 0xfffd
	v_add_co_ci_u32_e64 v11, null, s13, v11, vcc_lo
	s_and_b32 vcc_lo, exec_lo, s1
	s_wait_alu 0xfffe
	s_cbranch_vccnz .LBB218_9
.LBB218_7:                              ;   in Loop: Header=BB218_3 Depth=1
	v_mul_f64_e32 v[20:21], s[6:7], v[18:19]
	v_mul_f64_e32 v[22:23], s[6:7], v[16:17]
	;; [unrolled: 1-line block ×4, first 2 shown]
	v_add_co_u32 v35, vcc_lo, v10, v4
	s_wait_alu 0xfffd
	v_add_co_ci_u32_e64 v36, null, v11, v5, vcc_lo
	s_delay_alu instid0(VALU_DEP_2) | instskip(SKIP_1) | instid1(VALU_DEP_2)
	v_add_co_u32 v37, vcc_lo, v35, s22
	s_wait_alu 0xfffd
	v_add_co_ci_u32_e64 v38, null, s23, v36, vcc_lo
	v_add_co_u32 v35, vcc_lo, v35, v6
	s_wait_alu 0xfffd
	v_add_co_ci_u32_e64 v36, null, v36, v7, vcc_lo
	v_add_co_u32 v37, vcc_lo, v37, v6
	s_wait_alu 0xfffd
	v_add_co_ci_u32_e64 v38, null, v38, v7, vcc_lo
	s_clause 0x3
	flat_store_b64 v[35:36], v[20:21]
	flat_store_b64 v[35:36], v[22:23] offset:128
	flat_store_b64 v[37:38], v[31:32]
	flat_store_b64 v[37:38], v[33:34] offset:128
	s_cbranch_execnz .LBB218_2
	s_branch .LBB218_10
.LBB218_8:                              ;   in Loop: Header=BB218_3 Depth=1
	v_mov_b32_e32 v18, 0
	v_dual_mov_b32 v14, 0 :: v_dual_mov_b32 v19, 0
	v_dual_mov_b32 v16, 0 :: v_dual_mov_b32 v15, 0
	;; [unrolled: 1-line block ×3, first 2 shown]
	v_mov_b32_e32 v13, 0
	s_wait_loadcnt 0x0
	v_add_co_u32 v10, vcc_lo, v10, s12
	s_wait_alu 0xfffd
	v_add_co_ci_u32_e64 v11, null, s13, v11, vcc_lo
	s_and_b32 vcc_lo, exec_lo, s1
	s_wait_alu 0xfffe
	s_cbranch_vccz .LBB218_7
.LBB218_9:                              ;   in Loop: Header=BB218_3 Depth=1
.LBB218_10:                             ;   in Loop: Header=BB218_3 Depth=1
	v_add_co_u32 v8, vcc_lo, v8, s16
	s_wait_alu 0xfffd
	v_add_co_ci_u32_e64 v9, null, s17, v9, vcc_lo
	s_delay_alu instid0(VALU_DEP_2) | instskip(SKIP_1) | instid1(VALU_DEP_2)
	v_add_co_u32 v22, vcc_lo, v8, v2
	s_wait_alu 0xfffd
	v_add_co_ci_u32_e64 v23, null, v9, v3, vcc_lo
	s_delay_alu instid0(VALU_DEP_2) | instskip(SKIP_1) | instid1(VALU_DEP_2)
	v_add_co_u32 v8, vcc_lo, v22, v6
	s_wait_alu 0xfffd
	v_add_co_ci_u32_e64 v9, null, v23, v7, vcc_lo
	flat_load_b64 v[20:21], v[8:9]
	s_wait_loadcnt_dscnt 0x0
	v_mul_f64_e32 v[20:21], s[36:37], v[20:21]
	s_delay_alu instid0(VALU_DEP_1) | instskip(SKIP_3) | instid1(VALU_DEP_2)
	v_fma_f64 v[18:19], s[6:7], v[18:19], v[20:21]
	v_add_co_u32 v20, vcc_lo, v10, v4
	s_wait_alu 0xfffd
	v_add_co_ci_u32_e64 v21, null, v11, v5, vcc_lo
	v_add_co_u32 v10, vcc_lo, v20, v6
	s_wait_alu 0xfffd
	s_delay_alu instid0(VALU_DEP_2) | instskip(SKIP_4) | instid1(VALU_DEP_1)
	v_add_co_ci_u32_e64 v11, null, v21, v7, vcc_lo
	flat_store_b64 v[10:11], v[18:19]
	flat_load_b64 v[8:9], v[8:9] offset:128
	s_wait_loadcnt_dscnt 0x0
	v_mul_f64_e32 v[8:9], s[36:37], v[8:9]
	v_fma_f64 v[8:9], s[6:7], v[16:17], v[8:9]
	v_add_co_u32 v16, vcc_lo, v22, s18
	s_wait_alu 0xfffd
	v_add_co_ci_u32_e64 v17, null, s19, v23, vcc_lo
	s_delay_alu instid0(VALU_DEP_2) | instskip(SKIP_1) | instid1(VALU_DEP_2)
	v_add_co_u32 v16, vcc_lo, v16, v6
	s_wait_alu 0xfffd
	v_add_co_ci_u32_e64 v17, null, v17, v7, vcc_lo
	flat_store_b64 v[10:11], v[8:9] offset:128
	flat_load_b64 v[8:9], v[16:17]
	v_add_co_u32 v10, vcc_lo, v20, s22
	s_wait_alu 0xfffd
	v_add_co_ci_u32_e64 v11, null, s23, v21, vcc_lo
	s_delay_alu instid0(VALU_DEP_2) | instskip(SKIP_1) | instid1(VALU_DEP_2)
	v_add_co_u32 v10, vcc_lo, v10, v6
	s_wait_alu 0xfffd
	v_add_co_ci_u32_e64 v11, null, v11, v7, vcc_lo
	s_wait_loadcnt_dscnt 0x0
	v_mul_f64_e32 v[8:9], s[36:37], v[8:9]
	s_delay_alu instid0(VALU_DEP_1) | instskip(SKIP_4) | instid1(VALU_DEP_1)
	v_fma_f64 v[8:9], s[6:7], v[14:15], v[8:9]
	flat_store_b64 v[10:11], v[8:9]
	flat_load_b64 v[8:9], v[16:17] offset:128
	s_wait_loadcnt_dscnt 0x0
	v_mul_f64_e32 v[8:9], s[36:37], v[8:9]
	v_fma_f64 v[8:9], s[6:7], v[12:13], v[8:9]
	flat_store_b64 v[10:11], v[8:9] offset:128
	s_branch .LBB218_2
.LBB218_11:
	s_endpgm
	.section	.rodata,"a",@progbits
	.p2align	6, 0x0
	.amdhsa_kernel _ZN12_GLOBAL__N_127rocblas_gemm_batched_kernelIdLi16ELi16ELi32ELi32ELi8ELi32ELi8ELi8ELi32ELc67ELc67EKPKdS3_KPdEEvlllT_PT11_llS8_llS6_PT12_llPT13_lli
		.amdhsa_group_segment_fixed_size 4096
		.amdhsa_private_segment_fixed_size 0
		.amdhsa_kernarg_size 140
		.amdhsa_user_sgpr_count 2
		.amdhsa_user_sgpr_dispatch_ptr 0
		.amdhsa_user_sgpr_queue_ptr 0
		.amdhsa_user_sgpr_kernarg_segment_ptr 1
		.amdhsa_user_sgpr_dispatch_id 0
		.amdhsa_user_sgpr_private_segment_size 0
		.amdhsa_wavefront_size32 1
		.amdhsa_uses_dynamic_stack 0
		.amdhsa_enable_private_segment 0
		.amdhsa_system_sgpr_workgroup_id_x 1
		.amdhsa_system_sgpr_workgroup_id_y 1
		.amdhsa_system_sgpr_workgroup_id_z 1
		.amdhsa_system_sgpr_workgroup_info 0
		.amdhsa_system_vgpr_workitem_id 1
		.amdhsa_next_free_vgpr 51
		.amdhsa_next_free_sgpr 44
		.amdhsa_reserve_vcc 1
		.amdhsa_float_round_mode_32 0
		.amdhsa_float_round_mode_16_64 0
		.amdhsa_float_denorm_mode_32 3
		.amdhsa_float_denorm_mode_16_64 3
		.amdhsa_fp16_overflow 0
		.amdhsa_workgroup_processor_mode 1
		.amdhsa_memory_ordered 1
		.amdhsa_forward_progress 1
		.amdhsa_inst_pref_size 16
		.amdhsa_round_robin_scheduling 0
		.amdhsa_exception_fp_ieee_invalid_op 0
		.amdhsa_exception_fp_denorm_src 0
		.amdhsa_exception_fp_ieee_div_zero 0
		.amdhsa_exception_fp_ieee_overflow 0
		.amdhsa_exception_fp_ieee_underflow 0
		.amdhsa_exception_fp_ieee_inexact 0
		.amdhsa_exception_int_div_zero 0
	.end_amdhsa_kernel
	.section	.text._ZN12_GLOBAL__N_127rocblas_gemm_batched_kernelIdLi16ELi16ELi32ELi32ELi8ELi32ELi8ELi8ELi32ELc67ELc67EKPKdS3_KPdEEvlllT_PT11_llS8_llS6_PT12_llPT13_lli,"axG",@progbits,_ZN12_GLOBAL__N_127rocblas_gemm_batched_kernelIdLi16ELi16ELi32ELi32ELi8ELi32ELi8ELi8ELi32ELc67ELc67EKPKdS3_KPdEEvlllT_PT11_llS8_llS6_PT12_llPT13_lli,comdat
.Lfunc_end218:
	.size	_ZN12_GLOBAL__N_127rocblas_gemm_batched_kernelIdLi16ELi16ELi32ELi32ELi8ELi32ELi8ELi8ELi32ELc67ELc67EKPKdS3_KPdEEvlllT_PT11_llS8_llS6_PT12_llPT13_lli, .Lfunc_end218-_ZN12_GLOBAL__N_127rocblas_gemm_batched_kernelIdLi16ELi16ELi32ELi32ELi8ELi32ELi8ELi8ELi32ELc67ELc67EKPKdS3_KPdEEvlllT_PT11_llS8_llS6_PT12_llPT13_lli
                                        ; -- End function
	.set _ZN12_GLOBAL__N_127rocblas_gemm_batched_kernelIdLi16ELi16ELi32ELi32ELi8ELi32ELi8ELi8ELi32ELc67ELc67EKPKdS3_KPdEEvlllT_PT11_llS8_llS6_PT12_llPT13_lli.num_vgpr, 51
	.set _ZN12_GLOBAL__N_127rocblas_gemm_batched_kernelIdLi16ELi16ELi32ELi32ELi8ELi32ELi8ELi8ELi32ELc67ELc67EKPKdS3_KPdEEvlllT_PT11_llS8_llS6_PT12_llPT13_lli.num_agpr, 0
	.set _ZN12_GLOBAL__N_127rocblas_gemm_batched_kernelIdLi16ELi16ELi32ELi32ELi8ELi32ELi8ELi8ELi32ELc67ELc67EKPKdS3_KPdEEvlllT_PT11_llS8_llS6_PT12_llPT13_lli.numbered_sgpr, 44
	.set _ZN12_GLOBAL__N_127rocblas_gemm_batched_kernelIdLi16ELi16ELi32ELi32ELi8ELi32ELi8ELi8ELi32ELc67ELc67EKPKdS3_KPdEEvlllT_PT11_llS8_llS6_PT12_llPT13_lli.num_named_barrier, 0
	.set _ZN12_GLOBAL__N_127rocblas_gemm_batched_kernelIdLi16ELi16ELi32ELi32ELi8ELi32ELi8ELi8ELi32ELc67ELc67EKPKdS3_KPdEEvlllT_PT11_llS8_llS6_PT12_llPT13_lli.private_seg_size, 0
	.set _ZN12_GLOBAL__N_127rocblas_gemm_batched_kernelIdLi16ELi16ELi32ELi32ELi8ELi32ELi8ELi8ELi32ELc67ELc67EKPKdS3_KPdEEvlllT_PT11_llS8_llS6_PT12_llPT13_lli.uses_vcc, 1
	.set _ZN12_GLOBAL__N_127rocblas_gemm_batched_kernelIdLi16ELi16ELi32ELi32ELi8ELi32ELi8ELi8ELi32ELc67ELc67EKPKdS3_KPdEEvlllT_PT11_llS8_llS6_PT12_llPT13_lli.uses_flat_scratch, 1
	.set _ZN12_GLOBAL__N_127rocblas_gemm_batched_kernelIdLi16ELi16ELi32ELi32ELi8ELi32ELi8ELi8ELi32ELc67ELc67EKPKdS3_KPdEEvlllT_PT11_llS8_llS6_PT12_llPT13_lli.has_dyn_sized_stack, 0
	.set _ZN12_GLOBAL__N_127rocblas_gemm_batched_kernelIdLi16ELi16ELi32ELi32ELi8ELi32ELi8ELi8ELi32ELc67ELc67EKPKdS3_KPdEEvlllT_PT11_llS8_llS6_PT12_llPT13_lli.has_recursion, 0
	.set _ZN12_GLOBAL__N_127rocblas_gemm_batched_kernelIdLi16ELi16ELi32ELi32ELi8ELi32ELi8ELi8ELi32ELc67ELc67EKPKdS3_KPdEEvlllT_PT11_llS8_llS6_PT12_llPT13_lli.has_indirect_call, 0
	.section	.AMDGPU.csdata,"",@progbits
; Kernel info:
; codeLenInByte = 1932
; TotalNumSgprs: 46
; NumVgprs: 51
; ScratchSize: 0
; MemoryBound: 0
; FloatMode: 240
; IeeeMode: 1
; LDSByteSize: 4096 bytes/workgroup (compile time only)
; SGPRBlocks: 0
; VGPRBlocks: 6
; NumSGPRsForWavesPerEU: 46
; NumVGPRsForWavesPerEU: 51
; Occupancy: 16
; WaveLimiterHint : 1
; COMPUTE_PGM_RSRC2:SCRATCH_EN: 0
; COMPUTE_PGM_RSRC2:USER_SGPR: 2
; COMPUTE_PGM_RSRC2:TRAP_HANDLER: 0
; COMPUTE_PGM_RSRC2:TGID_X_EN: 1
; COMPUTE_PGM_RSRC2:TGID_Y_EN: 1
; COMPUTE_PGM_RSRC2:TGID_Z_EN: 1
; COMPUTE_PGM_RSRC2:TIDIG_COMP_CNT: 1
	.section	.text._ZN12_GLOBAL__N_127rocblas_gemm_batched_kernelIdLi16ELi16ELi32ELi32ELi8ELi32ELi8ELi8ELi32ELc67ELc78EKPKdS3_KPdEEvlllT_PT11_llS8_llS6_PT12_llPT13_lli,"axG",@progbits,_ZN12_GLOBAL__N_127rocblas_gemm_batched_kernelIdLi16ELi16ELi32ELi32ELi8ELi32ELi8ELi8ELi32ELc67ELc78EKPKdS3_KPdEEvlllT_PT11_llS8_llS6_PT12_llPT13_lli,comdat
	.globl	_ZN12_GLOBAL__N_127rocblas_gemm_batched_kernelIdLi16ELi16ELi32ELi32ELi8ELi32ELi8ELi8ELi32ELc67ELc78EKPKdS3_KPdEEvlllT_PT11_llS8_llS6_PT12_llPT13_lli ; -- Begin function _ZN12_GLOBAL__N_127rocblas_gemm_batched_kernelIdLi16ELi16ELi32ELi32ELi8ELi32ELi8ELi8ELi32ELc67ELc78EKPKdS3_KPdEEvlllT_PT11_llS8_llS6_PT12_llPT13_lli
	.p2align	8
	.type	_ZN12_GLOBAL__N_127rocblas_gemm_batched_kernelIdLi16ELi16ELi32ELi32ELi8ELi32ELi8ELi8ELi32ELc67ELc78EKPKdS3_KPdEEvlllT_PT11_llS8_llS6_PT12_llPT13_lli,@function
_ZN12_GLOBAL__N_127rocblas_gemm_batched_kernelIdLi16ELi16ELi32ELi32ELi8ELi32ELi8ELi8ELi32ELc67ELc78EKPKdS3_KPdEEvlllT_PT11_llS8_llS6_PT12_llPT13_lli: ; @_ZN12_GLOBAL__N_127rocblas_gemm_batched_kernelIdLi16ELi16ELi32ELi32ELi8ELi32ELi8ELi8ELi32ELc67ELc78EKPKdS3_KPdEEvlllT_PT11_llS8_llS6_PT12_llPT13_lli
; %bb.0:
	s_load_b32 s30, s[0:1], 0x88
	s_lshr_b32 s28, ttmp7, 16
	s_wait_kmcnt 0x0
	s_cmp_ge_i32 s28, s30
	s_cbranch_scc1 .LBB219_11
; %bb.1:
	s_clause 0x2
	s_load_b256 s[36:43], s[0:1], 0x50
	s_load_b256 s[20:27], s[0:1], 0x70
	s_load_b512 s[4:19], s[0:1], 0x10
	v_and_b32_e32 v10, 0x3ff, v0
	v_bfe_u32 v6, v0, 10, 10
	s_lshl_b32 s0, ttmp7, 5
	s_mov_b32 s2, ttmp9
	s_and_b32 s0, s0, 0x1fffe0
	s_ashr_i32 s3, ttmp9, 31
	v_lshl_add_u32 v1, v6, 4, v10
	v_dual_mov_b32 v22, 0 :: v_dual_add_nc_u32 v9, s0, v6
	v_lshl_add_u32 v26, v6, 6, 0x800
	s_mov_b32 s29, 0
	s_delay_alu instid0(VALU_DEP_3) | instskip(SKIP_2) | instid1(VALU_DEP_3)
	v_and_b32_e32 v11, 31, v1
	v_lshrrev_b32_e32 v13, 5, v1
	v_lshrrev_b32_e32 v1, 3, v1
	v_lshlrev_b32_e32 v7, 3, v11
	s_wait_kmcnt 0x0
	v_mad_co_u64_u32 v[2:3], null, v9, s22, 0
	v_mad_co_u64_u32 v[4:5], null, v9, s40, 0
	s_delay_alu instid0(VALU_DEP_3) | instskip(SKIP_3) | instid1(VALU_DEP_3)
	v_lshl_or_b32 v23, v13, 8, v7
	v_add_nc_u32_e32 v8, s0, v1
	s_lshl_b64 s[0:1], s[2:3], 5
	s_lshl_b64 s[2:3], s[22:23], 4
	v_mad_co_u64_u32 v[6:7], null, v9, s23, v[3:4]
	v_lshlrev_b32_e32 v0, 3, v0
	s_wait_alu 0xfffe
	v_or_b32_e32 v3, s0, v11
	s_delay_alu instid0(VALU_DEP_2) | instskip(NEXT) | instid1(VALU_DEP_1)
	v_and_b32_e32 v14, 56, v0
	v_lshl_or_b32 v12, v1, 6, v14
	v_mad_co_u64_u32 v[0:1], null, s16, v8, 0
	s_delay_alu instid0(VALU_DEP_2)
	v_add_nc_u32_e32 v24, 0x800, v12
	v_mad_co_u64_u32 v[11:12], null, s10, v3, 0
	s_mul_i32 s10, s10, s1
	v_mad_co_u64_u32 v[7:8], null, s17, v8, v[1:2]
	v_mad_co_u64_u32 v[8:9], null, v9, s41, v[5:6]
	s_lshl_b64 s[16:17], s[40:41], 4
	s_wait_alu 0xfffe
	s_lshl_b64 s[16:17], s[16:17], 3
	v_mov_b32_e32 v1, v7
	v_mul_lo_u32 v7, s11, v3
	v_add_co_u32 v9, s0, s0, v10
	v_lshlrev_b32_e32 v25, 3, v10
	s_delay_alu instid0(VALU_DEP_4)
	v_lshlrev_b64_e32 v[0:1], 3, v[0:1]
	s_wait_alu 0xf1ff
	v_add_co_ci_u32_e64 v10, null, s1, 0, s0
	s_lshl_b64 s[0:1], s[18:19], 3
	v_add3_u32 v12, v12, s10, v7
	v_mov_b32_e32 v3, v6
	s_wait_alu 0xfffe
	v_add_co_u32 v6, vcc_lo, v0, s0
	s_delay_alu instid0(VALU_DEP_1) | instskip(SKIP_2) | instid1(VALU_DEP_4)
	v_add_co_ci_u32_e64 v7, null, s1, v1, vcc_lo
	v_lshlrev_b64_e32 v[0:1], 3, v[11:12]
	v_mov_b32_e32 v5, v8
	v_add_co_u32 v27, vcc_lo, v6, v14
	s_lshl_b64 s[0:1], s[12:13], 3
	s_wait_alu 0xfffd
	v_add_co_ci_u32_e64 v28, null, 0, v7, vcc_lo
	s_wait_alu 0xfffe
	v_add_co_u32 v0, vcc_lo, v0, s0
	s_wait_alu 0xfffd
	v_add_co_ci_u32_e64 v1, null, s1, v1, vcc_lo
	v_cmp_eq_f64_e64 s1, s[36:37], 0
	v_cmp_gt_i64_e64 s0, s[4:5], 0
	v_lshlrev_b32_e32 v6, 3, v13
	v_lshlrev_b64_e32 v[2:3], 3, v[2:3]
	s_lshl_b64 s[10:11], s[24:25], 3
	s_lshl_b64 s[12:13], s[42:43], 3
	;; [unrolled: 1-line block ×3, first 2 shown]
	s_wait_alu 0xf1ff
	v_cndmask_b32_e64 v7, 0, 1, s0
	v_add_co_u32 v29, vcc_lo, v0, v6
	s_wait_alu 0xfffd
	v_add_co_ci_u32_e64 v30, null, 0, v1, vcc_lo
	v_lshlrev_b64_e32 v[0:1], 3, v[4:5]
	v_lshlrev_b64_e32 v[4:5], 3, v[9:10]
	v_cmp_ne_u32_e64 s0, 1, v7
	v_cndmask_b32_e64 v6, 0, 1, s1
	s_delay_alu instid0(VALU_DEP_1)
	v_cmp_ne_u32_e64 s1, 1, v6
	s_branch .LBB219_3
.LBB219_2:                              ;   in Loop: Header=BB219_3 Depth=1
	s_add_co_i32 s28, s28, 0x10000
	s_delay_alu instid0(SALU_CYCLE_1)
	s_cmp_lt_i32 s28, s30
	s_cbranch_scc0 .LBB219_11
.LBB219_3:                              ; =>This Loop Header: Depth=1
                                        ;     Child Loop BB219_5 Depth 2
	s_lshl_b64 s[2:3], s[28:29], 3
	s_and_b32 vcc_lo, exec_lo, s0
	s_wait_alu 0xfffe
	s_add_nc_u64 s[22:23], s[38:39], s[2:3]
	s_add_nc_u64 s[24:25], s[20:21], s[2:3]
	s_clause 0x1
	global_load_b64 v[6:7], v22, s[22:23]
	global_load_b64 v[8:9], v22, s[24:25]
	s_cbranch_vccnz .LBB219_8
; %bb.4:                                ;   in Loop: Header=BB219_3 Depth=1
	s_add_nc_u64 s[22:23], s[14:15], s[2:3]
	s_add_nc_u64 s[2:3], s[8:9], s[2:3]
	s_clause 0x1
	global_load_b64 v[18:19], v22, s[22:23]
	global_load_b64 v[20:21], v22, s[2:3]
	v_mov_b32_e32 v10, 0
	v_dual_mov_b32 v14, 0 :: v_dual_mov_b32 v11, 0
	v_dual_mov_b32 v12, 0 :: v_dual_mov_b32 v15, 0
	;; [unrolled: 1-line block ×3, first 2 shown]
	v_mov_b32_e32 v17, 0
	s_mov_b64 s[22:23], 0
	s_wait_loadcnt 0x1
	v_add_co_u32 v18, vcc_lo, v18, v27
	s_wait_alu 0xfffd
	v_add_co_ci_u32_e64 v19, null, v19, v28, vcc_lo
	s_wait_loadcnt 0x0
	v_add_co_u32 v20, vcc_lo, v20, v29
	s_wait_alu 0xfffd
	v_add_co_ci_u32_e64 v21, null, v21, v30, vcc_lo
.LBB219_5:                              ;   Parent Loop BB219_3 Depth=1
                                        ; =>  This Inner Loop Header: Depth=2
	flat_load_b64 v[31:32], v[20:21]
	s_wait_alu 0xfffe
	s_add_nc_u64 s[22:23], s[22:23], 8
	v_add_co_u32 v20, vcc_lo, v20, 64
	s_wait_alu 0xfffe
	v_cmp_lt_i64_e64 s2, s[22:23], s[4:5]
	s_wait_alu 0xfffd
	v_add_co_ci_u32_e64 v21, null, 0, v21, vcc_lo
	s_and_b32 vcc_lo, exec_lo, s2
	s_wait_loadcnt_dscnt 0x0
	ds_store_b64 v23, v[31:32]
	flat_load_b64 v[31:32], v[18:19]
	v_add_co_u32 v18, s2, v18, 64
	s_wait_alu 0xf1ff
	v_add_co_ci_u32_e64 v19, null, 0, v19, s2
	s_wait_loadcnt_dscnt 0x0
	ds_store_b64 v24, v[31:32]
	s_wait_dscnt 0x0
	s_barrier_signal -1
	s_barrier_wait -1
	global_inv scope:SCOPE_SE
	ds_load_b128 v[31:34], v26
	ds_load_2addr_b64 v[35:38], v25 offset1:16
	ds_load_b128 v[39:42], v26 offset:1024
	ds_load_b128 v[43:46], v26 offset:16
	;; [unrolled: 1-line block ×3, first 2 shown]
	s_wait_dscnt 0x3
	v_fma_f64 v[16:17], v[35:36], v[31:32], v[16:17]
	v_fma_f64 v[14:15], v[37:38], v[31:32], v[14:15]
	s_wait_dscnt 0x2
	v_fma_f64 v[31:32], v[35:36], v[39:40], v[12:13]
	v_fma_f64 v[35:36], v[37:38], v[39:40], v[10:11]
	ds_load_2addr_b64 v[10:13], v25 offset0:32 offset1:48
	s_wait_dscnt 0x0
	v_fma_f64 v[16:17], v[10:11], v[33:34], v[16:17]
	v_fma_f64 v[14:15], v[12:13], v[33:34], v[14:15]
	v_fma_f64 v[31:32], v[10:11], v[41:42], v[31:32]
	v_fma_f64 v[33:34], v[12:13], v[41:42], v[35:36]
	ds_load_2addr_b64 v[10:13], v25 offset0:64 offset1:80
	s_wait_dscnt 0x0
	v_fma_f64 v[16:17], v[10:11], v[43:44], v[16:17]
	v_fma_f64 v[14:15], v[12:13], v[43:44], v[14:15]
	;; [unrolled: 6-line block ×3, first 2 shown]
	v_fma_f64 v[47:48], v[10:11], v[49:50], v[31:32]
	v_fma_f64 v[49:50], v[12:13], v[49:50], v[33:34]
	ds_load_b128 v[10:13], v26 offset:32
	ds_load_2addr_b64 v[14:17], v25 offset0:128 offset1:144
	ds_load_b128 v[31:34], v26 offset:1056
	ds_load_b128 v[35:38], v26 offset:48
	;; [unrolled: 1-line block ×3, first 2 shown]
	s_wait_dscnt 0x3
	v_fma_f64 v[43:44], v[14:15], v[10:11], v[43:44]
	v_fma_f64 v[10:11], v[16:17], v[10:11], v[45:46]
	s_wait_dscnt 0x2
	v_fma_f64 v[45:46], v[14:15], v[31:32], v[47:48]
	v_fma_f64 v[31:32], v[16:17], v[31:32], v[49:50]
	ds_load_2addr_b64 v[14:17], v25 offset0:160 offset1:176
	s_wait_dscnt 0x0
	v_fma_f64 v[43:44], v[14:15], v[12:13], v[43:44]
	v_fma_f64 v[47:48], v[16:17], v[12:13], v[10:11]
	;; [unrolled: 1-line block ×4, first 2 shown]
	ds_load_2addr_b64 v[10:13], v25 offset0:192 offset1:208
	ds_load_2addr_b64 v[31:34], v25 offset0:224 offset1:240
	s_wait_loadcnt_dscnt 0x0
	s_barrier_signal -1
	s_barrier_wait -1
	global_inv scope:SCOPE_SE
	v_fma_f64 v[43:44], v[10:11], v[35:36], v[43:44]
	v_fma_f64 v[35:36], v[12:13], v[35:36], v[47:48]
	;; [unrolled: 1-line block ×4, first 2 shown]
	s_delay_alu instid0(VALU_DEP_4) | instskip(NEXT) | instid1(VALU_DEP_4)
	v_fma_f64 v[16:17], v[31:32], v[37:38], v[43:44]
	v_fma_f64 v[14:15], v[33:34], v[37:38], v[35:36]
	s_delay_alu instid0(VALU_DEP_4) | instskip(NEXT) | instid1(VALU_DEP_4)
	v_fma_f64 v[12:13], v[31:32], v[41:42], v[10:11]
	v_fma_f64 v[10:11], v[33:34], v[41:42], v[39:40]
	s_wait_alu 0xfffe
	s_cbranch_vccnz .LBB219_5
; %bb.6:                                ;   in Loop: Header=BB219_3 Depth=1
	v_add_co_u32 v8, vcc_lo, v8, s10
	s_wait_alu 0xfffd
	v_add_co_ci_u32_e64 v9, null, s11, v9, vcc_lo
	s_and_b32 vcc_lo, exec_lo, s1
	s_wait_alu 0xfffe
	s_cbranch_vccnz .LBB219_9
.LBB219_7:                              ;   in Loop: Header=BB219_3 Depth=1
	v_mul_f64_e32 v[18:19], s[6:7], v[16:17]
	v_mul_f64_e32 v[20:21], s[6:7], v[14:15]
	;; [unrolled: 1-line block ×4, first 2 shown]
	v_add_co_u32 v35, vcc_lo, v8, v2
	s_wait_alu 0xfffd
	v_add_co_ci_u32_e64 v36, null, v9, v3, vcc_lo
	s_delay_alu instid0(VALU_DEP_2) | instskip(SKIP_1) | instid1(VALU_DEP_2)
	v_add_co_u32 v37, vcc_lo, v35, s18
	s_wait_alu 0xfffd
	v_add_co_ci_u32_e64 v38, null, s19, v36, vcc_lo
	v_add_co_u32 v35, vcc_lo, v35, v4
	s_wait_alu 0xfffd
	v_add_co_ci_u32_e64 v36, null, v36, v5, vcc_lo
	;; [unrolled: 3-line block ×3, first 2 shown]
	s_clause 0x3
	flat_store_b64 v[35:36], v[18:19]
	flat_store_b64 v[35:36], v[20:21] offset:128
	flat_store_b64 v[37:38], v[31:32]
	flat_store_b64 v[37:38], v[33:34] offset:128
	s_cbranch_execnz .LBB219_2
	s_branch .LBB219_10
.LBB219_8:                              ;   in Loop: Header=BB219_3 Depth=1
	v_mov_b32_e32 v16, 0
	v_dual_mov_b32 v12, 0 :: v_dual_mov_b32 v17, 0
	v_dual_mov_b32 v14, 0 :: v_dual_mov_b32 v13, 0
	;; [unrolled: 1-line block ×3, first 2 shown]
	v_mov_b32_e32 v11, 0
	s_wait_loadcnt 0x0
	v_add_co_u32 v8, vcc_lo, v8, s10
	s_wait_alu 0xfffd
	v_add_co_ci_u32_e64 v9, null, s11, v9, vcc_lo
	s_and_b32 vcc_lo, exec_lo, s1
	s_wait_alu 0xfffe
	s_cbranch_vccz .LBB219_7
.LBB219_9:                              ;   in Loop: Header=BB219_3 Depth=1
.LBB219_10:                             ;   in Loop: Header=BB219_3 Depth=1
	v_add_co_u32 v6, vcc_lo, v6, s12
	s_wait_alu 0xfffd
	v_add_co_ci_u32_e64 v7, null, s13, v7, vcc_lo
	s_delay_alu instid0(VALU_DEP_2) | instskip(SKIP_1) | instid1(VALU_DEP_2)
	v_add_co_u32 v20, vcc_lo, v6, v0
	s_wait_alu 0xfffd
	v_add_co_ci_u32_e64 v21, null, v7, v1, vcc_lo
	s_delay_alu instid0(VALU_DEP_2) | instskip(SKIP_1) | instid1(VALU_DEP_2)
	v_add_co_u32 v6, vcc_lo, v20, v4
	s_wait_alu 0xfffd
	v_add_co_ci_u32_e64 v7, null, v21, v5, vcc_lo
	flat_load_b64 v[18:19], v[6:7]
	s_wait_loadcnt_dscnt 0x0
	v_mul_f64_e32 v[18:19], s[36:37], v[18:19]
	s_delay_alu instid0(VALU_DEP_1) | instskip(SKIP_3) | instid1(VALU_DEP_2)
	v_fma_f64 v[16:17], s[6:7], v[16:17], v[18:19]
	v_add_co_u32 v18, vcc_lo, v8, v2
	s_wait_alu 0xfffd
	v_add_co_ci_u32_e64 v19, null, v9, v3, vcc_lo
	v_add_co_u32 v8, vcc_lo, v18, v4
	s_wait_alu 0xfffd
	s_delay_alu instid0(VALU_DEP_2) | instskip(SKIP_4) | instid1(VALU_DEP_1)
	v_add_co_ci_u32_e64 v9, null, v19, v5, vcc_lo
	flat_store_b64 v[8:9], v[16:17]
	flat_load_b64 v[6:7], v[6:7] offset:128
	s_wait_loadcnt_dscnt 0x0
	v_mul_f64_e32 v[6:7], s[36:37], v[6:7]
	v_fma_f64 v[6:7], s[6:7], v[14:15], v[6:7]
	v_add_co_u32 v14, vcc_lo, v20, s16
	s_wait_alu 0xfffd
	v_add_co_ci_u32_e64 v15, null, s17, v21, vcc_lo
	s_delay_alu instid0(VALU_DEP_2) | instskip(SKIP_1) | instid1(VALU_DEP_2)
	v_add_co_u32 v14, vcc_lo, v14, v4
	s_wait_alu 0xfffd
	v_add_co_ci_u32_e64 v15, null, v15, v5, vcc_lo
	flat_store_b64 v[8:9], v[6:7] offset:128
	flat_load_b64 v[6:7], v[14:15]
	v_add_co_u32 v8, vcc_lo, v18, s18
	s_wait_alu 0xfffd
	v_add_co_ci_u32_e64 v9, null, s19, v19, vcc_lo
	s_delay_alu instid0(VALU_DEP_2) | instskip(SKIP_1) | instid1(VALU_DEP_2)
	v_add_co_u32 v8, vcc_lo, v8, v4
	s_wait_alu 0xfffd
	v_add_co_ci_u32_e64 v9, null, v9, v5, vcc_lo
	s_wait_loadcnt_dscnt 0x0
	v_mul_f64_e32 v[6:7], s[36:37], v[6:7]
	s_delay_alu instid0(VALU_DEP_1) | instskip(SKIP_4) | instid1(VALU_DEP_1)
	v_fma_f64 v[6:7], s[6:7], v[12:13], v[6:7]
	flat_store_b64 v[8:9], v[6:7]
	flat_load_b64 v[6:7], v[14:15] offset:128
	s_wait_loadcnt_dscnt 0x0
	v_mul_f64_e32 v[6:7], s[36:37], v[6:7]
	v_fma_f64 v[6:7], s[6:7], v[10:11], v[6:7]
	flat_store_b64 v[8:9], v[6:7] offset:128
	s_branch .LBB219_2
.LBB219_11:
	s_endpgm
	.section	.rodata,"a",@progbits
	.p2align	6, 0x0
	.amdhsa_kernel _ZN12_GLOBAL__N_127rocblas_gemm_batched_kernelIdLi16ELi16ELi32ELi32ELi8ELi32ELi8ELi8ELi32ELc67ELc78EKPKdS3_KPdEEvlllT_PT11_llS8_llS6_PT12_llPT13_lli
		.amdhsa_group_segment_fixed_size 4096
		.amdhsa_private_segment_fixed_size 0
		.amdhsa_kernarg_size 140
		.amdhsa_user_sgpr_count 2
		.amdhsa_user_sgpr_dispatch_ptr 0
		.amdhsa_user_sgpr_queue_ptr 0
		.amdhsa_user_sgpr_kernarg_segment_ptr 1
		.amdhsa_user_sgpr_dispatch_id 0
		.amdhsa_user_sgpr_private_segment_size 0
		.amdhsa_wavefront_size32 1
		.amdhsa_uses_dynamic_stack 0
		.amdhsa_enable_private_segment 0
		.amdhsa_system_sgpr_workgroup_id_x 1
		.amdhsa_system_sgpr_workgroup_id_y 1
		.amdhsa_system_sgpr_workgroup_id_z 1
		.amdhsa_system_sgpr_workgroup_info 0
		.amdhsa_system_vgpr_workitem_id 1
		.amdhsa_next_free_vgpr 51
		.amdhsa_next_free_sgpr 44
		.amdhsa_reserve_vcc 1
		.amdhsa_float_round_mode_32 0
		.amdhsa_float_round_mode_16_64 0
		.amdhsa_float_denorm_mode_32 3
		.amdhsa_float_denorm_mode_16_64 3
		.amdhsa_fp16_overflow 0
		.amdhsa_workgroup_processor_mode 1
		.amdhsa_memory_ordered 1
		.amdhsa_forward_progress 1
		.amdhsa_inst_pref_size 16
		.amdhsa_round_robin_scheduling 0
		.amdhsa_exception_fp_ieee_invalid_op 0
		.amdhsa_exception_fp_denorm_src 0
		.amdhsa_exception_fp_ieee_div_zero 0
		.amdhsa_exception_fp_ieee_overflow 0
		.amdhsa_exception_fp_ieee_underflow 0
		.amdhsa_exception_fp_ieee_inexact 0
		.amdhsa_exception_int_div_zero 0
	.end_amdhsa_kernel
	.section	.text._ZN12_GLOBAL__N_127rocblas_gemm_batched_kernelIdLi16ELi16ELi32ELi32ELi8ELi32ELi8ELi8ELi32ELc67ELc78EKPKdS3_KPdEEvlllT_PT11_llS8_llS6_PT12_llPT13_lli,"axG",@progbits,_ZN12_GLOBAL__N_127rocblas_gemm_batched_kernelIdLi16ELi16ELi32ELi32ELi8ELi32ELi8ELi8ELi32ELc67ELc78EKPKdS3_KPdEEvlllT_PT11_llS8_llS6_PT12_llPT13_lli,comdat
.Lfunc_end219:
	.size	_ZN12_GLOBAL__N_127rocblas_gemm_batched_kernelIdLi16ELi16ELi32ELi32ELi8ELi32ELi8ELi8ELi32ELc67ELc78EKPKdS3_KPdEEvlllT_PT11_llS8_llS6_PT12_llPT13_lli, .Lfunc_end219-_ZN12_GLOBAL__N_127rocblas_gemm_batched_kernelIdLi16ELi16ELi32ELi32ELi8ELi32ELi8ELi8ELi32ELc67ELc78EKPKdS3_KPdEEvlllT_PT11_llS8_llS6_PT12_llPT13_lli
                                        ; -- End function
	.set _ZN12_GLOBAL__N_127rocblas_gemm_batched_kernelIdLi16ELi16ELi32ELi32ELi8ELi32ELi8ELi8ELi32ELc67ELc78EKPKdS3_KPdEEvlllT_PT11_llS8_llS6_PT12_llPT13_lli.num_vgpr, 51
	.set _ZN12_GLOBAL__N_127rocblas_gemm_batched_kernelIdLi16ELi16ELi32ELi32ELi8ELi32ELi8ELi8ELi32ELc67ELc78EKPKdS3_KPdEEvlllT_PT11_llS8_llS6_PT12_llPT13_lli.num_agpr, 0
	.set _ZN12_GLOBAL__N_127rocblas_gemm_batched_kernelIdLi16ELi16ELi32ELi32ELi8ELi32ELi8ELi8ELi32ELc67ELc78EKPKdS3_KPdEEvlllT_PT11_llS8_llS6_PT12_llPT13_lli.numbered_sgpr, 44
	.set _ZN12_GLOBAL__N_127rocblas_gemm_batched_kernelIdLi16ELi16ELi32ELi32ELi8ELi32ELi8ELi8ELi32ELc67ELc78EKPKdS3_KPdEEvlllT_PT11_llS8_llS6_PT12_llPT13_lli.num_named_barrier, 0
	.set _ZN12_GLOBAL__N_127rocblas_gemm_batched_kernelIdLi16ELi16ELi32ELi32ELi8ELi32ELi8ELi8ELi32ELc67ELc78EKPKdS3_KPdEEvlllT_PT11_llS8_llS6_PT12_llPT13_lli.private_seg_size, 0
	.set _ZN12_GLOBAL__N_127rocblas_gemm_batched_kernelIdLi16ELi16ELi32ELi32ELi8ELi32ELi8ELi8ELi32ELc67ELc78EKPKdS3_KPdEEvlllT_PT11_llS8_llS6_PT12_llPT13_lli.uses_vcc, 1
	.set _ZN12_GLOBAL__N_127rocblas_gemm_batched_kernelIdLi16ELi16ELi32ELi32ELi8ELi32ELi8ELi8ELi32ELc67ELc78EKPKdS3_KPdEEvlllT_PT11_llS8_llS6_PT12_llPT13_lli.uses_flat_scratch, 1
	.set _ZN12_GLOBAL__N_127rocblas_gemm_batched_kernelIdLi16ELi16ELi32ELi32ELi8ELi32ELi8ELi8ELi32ELc67ELc78EKPKdS3_KPdEEvlllT_PT11_llS8_llS6_PT12_llPT13_lli.has_dyn_sized_stack, 0
	.set _ZN12_GLOBAL__N_127rocblas_gemm_batched_kernelIdLi16ELi16ELi32ELi32ELi8ELi32ELi8ELi8ELi32ELc67ELc78EKPKdS3_KPdEEvlllT_PT11_llS8_llS6_PT12_llPT13_lli.has_recursion, 0
	.set _ZN12_GLOBAL__N_127rocblas_gemm_batched_kernelIdLi16ELi16ELi32ELi32ELi8ELi32ELi8ELi8ELi32ELc67ELc78EKPKdS3_KPdEEvlllT_PT11_llS8_llS6_PT12_llPT13_lli.has_indirect_call, 0
	.section	.AMDGPU.csdata,"",@progbits
; Kernel info:
; codeLenInByte = 1948
; TotalNumSgprs: 46
; NumVgprs: 51
; ScratchSize: 0
; MemoryBound: 0
; FloatMode: 240
; IeeeMode: 1
; LDSByteSize: 4096 bytes/workgroup (compile time only)
; SGPRBlocks: 0
; VGPRBlocks: 6
; NumSGPRsForWavesPerEU: 46
; NumVGPRsForWavesPerEU: 51
; Occupancy: 16
; WaveLimiterHint : 1
; COMPUTE_PGM_RSRC2:SCRATCH_EN: 0
; COMPUTE_PGM_RSRC2:USER_SGPR: 2
; COMPUTE_PGM_RSRC2:TRAP_HANDLER: 0
; COMPUTE_PGM_RSRC2:TGID_X_EN: 1
; COMPUTE_PGM_RSRC2:TGID_Y_EN: 1
; COMPUTE_PGM_RSRC2:TGID_Z_EN: 1
; COMPUTE_PGM_RSRC2:TIDIG_COMP_CNT: 1
	.section	.text._ZN12_GLOBAL__N_127rocblas_gemm_batched_kernelIdLi16ELi16ELi32ELi32ELi8ELi32ELi8ELi8ELi32ELc67ELc84EKPKdS3_KPdEEvlllT_PT11_llS8_llS6_PT12_llPT13_lli,"axG",@progbits,_ZN12_GLOBAL__N_127rocblas_gemm_batched_kernelIdLi16ELi16ELi32ELi32ELi8ELi32ELi8ELi8ELi32ELc67ELc84EKPKdS3_KPdEEvlllT_PT11_llS8_llS6_PT12_llPT13_lli,comdat
	.globl	_ZN12_GLOBAL__N_127rocblas_gemm_batched_kernelIdLi16ELi16ELi32ELi32ELi8ELi32ELi8ELi8ELi32ELc67ELc84EKPKdS3_KPdEEvlllT_PT11_llS8_llS6_PT12_llPT13_lli ; -- Begin function _ZN12_GLOBAL__N_127rocblas_gemm_batched_kernelIdLi16ELi16ELi32ELi32ELi8ELi32ELi8ELi8ELi32ELc67ELc84EKPKdS3_KPdEEvlllT_PT11_llS8_llS6_PT12_llPT13_lli
	.p2align	8
	.type	_ZN12_GLOBAL__N_127rocblas_gemm_batched_kernelIdLi16ELi16ELi32ELi32ELi8ELi32ELi8ELi8ELi32ELc67ELc84EKPKdS3_KPdEEvlllT_PT11_llS8_llS6_PT12_llPT13_lli,@function
_ZN12_GLOBAL__N_127rocblas_gemm_batched_kernelIdLi16ELi16ELi32ELi32ELi8ELi32ELi8ELi8ELi32ELc67ELc84EKPKdS3_KPdEEvlllT_PT11_llS8_llS6_PT12_llPT13_lli: ; @_ZN12_GLOBAL__N_127rocblas_gemm_batched_kernelIdLi16ELi16ELi32ELi32ELi8ELi32ELi8ELi8ELi32ELc67ELc84EKPKdS3_KPdEEvlllT_PT11_llS8_llS6_PT12_llPT13_lli
; %bb.0:
	s_load_b32 s30, s[0:1], 0x88
	s_lshr_b32 s28, ttmp7, 16
	s_wait_kmcnt 0x0
	s_cmp_ge_i32 s28, s30
	s_cbranch_scc1 .LBB220_11
; %bb.1:
	s_clause 0x1
	s_load_b256 s[20:27], s[0:1], 0x70
	s_load_b512 s[4:19], s[0:1], 0x10
	v_dual_mov_b32 v1, 0 :: v_dual_and_b32 v8, 0x3ff, v0
	v_bfe_u32 v2, v0, 10, 10
	s_load_b256 s[36:43], s[0:1], 0x50
	v_and_b32_e32 v12, 7, v0
	s_lshl_b32 s0, ttmp7, 5
	s_mov_b32 s2, ttmp9
	v_lshl_add_u32 v3, v2, 4, v8
	s_wait_kmcnt 0x0
	s_and_b32 s26, s0, 0x1fffe0
	v_lshlrev_b32_e32 v4, 3, v12
	v_add_nc_u32_e32 v14, s26, v2
	v_lshl_add_u32 v27, v2, 6, 0x800
	v_lshrrev_b32_e32 v0, 3, v3
	v_lshrrev_b32_e32 v15, 5, v3
	s_ashr_i32 s3, ttmp9, 31
	v_lshlrev_b32_e32 v26, 3, v8
	s_lshl_b64 s[0:1], s[2:3], 5
	v_lshl_or_b32 v6, v0, 6, v4
	v_mad_co_u64_u32 v[4:5], null, v14, s22, 0
	v_and_b32_e32 v13, 31, v3
	v_add_co_u32 v8, s2, s0, v8
	s_delay_alu instid0(VALU_DEP_4) | instskip(SKIP_1) | instid1(VALU_DEP_4)
	v_add_nc_u32_e32 v25, 0x800, v6
	v_mad_co_u64_u32 v[6:7], null, v14, s40, 0
	v_lshlrev_b32_e32 v3, 3, v13
	v_add_co_ci_u32_e64 v9, null, s1, 0, s2
	s_lshl_b64 s[2:3], s[22:23], 4
	s_mov_b32 s29, 0
	v_lshl_or_b32 v24, v15, 8, v3
	v_mad_co_u64_u32 v[2:3], null, s16, v12, v[0:1]
	v_mov_b32_e32 v0, v5
	v_or_b32_e32 v5, s0, v13
	s_mul_i32 s0, s10, s1
	s_delay_alu instid0(VALU_DEP_2) | instskip(SKIP_3) | instid1(VALU_DEP_3)
	v_mad_co_u64_u32 v[10:11], null, v14, s23, v[0:1]
	v_mov_b32_e32 v0, v7
	v_mad_co_u64_u32 v[11:12], null, s17, v12, v[3:4]
	v_add_co_u32 v2, vcc_lo, v2, s26
	v_mad_co_u64_u32 v[12:13], null, v14, s41, v[0:1]
	v_mul_lo_u32 v0, s11, v5
	v_mad_co_u64_u32 v[13:14], null, s10, v5, 0
	v_add_co_ci_u32_e64 v3, null, 0, v11, vcc_lo
	v_mov_b32_e32 v5, v10
	v_mov_b32_e32 v7, v12
	s_lshl_b64 s[22:23], s[40:41], 4
	s_delay_alu instid0(VALU_DEP_3)
	v_lshlrev_b64_e32 v[2:3], 3, v[2:3]
	s_wait_alu 0xfffe
	v_add3_u32 v14, v14, s0, v0
	s_lshl_b64 s[0:1], s[18:19], 3
	v_lshlrev_b64_e32 v[4:5], 3, v[4:5]
	s_lshl_b64 s[10:11], s[16:17], 6
	s_lshl_b64 s[16:17], s[42:43], 3
	v_lshlrev_b64_e32 v[10:11], 3, v[13:14]
	s_wait_alu 0xfffe
	v_add_co_u32 v0, vcc_lo, s0, v2
	s_wait_alu 0xfffd
	v_add_co_ci_u32_e64 v28, null, s1, v3, vcc_lo
	s_lshl_b64 s[0:1], s[12:13], 3
	v_lshlrev_b32_e32 v2, 3, v15
	s_wait_alu 0xfffe
	v_add_co_u32 v3, vcc_lo, v10, s0
	s_wait_alu 0xfffd
	v_add_co_ci_u32_e64 v10, null, s1, v11, vcc_lo
	v_cmp_eq_f64_e64 s1, s[36:37], 0
	v_cmp_gt_i64_e64 s0, s[4:5], 0
	v_add_co_u32 v29, vcc_lo, v3, v2
	s_wait_alu 0xfffd
	v_add_co_ci_u32_e64 v30, null, 0, v10, vcc_lo
	v_lshlrev_b64_e32 v[2:3], 3, v[6:7]
	s_wait_alu 0xf1ff
	v_cndmask_b32_e64 v11, 0, 1, s0
	v_lshlrev_b64_e32 v[6:7], 3, v[8:9]
	s_lshl_b64 s[12:13], s[24:25], 3
	s_lshl_b64 s[18:19], s[22:23], 3
	;; [unrolled: 1-line block ×3, first 2 shown]
	v_cmp_ne_u32_e64 s0, 1, v11
	v_cndmask_b32_e64 v10, 0, 1, s1
	s_delay_alu instid0(VALU_DEP_1)
	v_cmp_ne_u32_e64 s1, 1, v10
	s_branch .LBB220_3
.LBB220_2:                              ;   in Loop: Header=BB220_3 Depth=1
	s_add_co_i32 s28, s28, 0x10000
	s_delay_alu instid0(SALU_CYCLE_1)
	s_cmp_lt_i32 s28, s30
	s_cbranch_scc0 .LBB220_11
.LBB220_3:                              ; =>This Loop Header: Depth=1
                                        ;     Child Loop BB220_5 Depth 2
	s_lshl_b64 s[2:3], s[28:29], 3
	s_and_b32 vcc_lo, exec_lo, s0
	s_wait_alu 0xfffe
	s_add_nc_u64 s[24:25], s[38:39], s[2:3]
	s_add_nc_u64 s[26:27], s[20:21], s[2:3]
	s_clause 0x1
	global_load_b64 v[8:9], v1, s[24:25]
	global_load_b64 v[10:11], v1, s[26:27]
	s_cbranch_vccnz .LBB220_8
; %bb.4:                                ;   in Loop: Header=BB220_3 Depth=1
	s_add_nc_u64 s[24:25], s[14:15], s[2:3]
	s_add_nc_u64 s[2:3], s[8:9], s[2:3]
	s_clause 0x1
	global_load_b64 v[20:21], v1, s[24:25]
	global_load_b64 v[22:23], v1, s[2:3]
	v_mov_b32_e32 v12, 0
	v_dual_mov_b32 v16, 0 :: v_dual_mov_b32 v13, 0
	v_dual_mov_b32 v14, 0 :: v_dual_mov_b32 v17, 0
	;; [unrolled: 1-line block ×3, first 2 shown]
	v_mov_b32_e32 v19, 0
	s_mov_b64 s[24:25], 0
	s_wait_loadcnt 0x1
	v_add_co_u32 v20, vcc_lo, v20, v0
	s_wait_alu 0xfffd
	v_add_co_ci_u32_e64 v21, null, v21, v28, vcc_lo
	s_wait_loadcnt 0x0
	v_add_co_u32 v22, vcc_lo, v22, v29
	s_wait_alu 0xfffd
	v_add_co_ci_u32_e64 v23, null, v23, v30, vcc_lo
.LBB220_5:                              ;   Parent Loop BB220_3 Depth=1
                                        ; =>  This Inner Loop Header: Depth=2
	flat_load_b64 v[31:32], v[22:23]
	s_wait_alu 0xfffe
	s_add_nc_u64 s[24:25], s[24:25], 8
	v_add_co_u32 v22, vcc_lo, v22, 64
	s_wait_alu 0xfffe
	v_cmp_lt_i64_e64 s2, s[24:25], s[4:5]
	s_wait_alu 0xfffd
	v_add_co_ci_u32_e64 v23, null, 0, v23, vcc_lo
	s_and_b32 vcc_lo, exec_lo, s2
	s_wait_loadcnt_dscnt 0x0
	ds_store_b64 v24, v[31:32]
	flat_load_b64 v[31:32], v[20:21]
	v_add_co_u32 v20, s2, v20, s10
	s_wait_alu 0xf1ff
	v_add_co_ci_u32_e64 v21, null, s11, v21, s2
	s_wait_loadcnt_dscnt 0x0
	ds_store_b64 v25, v[31:32]
	s_wait_dscnt 0x0
	s_barrier_signal -1
	s_barrier_wait -1
	global_inv scope:SCOPE_SE
	ds_load_b128 v[31:34], v27
	ds_load_2addr_b64 v[35:38], v26 offset1:16
	ds_load_b128 v[39:42], v27 offset:1024
	ds_load_b128 v[43:46], v27 offset:16
	;; [unrolled: 1-line block ×3, first 2 shown]
	s_wait_dscnt 0x3
	v_fma_f64 v[18:19], v[35:36], v[31:32], v[18:19]
	v_fma_f64 v[16:17], v[37:38], v[31:32], v[16:17]
	s_wait_dscnt 0x2
	v_fma_f64 v[31:32], v[35:36], v[39:40], v[14:15]
	v_fma_f64 v[35:36], v[37:38], v[39:40], v[12:13]
	ds_load_2addr_b64 v[12:15], v26 offset0:32 offset1:48
	s_wait_dscnt 0x0
	v_fma_f64 v[18:19], v[12:13], v[33:34], v[18:19]
	v_fma_f64 v[16:17], v[14:15], v[33:34], v[16:17]
	v_fma_f64 v[31:32], v[12:13], v[41:42], v[31:32]
	v_fma_f64 v[33:34], v[14:15], v[41:42], v[35:36]
	ds_load_2addr_b64 v[12:15], v26 offset0:64 offset1:80
	s_wait_dscnt 0x0
	v_fma_f64 v[18:19], v[12:13], v[43:44], v[18:19]
	v_fma_f64 v[16:17], v[14:15], v[43:44], v[16:17]
	;; [unrolled: 6-line block ×3, first 2 shown]
	v_fma_f64 v[47:48], v[12:13], v[49:50], v[31:32]
	v_fma_f64 v[49:50], v[14:15], v[49:50], v[33:34]
	ds_load_b128 v[12:15], v27 offset:32
	ds_load_2addr_b64 v[16:19], v26 offset0:128 offset1:144
	ds_load_b128 v[31:34], v27 offset:1056
	ds_load_b128 v[35:38], v27 offset:48
	;; [unrolled: 1-line block ×3, first 2 shown]
	s_wait_dscnt 0x3
	v_fma_f64 v[43:44], v[16:17], v[12:13], v[43:44]
	v_fma_f64 v[12:13], v[18:19], v[12:13], v[45:46]
	s_wait_dscnt 0x2
	v_fma_f64 v[45:46], v[16:17], v[31:32], v[47:48]
	v_fma_f64 v[31:32], v[18:19], v[31:32], v[49:50]
	ds_load_2addr_b64 v[16:19], v26 offset0:160 offset1:176
	s_wait_dscnt 0x0
	v_fma_f64 v[43:44], v[16:17], v[14:15], v[43:44]
	v_fma_f64 v[47:48], v[18:19], v[14:15], v[12:13]
	;; [unrolled: 1-line block ×4, first 2 shown]
	ds_load_2addr_b64 v[12:15], v26 offset0:192 offset1:208
	ds_load_2addr_b64 v[31:34], v26 offset0:224 offset1:240
	s_wait_loadcnt_dscnt 0x0
	s_barrier_signal -1
	s_barrier_wait -1
	global_inv scope:SCOPE_SE
	v_fma_f64 v[43:44], v[12:13], v[35:36], v[43:44]
	v_fma_f64 v[35:36], v[14:15], v[35:36], v[47:48]
	;; [unrolled: 1-line block ×4, first 2 shown]
	s_delay_alu instid0(VALU_DEP_4) | instskip(NEXT) | instid1(VALU_DEP_4)
	v_fma_f64 v[18:19], v[31:32], v[37:38], v[43:44]
	v_fma_f64 v[16:17], v[33:34], v[37:38], v[35:36]
	s_delay_alu instid0(VALU_DEP_4) | instskip(NEXT) | instid1(VALU_DEP_4)
	v_fma_f64 v[14:15], v[31:32], v[41:42], v[12:13]
	v_fma_f64 v[12:13], v[33:34], v[41:42], v[39:40]
	s_wait_alu 0xfffe
	s_cbranch_vccnz .LBB220_5
; %bb.6:                                ;   in Loop: Header=BB220_3 Depth=1
	v_add_co_u32 v10, vcc_lo, v10, s12
	s_wait_alu 0xfffd
	v_add_co_ci_u32_e64 v11, null, s13, v11, vcc_lo
	s_and_b32 vcc_lo, exec_lo, s1
	s_wait_alu 0xfffe
	s_cbranch_vccnz .LBB220_9
.LBB220_7:                              ;   in Loop: Header=BB220_3 Depth=1
	v_mul_f64_e32 v[20:21], s[6:7], v[18:19]
	v_mul_f64_e32 v[22:23], s[6:7], v[16:17]
	v_mul_f64_e32 v[31:32], s[6:7], v[14:15]
	v_mul_f64_e32 v[33:34], s[6:7], v[12:13]
	v_add_co_u32 v35, vcc_lo, v10, v4
	s_wait_alu 0xfffd
	v_add_co_ci_u32_e64 v36, null, v11, v5, vcc_lo
	s_delay_alu instid0(VALU_DEP_2) | instskip(SKIP_1) | instid1(VALU_DEP_2)
	v_add_co_u32 v37, vcc_lo, v35, s22
	s_wait_alu 0xfffd
	v_add_co_ci_u32_e64 v38, null, s23, v36, vcc_lo
	v_add_co_u32 v35, vcc_lo, v35, v6
	s_wait_alu 0xfffd
	v_add_co_ci_u32_e64 v36, null, v36, v7, vcc_lo
	v_add_co_u32 v37, vcc_lo, v37, v6
	s_wait_alu 0xfffd
	v_add_co_ci_u32_e64 v38, null, v38, v7, vcc_lo
	s_clause 0x3
	flat_store_b64 v[35:36], v[20:21]
	flat_store_b64 v[35:36], v[22:23] offset:128
	flat_store_b64 v[37:38], v[31:32]
	flat_store_b64 v[37:38], v[33:34] offset:128
	s_cbranch_execnz .LBB220_2
	s_branch .LBB220_10
.LBB220_8:                              ;   in Loop: Header=BB220_3 Depth=1
	v_mov_b32_e32 v18, 0
	v_dual_mov_b32 v14, 0 :: v_dual_mov_b32 v19, 0
	v_dual_mov_b32 v16, 0 :: v_dual_mov_b32 v15, 0
	;; [unrolled: 1-line block ×3, first 2 shown]
	v_mov_b32_e32 v13, 0
	s_wait_loadcnt 0x0
	v_add_co_u32 v10, vcc_lo, v10, s12
	s_wait_alu 0xfffd
	v_add_co_ci_u32_e64 v11, null, s13, v11, vcc_lo
	s_and_b32 vcc_lo, exec_lo, s1
	s_wait_alu 0xfffe
	s_cbranch_vccz .LBB220_7
.LBB220_9:                              ;   in Loop: Header=BB220_3 Depth=1
.LBB220_10:                             ;   in Loop: Header=BB220_3 Depth=1
	v_add_co_u32 v8, vcc_lo, v8, s16
	s_wait_alu 0xfffd
	v_add_co_ci_u32_e64 v9, null, s17, v9, vcc_lo
	s_delay_alu instid0(VALU_DEP_2) | instskip(SKIP_1) | instid1(VALU_DEP_2)
	v_add_co_u32 v22, vcc_lo, v8, v2
	s_wait_alu 0xfffd
	v_add_co_ci_u32_e64 v23, null, v9, v3, vcc_lo
	s_delay_alu instid0(VALU_DEP_2) | instskip(SKIP_1) | instid1(VALU_DEP_2)
	v_add_co_u32 v8, vcc_lo, v22, v6
	s_wait_alu 0xfffd
	v_add_co_ci_u32_e64 v9, null, v23, v7, vcc_lo
	flat_load_b64 v[20:21], v[8:9]
	s_wait_loadcnt_dscnt 0x0
	v_mul_f64_e32 v[20:21], s[36:37], v[20:21]
	s_delay_alu instid0(VALU_DEP_1) | instskip(SKIP_3) | instid1(VALU_DEP_2)
	v_fma_f64 v[18:19], s[6:7], v[18:19], v[20:21]
	v_add_co_u32 v20, vcc_lo, v10, v4
	s_wait_alu 0xfffd
	v_add_co_ci_u32_e64 v21, null, v11, v5, vcc_lo
	v_add_co_u32 v10, vcc_lo, v20, v6
	s_wait_alu 0xfffd
	s_delay_alu instid0(VALU_DEP_2) | instskip(SKIP_4) | instid1(VALU_DEP_1)
	v_add_co_ci_u32_e64 v11, null, v21, v7, vcc_lo
	flat_store_b64 v[10:11], v[18:19]
	flat_load_b64 v[8:9], v[8:9] offset:128
	s_wait_loadcnt_dscnt 0x0
	v_mul_f64_e32 v[8:9], s[36:37], v[8:9]
	v_fma_f64 v[8:9], s[6:7], v[16:17], v[8:9]
	v_add_co_u32 v16, vcc_lo, v22, s18
	s_wait_alu 0xfffd
	v_add_co_ci_u32_e64 v17, null, s19, v23, vcc_lo
	s_delay_alu instid0(VALU_DEP_2) | instskip(SKIP_1) | instid1(VALU_DEP_2)
	v_add_co_u32 v16, vcc_lo, v16, v6
	s_wait_alu 0xfffd
	v_add_co_ci_u32_e64 v17, null, v17, v7, vcc_lo
	flat_store_b64 v[10:11], v[8:9] offset:128
	flat_load_b64 v[8:9], v[16:17]
	v_add_co_u32 v10, vcc_lo, v20, s22
	s_wait_alu 0xfffd
	v_add_co_ci_u32_e64 v11, null, s23, v21, vcc_lo
	s_delay_alu instid0(VALU_DEP_2) | instskip(SKIP_1) | instid1(VALU_DEP_2)
	v_add_co_u32 v10, vcc_lo, v10, v6
	s_wait_alu 0xfffd
	v_add_co_ci_u32_e64 v11, null, v11, v7, vcc_lo
	s_wait_loadcnt_dscnt 0x0
	v_mul_f64_e32 v[8:9], s[36:37], v[8:9]
	s_delay_alu instid0(VALU_DEP_1) | instskip(SKIP_4) | instid1(VALU_DEP_1)
	v_fma_f64 v[8:9], s[6:7], v[14:15], v[8:9]
	flat_store_b64 v[10:11], v[8:9]
	flat_load_b64 v[8:9], v[16:17] offset:128
	s_wait_loadcnt_dscnt 0x0
	v_mul_f64_e32 v[8:9], s[36:37], v[8:9]
	v_fma_f64 v[8:9], s[6:7], v[12:13], v[8:9]
	flat_store_b64 v[10:11], v[8:9] offset:128
	s_branch .LBB220_2
.LBB220_11:
	s_endpgm
	.section	.rodata,"a",@progbits
	.p2align	6, 0x0
	.amdhsa_kernel _ZN12_GLOBAL__N_127rocblas_gemm_batched_kernelIdLi16ELi16ELi32ELi32ELi8ELi32ELi8ELi8ELi32ELc67ELc84EKPKdS3_KPdEEvlllT_PT11_llS8_llS6_PT12_llPT13_lli
		.amdhsa_group_segment_fixed_size 4096
		.amdhsa_private_segment_fixed_size 0
		.amdhsa_kernarg_size 140
		.amdhsa_user_sgpr_count 2
		.amdhsa_user_sgpr_dispatch_ptr 0
		.amdhsa_user_sgpr_queue_ptr 0
		.amdhsa_user_sgpr_kernarg_segment_ptr 1
		.amdhsa_user_sgpr_dispatch_id 0
		.amdhsa_user_sgpr_private_segment_size 0
		.amdhsa_wavefront_size32 1
		.amdhsa_uses_dynamic_stack 0
		.amdhsa_enable_private_segment 0
		.amdhsa_system_sgpr_workgroup_id_x 1
		.amdhsa_system_sgpr_workgroup_id_y 1
		.amdhsa_system_sgpr_workgroup_id_z 1
		.amdhsa_system_sgpr_workgroup_info 0
		.amdhsa_system_vgpr_workitem_id 1
		.amdhsa_next_free_vgpr 51
		.amdhsa_next_free_sgpr 44
		.amdhsa_reserve_vcc 1
		.amdhsa_float_round_mode_32 0
		.amdhsa_float_round_mode_16_64 0
		.amdhsa_float_denorm_mode_32 3
		.amdhsa_float_denorm_mode_16_64 3
		.amdhsa_fp16_overflow 0
		.amdhsa_workgroup_processor_mode 1
		.amdhsa_memory_ordered 1
		.amdhsa_forward_progress 1
		.amdhsa_inst_pref_size 16
		.amdhsa_round_robin_scheduling 0
		.amdhsa_exception_fp_ieee_invalid_op 0
		.amdhsa_exception_fp_denorm_src 0
		.amdhsa_exception_fp_ieee_div_zero 0
		.amdhsa_exception_fp_ieee_overflow 0
		.amdhsa_exception_fp_ieee_underflow 0
		.amdhsa_exception_fp_ieee_inexact 0
		.amdhsa_exception_int_div_zero 0
	.end_amdhsa_kernel
	.section	.text._ZN12_GLOBAL__N_127rocblas_gemm_batched_kernelIdLi16ELi16ELi32ELi32ELi8ELi32ELi8ELi8ELi32ELc67ELc84EKPKdS3_KPdEEvlllT_PT11_llS8_llS6_PT12_llPT13_lli,"axG",@progbits,_ZN12_GLOBAL__N_127rocblas_gemm_batched_kernelIdLi16ELi16ELi32ELi32ELi8ELi32ELi8ELi8ELi32ELc67ELc84EKPKdS3_KPdEEvlllT_PT11_llS8_llS6_PT12_llPT13_lli,comdat
.Lfunc_end220:
	.size	_ZN12_GLOBAL__N_127rocblas_gemm_batched_kernelIdLi16ELi16ELi32ELi32ELi8ELi32ELi8ELi8ELi32ELc67ELc84EKPKdS3_KPdEEvlllT_PT11_llS8_llS6_PT12_llPT13_lli, .Lfunc_end220-_ZN12_GLOBAL__N_127rocblas_gemm_batched_kernelIdLi16ELi16ELi32ELi32ELi8ELi32ELi8ELi8ELi32ELc67ELc84EKPKdS3_KPdEEvlllT_PT11_llS8_llS6_PT12_llPT13_lli
                                        ; -- End function
	.set _ZN12_GLOBAL__N_127rocblas_gemm_batched_kernelIdLi16ELi16ELi32ELi32ELi8ELi32ELi8ELi8ELi32ELc67ELc84EKPKdS3_KPdEEvlllT_PT11_llS8_llS6_PT12_llPT13_lli.num_vgpr, 51
	.set _ZN12_GLOBAL__N_127rocblas_gemm_batched_kernelIdLi16ELi16ELi32ELi32ELi8ELi32ELi8ELi8ELi32ELc67ELc84EKPKdS3_KPdEEvlllT_PT11_llS8_llS6_PT12_llPT13_lli.num_agpr, 0
	.set _ZN12_GLOBAL__N_127rocblas_gemm_batched_kernelIdLi16ELi16ELi32ELi32ELi8ELi32ELi8ELi8ELi32ELc67ELc84EKPKdS3_KPdEEvlllT_PT11_llS8_llS6_PT12_llPT13_lli.numbered_sgpr, 44
	.set _ZN12_GLOBAL__N_127rocblas_gemm_batched_kernelIdLi16ELi16ELi32ELi32ELi8ELi32ELi8ELi8ELi32ELc67ELc84EKPKdS3_KPdEEvlllT_PT11_llS8_llS6_PT12_llPT13_lli.num_named_barrier, 0
	.set _ZN12_GLOBAL__N_127rocblas_gemm_batched_kernelIdLi16ELi16ELi32ELi32ELi8ELi32ELi8ELi8ELi32ELc67ELc84EKPKdS3_KPdEEvlllT_PT11_llS8_llS6_PT12_llPT13_lli.private_seg_size, 0
	.set _ZN12_GLOBAL__N_127rocblas_gemm_batched_kernelIdLi16ELi16ELi32ELi32ELi8ELi32ELi8ELi8ELi32ELc67ELc84EKPKdS3_KPdEEvlllT_PT11_llS8_llS6_PT12_llPT13_lli.uses_vcc, 1
	.set _ZN12_GLOBAL__N_127rocblas_gemm_batched_kernelIdLi16ELi16ELi32ELi32ELi8ELi32ELi8ELi8ELi32ELc67ELc84EKPKdS3_KPdEEvlllT_PT11_llS8_llS6_PT12_llPT13_lli.uses_flat_scratch, 1
	.set _ZN12_GLOBAL__N_127rocblas_gemm_batched_kernelIdLi16ELi16ELi32ELi32ELi8ELi32ELi8ELi8ELi32ELc67ELc84EKPKdS3_KPdEEvlllT_PT11_llS8_llS6_PT12_llPT13_lli.has_dyn_sized_stack, 0
	.set _ZN12_GLOBAL__N_127rocblas_gemm_batched_kernelIdLi16ELi16ELi32ELi32ELi8ELi32ELi8ELi8ELi32ELc67ELc84EKPKdS3_KPdEEvlllT_PT11_llS8_llS6_PT12_llPT13_lli.has_recursion, 0
	.set _ZN12_GLOBAL__N_127rocblas_gemm_batched_kernelIdLi16ELi16ELi32ELi32ELi8ELi32ELi8ELi8ELi32ELc67ELc84EKPKdS3_KPdEEvlllT_PT11_llS8_llS6_PT12_llPT13_lli.has_indirect_call, 0
	.section	.AMDGPU.csdata,"",@progbits
; Kernel info:
; codeLenInByte = 1932
; TotalNumSgprs: 46
; NumVgprs: 51
; ScratchSize: 0
; MemoryBound: 0
; FloatMode: 240
; IeeeMode: 1
; LDSByteSize: 4096 bytes/workgroup (compile time only)
; SGPRBlocks: 0
; VGPRBlocks: 6
; NumSGPRsForWavesPerEU: 46
; NumVGPRsForWavesPerEU: 51
; Occupancy: 16
; WaveLimiterHint : 1
; COMPUTE_PGM_RSRC2:SCRATCH_EN: 0
; COMPUTE_PGM_RSRC2:USER_SGPR: 2
; COMPUTE_PGM_RSRC2:TRAP_HANDLER: 0
; COMPUTE_PGM_RSRC2:TGID_X_EN: 1
; COMPUTE_PGM_RSRC2:TGID_Y_EN: 1
; COMPUTE_PGM_RSRC2:TGID_Z_EN: 1
; COMPUTE_PGM_RSRC2:TIDIG_COMP_CNT: 1
	.section	.text._ZN12_GLOBAL__N_127rocblas_gemm_batched_kernelIdLi16ELi16ELi32ELi32ELi8ELi32ELi8ELi8ELi32ELc78ELc67EKPKdS3_KPdEEvlllT_PT11_llS8_llS6_PT12_llPT13_lli,"axG",@progbits,_ZN12_GLOBAL__N_127rocblas_gemm_batched_kernelIdLi16ELi16ELi32ELi32ELi8ELi32ELi8ELi8ELi32ELc78ELc67EKPKdS3_KPdEEvlllT_PT11_llS8_llS6_PT12_llPT13_lli,comdat
	.globl	_ZN12_GLOBAL__N_127rocblas_gemm_batched_kernelIdLi16ELi16ELi32ELi32ELi8ELi32ELi8ELi8ELi32ELc78ELc67EKPKdS3_KPdEEvlllT_PT11_llS8_llS6_PT12_llPT13_lli ; -- Begin function _ZN12_GLOBAL__N_127rocblas_gemm_batched_kernelIdLi16ELi16ELi32ELi32ELi8ELi32ELi8ELi8ELi32ELc78ELc67EKPKdS3_KPdEEvlllT_PT11_llS8_llS6_PT12_llPT13_lli
	.p2align	8
	.type	_ZN12_GLOBAL__N_127rocblas_gemm_batched_kernelIdLi16ELi16ELi32ELi32ELi8ELi32ELi8ELi8ELi32ELc78ELc67EKPKdS3_KPdEEvlllT_PT11_llS8_llS6_PT12_llPT13_lli,@function
_ZN12_GLOBAL__N_127rocblas_gemm_batched_kernelIdLi16ELi16ELi32ELi32ELi8ELi32ELi8ELi8ELi32ELc78ELc67EKPKdS3_KPdEEvlllT_PT11_llS8_llS6_PT12_llPT13_lli: ; @_ZN12_GLOBAL__N_127rocblas_gemm_batched_kernelIdLi16ELi16ELi32ELi32ELi8ELi32ELi8ELi8ELi32ELc78ELc67EKPKdS3_KPdEEvlllT_PT11_llS8_llS6_PT12_llPT13_lli
; %bb.0:
	s_load_b32 s30, s[0:1], 0x88
	s_lshr_b32 s28, ttmp7, 16
	s_wait_kmcnt 0x0
	s_cmp_ge_i32 s28, s30
	s_cbranch_scc1 .LBB221_11
; %bb.1:
	s_clause 0x2
	s_load_b256 s[20:27], s[0:1], 0x70
	s_load_b512 s[4:19], s[0:1], 0x10
	s_load_b256 s[36:43], s[0:1], 0x50
	v_bfe_u32 v2, v0, 10, 10
	s_lshl_b32 s0, ttmp7, 5
	v_dual_mov_b32 v1, 0 :: v_dual_and_b32 v10, 0x3ff, v0
	s_wait_kmcnt 0x0
	s_and_b32 s26, s0, 0x1fffe0
	v_and_b32_e32 v14, 7, v0
	v_add_nc_u32_e32 v16, s26, v2
	v_lshl_add_u32 v3, v2, 4, v10
	v_lshl_add_u32 v25, v2, 6, 0x800
	s_mov_b32 s2, ttmp9
	s_ashr_i32 s3, ttmp9, 31
	s_mov_b32 s29, 0
	v_lshrrev_b32_e32 v0, 3, v3
	v_lshrrev_b32_e32 v18, 5, v3
	s_lshl_b64 s[0:1], s[2:3], 5
	v_mad_co_u64_u32 v[4:5], null, v16, s22, 0
	v_and_b32_e32 v17, 31, v3
	v_mad_co_u64_u32 v[8:9], null, s16, v14, v[0:1]
	s_delay_alu instid0(VALU_DEP_3) | instskip(NEXT) | instid1(VALU_DEP_3)
	v_mov_b32_e32 v2, v5
	v_lshlrev_b32_e32 v12, 3, v17
	s_delay_alu instid0(VALU_DEP_3) | instskip(NEXT) | instid1(VALU_DEP_3)
	v_add_co_u32 v8, vcc_lo, v8, s26
	v_mad_co_u64_u32 v[2:3], null, v16, s23, v[2:3]
	v_dual_mov_b32 v3, v9 :: v_dual_lshlrev_b32 v6, 3, v14
	s_delay_alu instid0(VALU_DEP_1) | instskip(NEXT) | instid1(VALU_DEP_2)
	v_mad_co_u64_u32 v[14:15], null, s17, v14, v[3:4]
	v_lshl_or_b32 v13, v0, 6, v6
	s_delay_alu instid0(VALU_DEP_4) | instskip(SKIP_2) | instid1(VALU_DEP_4)
	v_mov_b32_e32 v5, v2
	v_mad_co_u64_u32 v[6:7], null, v16, s40, 0
	v_lshl_or_b32 v0, v18, 8, v12
	v_add_nc_u32_e32 v26, 0x800, v13
	v_mad_co_u64_u32 v[12:13], null, s10, v18, s[0:1]
	v_add_co_ci_u32_e64 v9, null, 0, v14, vcc_lo
	v_mov_b32_e32 v2, v7
	s_lshl_b64 s[16:17], s[16:17], 6
	s_delay_alu instid0(VALU_DEP_1) | instskip(NEXT) | instid1(VALU_DEP_4)
	v_mad_co_u64_u32 v[2:3], null, v16, s41, v[2:3]
	v_dual_mov_b32 v3, v13 :: v_dual_lshlrev_b32 v24, 3, v10
	v_add_co_u32 v10, s2, s0, v10
	s_delay_alu instid0(VALU_DEP_1) | instskip(NEXT) | instid1(VALU_DEP_3)
	v_add_co_ci_u32_e64 v11, null, s1, 0, s2
	v_mad_co_u64_u32 v[13:14], null, s11, v18, v[3:4]
	v_mov_b32_e32 v7, v2
	v_lshlrev_b64_e32 v[2:3], 3, v[8:9]
	v_add_co_u32 v8, vcc_lo, v12, v17
	s_lshl_b64 s[0:1], s[18:19], 3
	v_lshlrev_b64_e32 v[4:5], 3, v[4:5]
	s_wait_alu 0xfffd
	v_add_co_ci_u32_e64 v9, null, 0, v13, vcc_lo
	s_wait_alu 0xfffe
	v_add_co_u32 v27, vcc_lo, s0, v2
	s_wait_alu 0xfffd
	v_add_co_ci_u32_e64 v28, null, s1, v3, vcc_lo
	v_lshlrev_b64_e32 v[2:3], 3, v[8:9]
	s_lshl_b64 s[0:1], s[12:13], 3
	v_cmp_gt_i64_e64 s12, s[4:5], 0
	s_lshl_b64 s[2:3], s[22:23], 4
	s_lshl_b64 s[22:23], s[40:41], 4
	;; [unrolled: 1-line block ×3, first 2 shown]
	s_wait_alu 0xfffe
	v_add_co_u32 v29, vcc_lo, s0, v2
	s_wait_alu 0xfffd
	v_add_co_ci_u32_e64 v30, null, s1, v3, vcc_lo
	v_cmp_eq_f64_e64 s1, s[36:37], 0
	v_cndmask_b32_e64 v8, 0, 1, s12
	v_lshlrev_b64_e32 v[2:3], 3, v[6:7]
	v_lshlrev_b64_e32 v[6:7], 3, v[10:11]
	s_lshl_b64 s[12:13], s[24:25], 3
	s_lshl_b64 s[18:19], s[42:43], 3
	v_cmp_ne_u32_e64 s0, 1, v8
	s_lshl_b64 s[22:23], s[22:23], 3
	s_lshl_b64 s[24:25], s[2:3], 3
	v_cndmask_b32_e64 v8, 0, 1, s1
	s_delay_alu instid0(VALU_DEP_1)
	v_cmp_ne_u32_e64 s1, 1, v8
	s_branch .LBB221_3
.LBB221_2:                              ;   in Loop: Header=BB221_3 Depth=1
	s_add_co_i32 s28, s28, 0x10000
	s_delay_alu instid0(SALU_CYCLE_1)
	s_cmp_lt_i32 s28, s30
	s_cbranch_scc0 .LBB221_11
.LBB221_3:                              ; =>This Loop Header: Depth=1
                                        ;     Child Loop BB221_5 Depth 2
	s_lshl_b64 s[2:3], s[28:29], 3
	s_and_b32 vcc_lo, exec_lo, s0
	s_wait_alu 0xfffe
	s_add_nc_u64 s[26:27], s[38:39], s[2:3]
	s_add_nc_u64 s[34:35], s[20:21], s[2:3]
	s_clause 0x1
	global_load_b64 v[8:9], v1, s[26:27]
	global_load_b64 v[10:11], v1, s[34:35]
	s_cbranch_vccnz .LBB221_8
; %bb.4:                                ;   in Loop: Header=BB221_3 Depth=1
	s_add_nc_u64 s[26:27], s[14:15], s[2:3]
	s_add_nc_u64 s[2:3], s[8:9], s[2:3]
	s_clause 0x1
	global_load_b64 v[20:21], v1, s[26:27]
	global_load_b64 v[22:23], v1, s[2:3]
	v_mov_b32_e32 v12, 0
	v_dual_mov_b32 v16, 0 :: v_dual_mov_b32 v13, 0
	v_dual_mov_b32 v14, 0 :: v_dual_mov_b32 v17, 0
	v_dual_mov_b32 v18, 0 :: v_dual_mov_b32 v15, 0
	v_mov_b32_e32 v19, 0
	s_mov_b64 s[26:27], 0
	s_wait_loadcnt 0x1
	v_add_co_u32 v20, vcc_lo, v20, v27
	s_wait_alu 0xfffd
	v_add_co_ci_u32_e64 v21, null, v21, v28, vcc_lo
	s_wait_loadcnt 0x0
	v_add_co_u32 v22, vcc_lo, v22, v29
	s_wait_alu 0xfffd
	v_add_co_ci_u32_e64 v23, null, v23, v30, vcc_lo
.LBB221_5:                              ;   Parent Loop BB221_3 Depth=1
                                        ; =>  This Inner Loop Header: Depth=2
	flat_load_b64 v[31:32], v[22:23]
	s_wait_alu 0xfffe
	s_add_nc_u64 s[26:27], s[26:27], 8
	v_add_co_u32 v22, vcc_lo, v22, s10
	s_wait_alu 0xfffe
	v_cmp_lt_i64_e64 s2, s[26:27], s[4:5]
	s_wait_alu 0xfffd
	v_add_co_ci_u32_e64 v23, null, s11, v23, vcc_lo
	s_and_b32 vcc_lo, exec_lo, s2
	s_wait_loadcnt_dscnt 0x0
	ds_store_b64 v0, v[31:32]
	flat_load_b64 v[31:32], v[20:21]
	v_add_co_u32 v20, s2, v20, s16
	s_wait_alu 0xf1ff
	v_add_co_ci_u32_e64 v21, null, s17, v21, s2
	s_wait_loadcnt_dscnt 0x0
	ds_store_b64 v26, v[31:32]
	s_wait_dscnt 0x0
	s_barrier_signal -1
	s_barrier_wait -1
	global_inv scope:SCOPE_SE
	ds_load_b128 v[31:34], v25
	ds_load_2addr_b64 v[35:38], v24 offset1:16
	ds_load_b128 v[39:42], v25 offset:1024
	ds_load_b128 v[43:46], v25 offset:16
	;; [unrolled: 1-line block ×3, first 2 shown]
	s_wait_dscnt 0x3
	v_fma_f64 v[18:19], v[35:36], v[31:32], v[18:19]
	v_fma_f64 v[16:17], v[37:38], v[31:32], v[16:17]
	s_wait_dscnt 0x2
	v_fma_f64 v[31:32], v[35:36], v[39:40], v[14:15]
	v_fma_f64 v[35:36], v[37:38], v[39:40], v[12:13]
	ds_load_2addr_b64 v[12:15], v24 offset0:32 offset1:48
	s_wait_dscnt 0x0
	v_fma_f64 v[18:19], v[12:13], v[33:34], v[18:19]
	v_fma_f64 v[16:17], v[14:15], v[33:34], v[16:17]
	v_fma_f64 v[31:32], v[12:13], v[41:42], v[31:32]
	v_fma_f64 v[33:34], v[14:15], v[41:42], v[35:36]
	ds_load_2addr_b64 v[12:15], v24 offset0:64 offset1:80
	s_wait_dscnt 0x0
	v_fma_f64 v[18:19], v[12:13], v[43:44], v[18:19]
	v_fma_f64 v[16:17], v[14:15], v[43:44], v[16:17]
	;; [unrolled: 6-line block ×3, first 2 shown]
	v_fma_f64 v[47:48], v[12:13], v[49:50], v[31:32]
	v_fma_f64 v[49:50], v[14:15], v[49:50], v[33:34]
	ds_load_b128 v[12:15], v25 offset:32
	ds_load_2addr_b64 v[16:19], v24 offset0:128 offset1:144
	ds_load_b128 v[31:34], v25 offset:1056
	ds_load_b128 v[35:38], v25 offset:48
	;; [unrolled: 1-line block ×3, first 2 shown]
	s_wait_dscnt 0x3
	v_fma_f64 v[43:44], v[16:17], v[12:13], v[43:44]
	v_fma_f64 v[12:13], v[18:19], v[12:13], v[45:46]
	s_wait_dscnt 0x2
	v_fma_f64 v[45:46], v[16:17], v[31:32], v[47:48]
	v_fma_f64 v[31:32], v[18:19], v[31:32], v[49:50]
	ds_load_2addr_b64 v[16:19], v24 offset0:160 offset1:176
	s_wait_dscnt 0x0
	v_fma_f64 v[43:44], v[16:17], v[14:15], v[43:44]
	v_fma_f64 v[47:48], v[18:19], v[14:15], v[12:13]
	;; [unrolled: 1-line block ×4, first 2 shown]
	ds_load_2addr_b64 v[12:15], v24 offset0:192 offset1:208
	ds_load_2addr_b64 v[31:34], v24 offset0:224 offset1:240
	s_wait_loadcnt_dscnt 0x0
	s_barrier_signal -1
	s_barrier_wait -1
	global_inv scope:SCOPE_SE
	v_fma_f64 v[43:44], v[12:13], v[35:36], v[43:44]
	v_fma_f64 v[35:36], v[14:15], v[35:36], v[47:48]
	;; [unrolled: 1-line block ×4, first 2 shown]
	s_delay_alu instid0(VALU_DEP_4) | instskip(NEXT) | instid1(VALU_DEP_4)
	v_fma_f64 v[18:19], v[31:32], v[37:38], v[43:44]
	v_fma_f64 v[16:17], v[33:34], v[37:38], v[35:36]
	s_delay_alu instid0(VALU_DEP_4) | instskip(NEXT) | instid1(VALU_DEP_4)
	v_fma_f64 v[14:15], v[31:32], v[41:42], v[12:13]
	v_fma_f64 v[12:13], v[33:34], v[41:42], v[39:40]
	s_wait_alu 0xfffe
	s_cbranch_vccnz .LBB221_5
; %bb.6:                                ;   in Loop: Header=BB221_3 Depth=1
	v_add_co_u32 v10, vcc_lo, v10, s12
	s_wait_alu 0xfffd
	v_add_co_ci_u32_e64 v11, null, s13, v11, vcc_lo
	s_and_b32 vcc_lo, exec_lo, s1
	s_wait_alu 0xfffe
	s_cbranch_vccnz .LBB221_9
.LBB221_7:                              ;   in Loop: Header=BB221_3 Depth=1
	v_mul_f64_e32 v[20:21], s[6:7], v[18:19]
	v_mul_f64_e32 v[22:23], s[6:7], v[16:17]
	;; [unrolled: 1-line block ×4, first 2 shown]
	v_add_co_u32 v35, vcc_lo, v10, v4
	s_wait_alu 0xfffd
	v_add_co_ci_u32_e64 v36, null, v11, v5, vcc_lo
	s_delay_alu instid0(VALU_DEP_2) | instskip(SKIP_1) | instid1(VALU_DEP_2)
	v_add_co_u32 v37, vcc_lo, v35, s24
	s_wait_alu 0xfffd
	v_add_co_ci_u32_e64 v38, null, s25, v36, vcc_lo
	v_add_co_u32 v35, vcc_lo, v35, v6
	s_wait_alu 0xfffd
	v_add_co_ci_u32_e64 v36, null, v36, v7, vcc_lo
	v_add_co_u32 v37, vcc_lo, v37, v6
	s_wait_alu 0xfffd
	v_add_co_ci_u32_e64 v38, null, v38, v7, vcc_lo
	s_clause 0x3
	flat_store_b64 v[35:36], v[20:21]
	flat_store_b64 v[35:36], v[22:23] offset:128
	flat_store_b64 v[37:38], v[31:32]
	flat_store_b64 v[37:38], v[33:34] offset:128
	s_cbranch_execnz .LBB221_2
	s_branch .LBB221_10
.LBB221_8:                              ;   in Loop: Header=BB221_3 Depth=1
	v_mov_b32_e32 v18, 0
	v_dual_mov_b32 v14, 0 :: v_dual_mov_b32 v19, 0
	v_dual_mov_b32 v16, 0 :: v_dual_mov_b32 v15, 0
	;; [unrolled: 1-line block ×3, first 2 shown]
	v_mov_b32_e32 v13, 0
	s_wait_loadcnt 0x0
	v_add_co_u32 v10, vcc_lo, v10, s12
	s_wait_alu 0xfffd
	v_add_co_ci_u32_e64 v11, null, s13, v11, vcc_lo
	s_and_b32 vcc_lo, exec_lo, s1
	s_wait_alu 0xfffe
	s_cbranch_vccz .LBB221_7
.LBB221_9:                              ;   in Loop: Header=BB221_3 Depth=1
.LBB221_10:                             ;   in Loop: Header=BB221_3 Depth=1
	v_add_co_u32 v8, vcc_lo, v8, s18
	s_wait_alu 0xfffd
	v_add_co_ci_u32_e64 v9, null, s19, v9, vcc_lo
	s_delay_alu instid0(VALU_DEP_2) | instskip(SKIP_1) | instid1(VALU_DEP_2)
	v_add_co_u32 v22, vcc_lo, v8, v2
	s_wait_alu 0xfffd
	v_add_co_ci_u32_e64 v23, null, v9, v3, vcc_lo
	s_delay_alu instid0(VALU_DEP_2) | instskip(SKIP_1) | instid1(VALU_DEP_2)
	v_add_co_u32 v8, vcc_lo, v22, v6
	s_wait_alu 0xfffd
	v_add_co_ci_u32_e64 v9, null, v23, v7, vcc_lo
	flat_load_b64 v[20:21], v[8:9]
	s_wait_loadcnt_dscnt 0x0
	v_mul_f64_e32 v[20:21], s[36:37], v[20:21]
	s_delay_alu instid0(VALU_DEP_1) | instskip(SKIP_3) | instid1(VALU_DEP_2)
	v_fma_f64 v[18:19], s[6:7], v[18:19], v[20:21]
	v_add_co_u32 v20, vcc_lo, v10, v4
	s_wait_alu 0xfffd
	v_add_co_ci_u32_e64 v21, null, v11, v5, vcc_lo
	v_add_co_u32 v10, vcc_lo, v20, v6
	s_wait_alu 0xfffd
	s_delay_alu instid0(VALU_DEP_2) | instskip(SKIP_4) | instid1(VALU_DEP_1)
	v_add_co_ci_u32_e64 v11, null, v21, v7, vcc_lo
	flat_store_b64 v[10:11], v[18:19]
	flat_load_b64 v[8:9], v[8:9] offset:128
	s_wait_loadcnt_dscnt 0x0
	v_mul_f64_e32 v[8:9], s[36:37], v[8:9]
	v_fma_f64 v[8:9], s[6:7], v[16:17], v[8:9]
	v_add_co_u32 v16, vcc_lo, v22, s22
	s_wait_alu 0xfffd
	v_add_co_ci_u32_e64 v17, null, s23, v23, vcc_lo
	s_delay_alu instid0(VALU_DEP_2) | instskip(SKIP_1) | instid1(VALU_DEP_2)
	v_add_co_u32 v16, vcc_lo, v16, v6
	s_wait_alu 0xfffd
	v_add_co_ci_u32_e64 v17, null, v17, v7, vcc_lo
	flat_store_b64 v[10:11], v[8:9] offset:128
	flat_load_b64 v[8:9], v[16:17]
	v_add_co_u32 v10, vcc_lo, v20, s24
	s_wait_alu 0xfffd
	v_add_co_ci_u32_e64 v11, null, s25, v21, vcc_lo
	s_delay_alu instid0(VALU_DEP_2) | instskip(SKIP_1) | instid1(VALU_DEP_2)
	v_add_co_u32 v10, vcc_lo, v10, v6
	s_wait_alu 0xfffd
	v_add_co_ci_u32_e64 v11, null, v11, v7, vcc_lo
	s_wait_loadcnt_dscnt 0x0
	v_mul_f64_e32 v[8:9], s[36:37], v[8:9]
	s_delay_alu instid0(VALU_DEP_1) | instskip(SKIP_4) | instid1(VALU_DEP_1)
	v_fma_f64 v[8:9], s[6:7], v[14:15], v[8:9]
	flat_store_b64 v[10:11], v[8:9]
	flat_load_b64 v[8:9], v[16:17] offset:128
	s_wait_loadcnt_dscnt 0x0
	v_mul_f64_e32 v[8:9], s[36:37], v[8:9]
	v_fma_f64 v[8:9], s[6:7], v[12:13], v[8:9]
	flat_store_b64 v[10:11], v[8:9] offset:128
	s_branch .LBB221_2
.LBB221_11:
	s_endpgm
	.section	.rodata,"a",@progbits
	.p2align	6, 0x0
	.amdhsa_kernel _ZN12_GLOBAL__N_127rocblas_gemm_batched_kernelIdLi16ELi16ELi32ELi32ELi8ELi32ELi8ELi8ELi32ELc78ELc67EKPKdS3_KPdEEvlllT_PT11_llS8_llS6_PT12_llPT13_lli
		.amdhsa_group_segment_fixed_size 4096
		.amdhsa_private_segment_fixed_size 0
		.amdhsa_kernarg_size 140
		.amdhsa_user_sgpr_count 2
		.amdhsa_user_sgpr_dispatch_ptr 0
		.amdhsa_user_sgpr_queue_ptr 0
		.amdhsa_user_sgpr_kernarg_segment_ptr 1
		.amdhsa_user_sgpr_dispatch_id 0
		.amdhsa_user_sgpr_private_segment_size 0
		.amdhsa_wavefront_size32 1
		.amdhsa_uses_dynamic_stack 0
		.amdhsa_enable_private_segment 0
		.amdhsa_system_sgpr_workgroup_id_x 1
		.amdhsa_system_sgpr_workgroup_id_y 1
		.amdhsa_system_sgpr_workgroup_id_z 1
		.amdhsa_system_sgpr_workgroup_info 0
		.amdhsa_system_vgpr_workitem_id 1
		.amdhsa_next_free_vgpr 51
		.amdhsa_next_free_sgpr 44
		.amdhsa_reserve_vcc 1
		.amdhsa_float_round_mode_32 0
		.amdhsa_float_round_mode_16_64 0
		.amdhsa_float_denorm_mode_32 3
		.amdhsa_float_denorm_mode_16_64 3
		.amdhsa_fp16_overflow 0
		.amdhsa_workgroup_processor_mode 1
		.amdhsa_memory_ordered 1
		.amdhsa_forward_progress 1
		.amdhsa_inst_pref_size 16
		.amdhsa_round_robin_scheduling 0
		.amdhsa_exception_fp_ieee_invalid_op 0
		.amdhsa_exception_fp_denorm_src 0
		.amdhsa_exception_fp_ieee_div_zero 0
		.amdhsa_exception_fp_ieee_overflow 0
		.amdhsa_exception_fp_ieee_underflow 0
		.amdhsa_exception_fp_ieee_inexact 0
		.amdhsa_exception_int_div_zero 0
	.end_amdhsa_kernel
	.section	.text._ZN12_GLOBAL__N_127rocblas_gemm_batched_kernelIdLi16ELi16ELi32ELi32ELi8ELi32ELi8ELi8ELi32ELc78ELc67EKPKdS3_KPdEEvlllT_PT11_llS8_llS6_PT12_llPT13_lli,"axG",@progbits,_ZN12_GLOBAL__N_127rocblas_gemm_batched_kernelIdLi16ELi16ELi32ELi32ELi8ELi32ELi8ELi8ELi32ELc78ELc67EKPKdS3_KPdEEvlllT_PT11_llS8_llS6_PT12_llPT13_lli,comdat
.Lfunc_end221:
	.size	_ZN12_GLOBAL__N_127rocblas_gemm_batched_kernelIdLi16ELi16ELi32ELi32ELi8ELi32ELi8ELi8ELi32ELc78ELc67EKPKdS3_KPdEEvlllT_PT11_llS8_llS6_PT12_llPT13_lli, .Lfunc_end221-_ZN12_GLOBAL__N_127rocblas_gemm_batched_kernelIdLi16ELi16ELi32ELi32ELi8ELi32ELi8ELi8ELi32ELc78ELc67EKPKdS3_KPdEEvlllT_PT11_llS8_llS6_PT12_llPT13_lli
                                        ; -- End function
	.set _ZN12_GLOBAL__N_127rocblas_gemm_batched_kernelIdLi16ELi16ELi32ELi32ELi8ELi32ELi8ELi8ELi32ELc78ELc67EKPKdS3_KPdEEvlllT_PT11_llS8_llS6_PT12_llPT13_lli.num_vgpr, 51
	.set _ZN12_GLOBAL__N_127rocblas_gemm_batched_kernelIdLi16ELi16ELi32ELi32ELi8ELi32ELi8ELi8ELi32ELc78ELc67EKPKdS3_KPdEEvlllT_PT11_llS8_llS6_PT12_llPT13_lli.num_agpr, 0
	.set _ZN12_GLOBAL__N_127rocblas_gemm_batched_kernelIdLi16ELi16ELi32ELi32ELi8ELi32ELi8ELi8ELi32ELc78ELc67EKPKdS3_KPdEEvlllT_PT11_llS8_llS6_PT12_llPT13_lli.numbered_sgpr, 44
	.set _ZN12_GLOBAL__N_127rocblas_gemm_batched_kernelIdLi16ELi16ELi32ELi32ELi8ELi32ELi8ELi8ELi32ELc78ELc67EKPKdS3_KPdEEvlllT_PT11_llS8_llS6_PT12_llPT13_lli.num_named_barrier, 0
	.set _ZN12_GLOBAL__N_127rocblas_gemm_batched_kernelIdLi16ELi16ELi32ELi32ELi8ELi32ELi8ELi8ELi32ELc78ELc67EKPKdS3_KPdEEvlllT_PT11_llS8_llS6_PT12_llPT13_lli.private_seg_size, 0
	.set _ZN12_GLOBAL__N_127rocblas_gemm_batched_kernelIdLi16ELi16ELi32ELi32ELi8ELi32ELi8ELi8ELi32ELc78ELc67EKPKdS3_KPdEEvlllT_PT11_llS8_llS6_PT12_llPT13_lli.uses_vcc, 1
	.set _ZN12_GLOBAL__N_127rocblas_gemm_batched_kernelIdLi16ELi16ELi32ELi32ELi8ELi32ELi8ELi8ELi32ELc78ELc67EKPKdS3_KPdEEvlllT_PT11_llS8_llS6_PT12_llPT13_lli.uses_flat_scratch, 1
	.set _ZN12_GLOBAL__N_127rocblas_gemm_batched_kernelIdLi16ELi16ELi32ELi32ELi8ELi32ELi8ELi8ELi32ELc78ELc67EKPKdS3_KPdEEvlllT_PT11_llS8_llS6_PT12_llPT13_lli.has_dyn_sized_stack, 0
	.set _ZN12_GLOBAL__N_127rocblas_gemm_batched_kernelIdLi16ELi16ELi32ELi32ELi8ELi32ELi8ELi8ELi32ELc78ELc67EKPKdS3_KPdEEvlllT_PT11_llS8_llS6_PT12_llPT13_lli.has_recursion, 0
	.set _ZN12_GLOBAL__N_127rocblas_gemm_batched_kernelIdLi16ELi16ELi32ELi32ELi8ELi32ELi8ELi8ELi32ELc78ELc67EKPKdS3_KPdEEvlllT_PT11_llS8_llS6_PT12_llPT13_lli.has_indirect_call, 0
	.section	.AMDGPU.csdata,"",@progbits
; Kernel info:
; codeLenInByte = 1928
; TotalNumSgprs: 46
; NumVgprs: 51
; ScratchSize: 0
; MemoryBound: 0
; FloatMode: 240
; IeeeMode: 1
; LDSByteSize: 4096 bytes/workgroup (compile time only)
; SGPRBlocks: 0
; VGPRBlocks: 6
; NumSGPRsForWavesPerEU: 46
; NumVGPRsForWavesPerEU: 51
; Occupancy: 16
; WaveLimiterHint : 1
; COMPUTE_PGM_RSRC2:SCRATCH_EN: 0
; COMPUTE_PGM_RSRC2:USER_SGPR: 2
; COMPUTE_PGM_RSRC2:TRAP_HANDLER: 0
; COMPUTE_PGM_RSRC2:TGID_X_EN: 1
; COMPUTE_PGM_RSRC2:TGID_Y_EN: 1
; COMPUTE_PGM_RSRC2:TGID_Z_EN: 1
; COMPUTE_PGM_RSRC2:TIDIG_COMP_CNT: 1
	.section	.text._ZN12_GLOBAL__N_127rocblas_gemm_batched_kernelIdLi16ELi16ELi32ELi32ELi8ELi32ELi8ELi8ELi32ELc84ELc67EKPKdS3_KPdEEvlllT_PT11_llS8_llS6_PT12_llPT13_lli,"axG",@progbits,_ZN12_GLOBAL__N_127rocblas_gemm_batched_kernelIdLi16ELi16ELi32ELi32ELi8ELi32ELi8ELi8ELi32ELc84ELc67EKPKdS3_KPdEEvlllT_PT11_llS8_llS6_PT12_llPT13_lli,comdat
	.globl	_ZN12_GLOBAL__N_127rocblas_gemm_batched_kernelIdLi16ELi16ELi32ELi32ELi8ELi32ELi8ELi8ELi32ELc84ELc67EKPKdS3_KPdEEvlllT_PT11_llS8_llS6_PT12_llPT13_lli ; -- Begin function _ZN12_GLOBAL__N_127rocblas_gemm_batched_kernelIdLi16ELi16ELi32ELi32ELi8ELi32ELi8ELi8ELi32ELc84ELc67EKPKdS3_KPdEEvlllT_PT11_llS8_llS6_PT12_llPT13_lli
	.p2align	8
	.type	_ZN12_GLOBAL__N_127rocblas_gemm_batched_kernelIdLi16ELi16ELi32ELi32ELi8ELi32ELi8ELi8ELi32ELc84ELc67EKPKdS3_KPdEEvlllT_PT11_llS8_llS6_PT12_llPT13_lli,@function
_ZN12_GLOBAL__N_127rocblas_gemm_batched_kernelIdLi16ELi16ELi32ELi32ELi8ELi32ELi8ELi8ELi32ELc84ELc67EKPKdS3_KPdEEvlllT_PT11_llS8_llS6_PT12_llPT13_lli: ; @_ZN12_GLOBAL__N_127rocblas_gemm_batched_kernelIdLi16ELi16ELi32ELi32ELi8ELi32ELi8ELi8ELi32ELc84ELc67EKPKdS3_KPdEEvlllT_PT11_llS8_llS6_PT12_llPT13_lli
; %bb.0:
	s_load_b32 s30, s[0:1], 0x88
	s_lshr_b32 s28, ttmp7, 16
	s_wait_kmcnt 0x0
	s_cmp_ge_i32 s28, s30
	s_cbranch_scc1 .LBB222_11
; %bb.1:
	s_clause 0x1
	s_load_b256 s[20:27], s[0:1], 0x70
	s_load_b512 s[4:19], s[0:1], 0x10
	v_dual_mov_b32 v1, 0 :: v_dual_and_b32 v8, 0x3ff, v0
	v_bfe_u32 v2, v0, 10, 10
	s_load_b256 s[36:43], s[0:1], 0x50
	v_and_b32_e32 v12, 7, v0
	s_lshl_b32 s0, ttmp7, 5
	s_mov_b32 s2, ttmp9
	v_lshl_add_u32 v3, v2, 4, v8
	s_wait_kmcnt 0x0
	s_and_b32 s26, s0, 0x1fffe0
	v_lshlrev_b32_e32 v4, 3, v12
	v_add_nc_u32_e32 v14, s26, v2
	v_lshl_add_u32 v27, v2, 6, 0x800
	v_lshrrev_b32_e32 v0, 3, v3
	v_lshrrev_b32_e32 v15, 5, v3
	s_ashr_i32 s3, ttmp9, 31
	v_lshlrev_b32_e32 v26, 3, v8
	s_lshl_b64 s[0:1], s[2:3], 5
	v_lshl_or_b32 v6, v0, 6, v4
	v_mad_co_u64_u32 v[4:5], null, v14, s22, 0
	v_and_b32_e32 v13, 31, v3
	v_add_co_u32 v8, s2, s0, v8
	s_delay_alu instid0(VALU_DEP_4) | instskip(SKIP_1) | instid1(VALU_DEP_4)
	v_add_nc_u32_e32 v25, 0x800, v6
	v_mad_co_u64_u32 v[6:7], null, v14, s40, 0
	v_lshlrev_b32_e32 v3, 3, v13
	v_add_co_ci_u32_e64 v9, null, s1, 0, s2
	s_lshl_b64 s[2:3], s[22:23], 4
	s_mov_b32 s29, 0
	v_lshl_or_b32 v24, v15, 8, v3
	v_mad_co_u64_u32 v[2:3], null, s16, v12, v[0:1]
	v_mov_b32_e32 v0, v5
	v_or_b32_e32 v5, s0, v13
	s_mul_i32 s0, s10, s1
	s_delay_alu instid0(VALU_DEP_2) | instskip(SKIP_3) | instid1(VALU_DEP_3)
	v_mad_co_u64_u32 v[10:11], null, v14, s23, v[0:1]
	v_mov_b32_e32 v0, v7
	v_mad_co_u64_u32 v[11:12], null, s17, v12, v[3:4]
	v_add_co_u32 v2, vcc_lo, v2, s26
	v_mad_co_u64_u32 v[12:13], null, v14, s41, v[0:1]
	v_mul_lo_u32 v0, s11, v5
	v_mad_co_u64_u32 v[13:14], null, s10, v5, 0
	v_add_co_ci_u32_e64 v3, null, 0, v11, vcc_lo
	v_mov_b32_e32 v5, v10
	v_mov_b32_e32 v7, v12
	s_lshl_b64 s[22:23], s[40:41], 4
	s_delay_alu instid0(VALU_DEP_3)
	v_lshlrev_b64_e32 v[2:3], 3, v[2:3]
	s_wait_alu 0xfffe
	v_add3_u32 v14, v14, s0, v0
	s_lshl_b64 s[0:1], s[18:19], 3
	v_lshlrev_b64_e32 v[4:5], 3, v[4:5]
	s_lshl_b64 s[10:11], s[16:17], 6
	s_lshl_b64 s[16:17], s[42:43], 3
	v_lshlrev_b64_e32 v[10:11], 3, v[13:14]
	s_wait_alu 0xfffe
	v_add_co_u32 v0, vcc_lo, s0, v2
	s_wait_alu 0xfffd
	v_add_co_ci_u32_e64 v28, null, s1, v3, vcc_lo
	s_lshl_b64 s[0:1], s[12:13], 3
	v_lshlrev_b32_e32 v2, 3, v15
	s_wait_alu 0xfffe
	v_add_co_u32 v3, vcc_lo, v10, s0
	s_wait_alu 0xfffd
	v_add_co_ci_u32_e64 v10, null, s1, v11, vcc_lo
	v_cmp_eq_f64_e64 s1, s[36:37], 0
	v_cmp_gt_i64_e64 s0, s[4:5], 0
	v_add_co_u32 v29, vcc_lo, v3, v2
	s_wait_alu 0xfffd
	v_add_co_ci_u32_e64 v30, null, 0, v10, vcc_lo
	v_lshlrev_b64_e32 v[2:3], 3, v[6:7]
	s_wait_alu 0xf1ff
	v_cndmask_b32_e64 v11, 0, 1, s0
	v_lshlrev_b64_e32 v[6:7], 3, v[8:9]
	s_lshl_b64 s[12:13], s[24:25], 3
	s_lshl_b64 s[18:19], s[22:23], 3
	;; [unrolled: 1-line block ×3, first 2 shown]
	v_cmp_ne_u32_e64 s0, 1, v11
	v_cndmask_b32_e64 v10, 0, 1, s1
	s_delay_alu instid0(VALU_DEP_1)
	v_cmp_ne_u32_e64 s1, 1, v10
	s_branch .LBB222_3
.LBB222_2:                              ;   in Loop: Header=BB222_3 Depth=1
	s_add_co_i32 s28, s28, 0x10000
	s_delay_alu instid0(SALU_CYCLE_1)
	s_cmp_lt_i32 s28, s30
	s_cbranch_scc0 .LBB222_11
.LBB222_3:                              ; =>This Loop Header: Depth=1
                                        ;     Child Loop BB222_5 Depth 2
	s_lshl_b64 s[2:3], s[28:29], 3
	s_and_b32 vcc_lo, exec_lo, s0
	s_wait_alu 0xfffe
	s_add_nc_u64 s[24:25], s[38:39], s[2:3]
	s_add_nc_u64 s[26:27], s[20:21], s[2:3]
	s_clause 0x1
	global_load_b64 v[8:9], v1, s[24:25]
	global_load_b64 v[10:11], v1, s[26:27]
	s_cbranch_vccnz .LBB222_8
; %bb.4:                                ;   in Loop: Header=BB222_3 Depth=1
	s_add_nc_u64 s[24:25], s[14:15], s[2:3]
	s_add_nc_u64 s[2:3], s[8:9], s[2:3]
	s_clause 0x1
	global_load_b64 v[20:21], v1, s[24:25]
	global_load_b64 v[22:23], v1, s[2:3]
	v_mov_b32_e32 v12, 0
	v_dual_mov_b32 v16, 0 :: v_dual_mov_b32 v13, 0
	v_dual_mov_b32 v14, 0 :: v_dual_mov_b32 v17, 0
	;; [unrolled: 1-line block ×3, first 2 shown]
	v_mov_b32_e32 v19, 0
	s_mov_b64 s[24:25], 0
	s_wait_loadcnt 0x1
	v_add_co_u32 v20, vcc_lo, v20, v0
	s_wait_alu 0xfffd
	v_add_co_ci_u32_e64 v21, null, v21, v28, vcc_lo
	s_wait_loadcnt 0x0
	v_add_co_u32 v22, vcc_lo, v22, v29
	s_wait_alu 0xfffd
	v_add_co_ci_u32_e64 v23, null, v23, v30, vcc_lo
.LBB222_5:                              ;   Parent Loop BB222_3 Depth=1
                                        ; =>  This Inner Loop Header: Depth=2
	flat_load_b64 v[31:32], v[22:23]
	s_wait_alu 0xfffe
	s_add_nc_u64 s[24:25], s[24:25], 8
	v_add_co_u32 v22, vcc_lo, v22, 64
	s_wait_alu 0xfffe
	v_cmp_lt_i64_e64 s2, s[24:25], s[4:5]
	s_wait_alu 0xfffd
	v_add_co_ci_u32_e64 v23, null, 0, v23, vcc_lo
	s_and_b32 vcc_lo, exec_lo, s2
	s_wait_loadcnt_dscnt 0x0
	ds_store_b64 v24, v[31:32]
	flat_load_b64 v[31:32], v[20:21]
	v_add_co_u32 v20, s2, v20, s10
	s_wait_alu 0xf1ff
	v_add_co_ci_u32_e64 v21, null, s11, v21, s2
	s_wait_loadcnt_dscnt 0x0
	ds_store_b64 v25, v[31:32]
	s_wait_dscnt 0x0
	s_barrier_signal -1
	s_barrier_wait -1
	global_inv scope:SCOPE_SE
	ds_load_b128 v[31:34], v27
	ds_load_2addr_b64 v[35:38], v26 offset1:16
	ds_load_b128 v[39:42], v27 offset:1024
	ds_load_b128 v[43:46], v27 offset:16
	;; [unrolled: 1-line block ×3, first 2 shown]
	s_wait_dscnt 0x3
	v_fma_f64 v[18:19], v[35:36], v[31:32], v[18:19]
	v_fma_f64 v[16:17], v[37:38], v[31:32], v[16:17]
	s_wait_dscnt 0x2
	v_fma_f64 v[31:32], v[35:36], v[39:40], v[14:15]
	v_fma_f64 v[35:36], v[37:38], v[39:40], v[12:13]
	ds_load_2addr_b64 v[12:15], v26 offset0:32 offset1:48
	s_wait_dscnt 0x0
	v_fma_f64 v[18:19], v[12:13], v[33:34], v[18:19]
	v_fma_f64 v[16:17], v[14:15], v[33:34], v[16:17]
	v_fma_f64 v[31:32], v[12:13], v[41:42], v[31:32]
	v_fma_f64 v[33:34], v[14:15], v[41:42], v[35:36]
	ds_load_2addr_b64 v[12:15], v26 offset0:64 offset1:80
	s_wait_dscnt 0x0
	v_fma_f64 v[18:19], v[12:13], v[43:44], v[18:19]
	v_fma_f64 v[16:17], v[14:15], v[43:44], v[16:17]
	;; [unrolled: 6-line block ×3, first 2 shown]
	v_fma_f64 v[47:48], v[12:13], v[49:50], v[31:32]
	v_fma_f64 v[49:50], v[14:15], v[49:50], v[33:34]
	ds_load_b128 v[12:15], v27 offset:32
	ds_load_2addr_b64 v[16:19], v26 offset0:128 offset1:144
	ds_load_b128 v[31:34], v27 offset:1056
	ds_load_b128 v[35:38], v27 offset:48
	;; [unrolled: 1-line block ×3, first 2 shown]
	s_wait_dscnt 0x3
	v_fma_f64 v[43:44], v[16:17], v[12:13], v[43:44]
	v_fma_f64 v[12:13], v[18:19], v[12:13], v[45:46]
	s_wait_dscnt 0x2
	v_fma_f64 v[45:46], v[16:17], v[31:32], v[47:48]
	v_fma_f64 v[31:32], v[18:19], v[31:32], v[49:50]
	ds_load_2addr_b64 v[16:19], v26 offset0:160 offset1:176
	s_wait_dscnt 0x0
	v_fma_f64 v[43:44], v[16:17], v[14:15], v[43:44]
	v_fma_f64 v[47:48], v[18:19], v[14:15], v[12:13]
	;; [unrolled: 1-line block ×4, first 2 shown]
	ds_load_2addr_b64 v[12:15], v26 offset0:192 offset1:208
	ds_load_2addr_b64 v[31:34], v26 offset0:224 offset1:240
	s_wait_loadcnt_dscnt 0x0
	s_barrier_signal -1
	s_barrier_wait -1
	global_inv scope:SCOPE_SE
	v_fma_f64 v[43:44], v[12:13], v[35:36], v[43:44]
	v_fma_f64 v[35:36], v[14:15], v[35:36], v[47:48]
	v_fma_f64 v[12:13], v[12:13], v[39:40], v[16:17]
	v_fma_f64 v[39:40], v[14:15], v[39:40], v[18:19]
	s_delay_alu instid0(VALU_DEP_4) | instskip(NEXT) | instid1(VALU_DEP_4)
	v_fma_f64 v[18:19], v[31:32], v[37:38], v[43:44]
	v_fma_f64 v[16:17], v[33:34], v[37:38], v[35:36]
	s_delay_alu instid0(VALU_DEP_4) | instskip(NEXT) | instid1(VALU_DEP_4)
	v_fma_f64 v[14:15], v[31:32], v[41:42], v[12:13]
	v_fma_f64 v[12:13], v[33:34], v[41:42], v[39:40]
	s_wait_alu 0xfffe
	s_cbranch_vccnz .LBB222_5
; %bb.6:                                ;   in Loop: Header=BB222_3 Depth=1
	v_add_co_u32 v10, vcc_lo, v10, s12
	s_wait_alu 0xfffd
	v_add_co_ci_u32_e64 v11, null, s13, v11, vcc_lo
	s_and_b32 vcc_lo, exec_lo, s1
	s_wait_alu 0xfffe
	s_cbranch_vccnz .LBB222_9
.LBB222_7:                              ;   in Loop: Header=BB222_3 Depth=1
	v_mul_f64_e32 v[20:21], s[6:7], v[18:19]
	v_mul_f64_e32 v[22:23], s[6:7], v[16:17]
	;; [unrolled: 1-line block ×4, first 2 shown]
	v_add_co_u32 v35, vcc_lo, v10, v4
	s_wait_alu 0xfffd
	v_add_co_ci_u32_e64 v36, null, v11, v5, vcc_lo
	s_delay_alu instid0(VALU_DEP_2) | instskip(SKIP_1) | instid1(VALU_DEP_2)
	v_add_co_u32 v37, vcc_lo, v35, s22
	s_wait_alu 0xfffd
	v_add_co_ci_u32_e64 v38, null, s23, v36, vcc_lo
	v_add_co_u32 v35, vcc_lo, v35, v6
	s_wait_alu 0xfffd
	v_add_co_ci_u32_e64 v36, null, v36, v7, vcc_lo
	;; [unrolled: 3-line block ×3, first 2 shown]
	s_clause 0x3
	flat_store_b64 v[35:36], v[20:21]
	flat_store_b64 v[35:36], v[22:23] offset:128
	flat_store_b64 v[37:38], v[31:32]
	flat_store_b64 v[37:38], v[33:34] offset:128
	s_cbranch_execnz .LBB222_2
	s_branch .LBB222_10
.LBB222_8:                              ;   in Loop: Header=BB222_3 Depth=1
	v_mov_b32_e32 v18, 0
	v_dual_mov_b32 v14, 0 :: v_dual_mov_b32 v19, 0
	v_dual_mov_b32 v16, 0 :: v_dual_mov_b32 v15, 0
	;; [unrolled: 1-line block ×3, first 2 shown]
	v_mov_b32_e32 v13, 0
	s_wait_loadcnt 0x0
	v_add_co_u32 v10, vcc_lo, v10, s12
	s_wait_alu 0xfffd
	v_add_co_ci_u32_e64 v11, null, s13, v11, vcc_lo
	s_and_b32 vcc_lo, exec_lo, s1
	s_wait_alu 0xfffe
	s_cbranch_vccz .LBB222_7
.LBB222_9:                              ;   in Loop: Header=BB222_3 Depth=1
.LBB222_10:                             ;   in Loop: Header=BB222_3 Depth=1
	v_add_co_u32 v8, vcc_lo, v8, s16
	s_wait_alu 0xfffd
	v_add_co_ci_u32_e64 v9, null, s17, v9, vcc_lo
	s_delay_alu instid0(VALU_DEP_2) | instskip(SKIP_1) | instid1(VALU_DEP_2)
	v_add_co_u32 v22, vcc_lo, v8, v2
	s_wait_alu 0xfffd
	v_add_co_ci_u32_e64 v23, null, v9, v3, vcc_lo
	s_delay_alu instid0(VALU_DEP_2) | instskip(SKIP_1) | instid1(VALU_DEP_2)
	v_add_co_u32 v8, vcc_lo, v22, v6
	s_wait_alu 0xfffd
	v_add_co_ci_u32_e64 v9, null, v23, v7, vcc_lo
	flat_load_b64 v[20:21], v[8:9]
	s_wait_loadcnt_dscnt 0x0
	v_mul_f64_e32 v[20:21], s[36:37], v[20:21]
	s_delay_alu instid0(VALU_DEP_1) | instskip(SKIP_3) | instid1(VALU_DEP_2)
	v_fma_f64 v[18:19], s[6:7], v[18:19], v[20:21]
	v_add_co_u32 v20, vcc_lo, v10, v4
	s_wait_alu 0xfffd
	v_add_co_ci_u32_e64 v21, null, v11, v5, vcc_lo
	v_add_co_u32 v10, vcc_lo, v20, v6
	s_wait_alu 0xfffd
	s_delay_alu instid0(VALU_DEP_2) | instskip(SKIP_4) | instid1(VALU_DEP_1)
	v_add_co_ci_u32_e64 v11, null, v21, v7, vcc_lo
	flat_store_b64 v[10:11], v[18:19]
	flat_load_b64 v[8:9], v[8:9] offset:128
	s_wait_loadcnt_dscnt 0x0
	v_mul_f64_e32 v[8:9], s[36:37], v[8:9]
	v_fma_f64 v[8:9], s[6:7], v[16:17], v[8:9]
	v_add_co_u32 v16, vcc_lo, v22, s18
	s_wait_alu 0xfffd
	v_add_co_ci_u32_e64 v17, null, s19, v23, vcc_lo
	s_delay_alu instid0(VALU_DEP_2) | instskip(SKIP_1) | instid1(VALU_DEP_2)
	v_add_co_u32 v16, vcc_lo, v16, v6
	s_wait_alu 0xfffd
	v_add_co_ci_u32_e64 v17, null, v17, v7, vcc_lo
	flat_store_b64 v[10:11], v[8:9] offset:128
	flat_load_b64 v[8:9], v[16:17]
	v_add_co_u32 v10, vcc_lo, v20, s22
	s_wait_alu 0xfffd
	v_add_co_ci_u32_e64 v11, null, s23, v21, vcc_lo
	s_delay_alu instid0(VALU_DEP_2) | instskip(SKIP_1) | instid1(VALU_DEP_2)
	v_add_co_u32 v10, vcc_lo, v10, v6
	s_wait_alu 0xfffd
	v_add_co_ci_u32_e64 v11, null, v11, v7, vcc_lo
	s_wait_loadcnt_dscnt 0x0
	v_mul_f64_e32 v[8:9], s[36:37], v[8:9]
	s_delay_alu instid0(VALU_DEP_1) | instskip(SKIP_4) | instid1(VALU_DEP_1)
	v_fma_f64 v[8:9], s[6:7], v[14:15], v[8:9]
	flat_store_b64 v[10:11], v[8:9]
	flat_load_b64 v[8:9], v[16:17] offset:128
	s_wait_loadcnt_dscnt 0x0
	v_mul_f64_e32 v[8:9], s[36:37], v[8:9]
	v_fma_f64 v[8:9], s[6:7], v[12:13], v[8:9]
	flat_store_b64 v[10:11], v[8:9] offset:128
	s_branch .LBB222_2
.LBB222_11:
	s_endpgm
	.section	.rodata,"a",@progbits
	.p2align	6, 0x0
	.amdhsa_kernel _ZN12_GLOBAL__N_127rocblas_gemm_batched_kernelIdLi16ELi16ELi32ELi32ELi8ELi32ELi8ELi8ELi32ELc84ELc67EKPKdS3_KPdEEvlllT_PT11_llS8_llS6_PT12_llPT13_lli
		.amdhsa_group_segment_fixed_size 4096
		.amdhsa_private_segment_fixed_size 0
		.amdhsa_kernarg_size 140
		.amdhsa_user_sgpr_count 2
		.amdhsa_user_sgpr_dispatch_ptr 0
		.amdhsa_user_sgpr_queue_ptr 0
		.amdhsa_user_sgpr_kernarg_segment_ptr 1
		.amdhsa_user_sgpr_dispatch_id 0
		.amdhsa_user_sgpr_private_segment_size 0
		.amdhsa_wavefront_size32 1
		.amdhsa_uses_dynamic_stack 0
		.amdhsa_enable_private_segment 0
		.amdhsa_system_sgpr_workgroup_id_x 1
		.amdhsa_system_sgpr_workgroup_id_y 1
		.amdhsa_system_sgpr_workgroup_id_z 1
		.amdhsa_system_sgpr_workgroup_info 0
		.amdhsa_system_vgpr_workitem_id 1
		.amdhsa_next_free_vgpr 51
		.amdhsa_next_free_sgpr 44
		.amdhsa_reserve_vcc 1
		.amdhsa_float_round_mode_32 0
		.amdhsa_float_round_mode_16_64 0
		.amdhsa_float_denorm_mode_32 3
		.amdhsa_float_denorm_mode_16_64 3
		.amdhsa_fp16_overflow 0
		.amdhsa_workgroup_processor_mode 1
		.amdhsa_memory_ordered 1
		.amdhsa_forward_progress 1
		.amdhsa_inst_pref_size 16
		.amdhsa_round_robin_scheduling 0
		.amdhsa_exception_fp_ieee_invalid_op 0
		.amdhsa_exception_fp_denorm_src 0
		.amdhsa_exception_fp_ieee_div_zero 0
		.amdhsa_exception_fp_ieee_overflow 0
		.amdhsa_exception_fp_ieee_underflow 0
		.amdhsa_exception_fp_ieee_inexact 0
		.amdhsa_exception_int_div_zero 0
	.end_amdhsa_kernel
	.section	.text._ZN12_GLOBAL__N_127rocblas_gemm_batched_kernelIdLi16ELi16ELi32ELi32ELi8ELi32ELi8ELi8ELi32ELc84ELc67EKPKdS3_KPdEEvlllT_PT11_llS8_llS6_PT12_llPT13_lli,"axG",@progbits,_ZN12_GLOBAL__N_127rocblas_gemm_batched_kernelIdLi16ELi16ELi32ELi32ELi8ELi32ELi8ELi8ELi32ELc84ELc67EKPKdS3_KPdEEvlllT_PT11_llS8_llS6_PT12_llPT13_lli,comdat
.Lfunc_end222:
	.size	_ZN12_GLOBAL__N_127rocblas_gemm_batched_kernelIdLi16ELi16ELi32ELi32ELi8ELi32ELi8ELi8ELi32ELc84ELc67EKPKdS3_KPdEEvlllT_PT11_llS8_llS6_PT12_llPT13_lli, .Lfunc_end222-_ZN12_GLOBAL__N_127rocblas_gemm_batched_kernelIdLi16ELi16ELi32ELi32ELi8ELi32ELi8ELi8ELi32ELc84ELc67EKPKdS3_KPdEEvlllT_PT11_llS8_llS6_PT12_llPT13_lli
                                        ; -- End function
	.set _ZN12_GLOBAL__N_127rocblas_gemm_batched_kernelIdLi16ELi16ELi32ELi32ELi8ELi32ELi8ELi8ELi32ELc84ELc67EKPKdS3_KPdEEvlllT_PT11_llS8_llS6_PT12_llPT13_lli.num_vgpr, 51
	.set _ZN12_GLOBAL__N_127rocblas_gemm_batched_kernelIdLi16ELi16ELi32ELi32ELi8ELi32ELi8ELi8ELi32ELc84ELc67EKPKdS3_KPdEEvlllT_PT11_llS8_llS6_PT12_llPT13_lli.num_agpr, 0
	.set _ZN12_GLOBAL__N_127rocblas_gemm_batched_kernelIdLi16ELi16ELi32ELi32ELi8ELi32ELi8ELi8ELi32ELc84ELc67EKPKdS3_KPdEEvlllT_PT11_llS8_llS6_PT12_llPT13_lli.numbered_sgpr, 44
	.set _ZN12_GLOBAL__N_127rocblas_gemm_batched_kernelIdLi16ELi16ELi32ELi32ELi8ELi32ELi8ELi8ELi32ELc84ELc67EKPKdS3_KPdEEvlllT_PT11_llS8_llS6_PT12_llPT13_lli.num_named_barrier, 0
	.set _ZN12_GLOBAL__N_127rocblas_gemm_batched_kernelIdLi16ELi16ELi32ELi32ELi8ELi32ELi8ELi8ELi32ELc84ELc67EKPKdS3_KPdEEvlllT_PT11_llS8_llS6_PT12_llPT13_lli.private_seg_size, 0
	.set _ZN12_GLOBAL__N_127rocblas_gemm_batched_kernelIdLi16ELi16ELi32ELi32ELi8ELi32ELi8ELi8ELi32ELc84ELc67EKPKdS3_KPdEEvlllT_PT11_llS8_llS6_PT12_llPT13_lli.uses_vcc, 1
	.set _ZN12_GLOBAL__N_127rocblas_gemm_batched_kernelIdLi16ELi16ELi32ELi32ELi8ELi32ELi8ELi8ELi32ELc84ELc67EKPKdS3_KPdEEvlllT_PT11_llS8_llS6_PT12_llPT13_lli.uses_flat_scratch, 1
	.set _ZN12_GLOBAL__N_127rocblas_gemm_batched_kernelIdLi16ELi16ELi32ELi32ELi8ELi32ELi8ELi8ELi32ELc84ELc67EKPKdS3_KPdEEvlllT_PT11_llS8_llS6_PT12_llPT13_lli.has_dyn_sized_stack, 0
	.set _ZN12_GLOBAL__N_127rocblas_gemm_batched_kernelIdLi16ELi16ELi32ELi32ELi8ELi32ELi8ELi8ELi32ELc84ELc67EKPKdS3_KPdEEvlllT_PT11_llS8_llS6_PT12_llPT13_lli.has_recursion, 0
	.set _ZN12_GLOBAL__N_127rocblas_gemm_batched_kernelIdLi16ELi16ELi32ELi32ELi8ELi32ELi8ELi8ELi32ELc84ELc67EKPKdS3_KPdEEvlllT_PT11_llS8_llS6_PT12_llPT13_lli.has_indirect_call, 0
	.section	.AMDGPU.csdata,"",@progbits
; Kernel info:
; codeLenInByte = 1932
; TotalNumSgprs: 46
; NumVgprs: 51
; ScratchSize: 0
; MemoryBound: 0
; FloatMode: 240
; IeeeMode: 1
; LDSByteSize: 4096 bytes/workgroup (compile time only)
; SGPRBlocks: 0
; VGPRBlocks: 6
; NumSGPRsForWavesPerEU: 46
; NumVGPRsForWavesPerEU: 51
; Occupancy: 16
; WaveLimiterHint : 1
; COMPUTE_PGM_RSRC2:SCRATCH_EN: 0
; COMPUTE_PGM_RSRC2:USER_SGPR: 2
; COMPUTE_PGM_RSRC2:TRAP_HANDLER: 0
; COMPUTE_PGM_RSRC2:TGID_X_EN: 1
; COMPUTE_PGM_RSRC2:TGID_Y_EN: 1
; COMPUTE_PGM_RSRC2:TGID_Z_EN: 1
; COMPUTE_PGM_RSRC2:TIDIG_COMP_CNT: 1
	.section	.text._ZN12_GLOBAL__N_135rocblas_gemm_batched_general_kernelIdLi16ELi16ELi32ELi32ELi8ELi32ELi8ELi8ELi32ELc78ELc78EKPKdS3_KPdEEvlllT_PT11_llS8_llS6_PT12_llPT13_lli,"axG",@progbits,_ZN12_GLOBAL__N_135rocblas_gemm_batched_general_kernelIdLi16ELi16ELi32ELi32ELi8ELi32ELi8ELi8ELi32ELc78ELc78EKPKdS3_KPdEEvlllT_PT11_llS8_llS6_PT12_llPT13_lli,comdat
	.globl	_ZN12_GLOBAL__N_135rocblas_gemm_batched_general_kernelIdLi16ELi16ELi32ELi32ELi8ELi32ELi8ELi8ELi32ELc78ELc78EKPKdS3_KPdEEvlllT_PT11_llS8_llS6_PT12_llPT13_lli ; -- Begin function _ZN12_GLOBAL__N_135rocblas_gemm_batched_general_kernelIdLi16ELi16ELi32ELi32ELi8ELi32ELi8ELi8ELi32ELc78ELc78EKPKdS3_KPdEEvlllT_PT11_llS8_llS6_PT12_llPT13_lli
	.p2align	8
	.type	_ZN12_GLOBAL__N_135rocblas_gemm_batched_general_kernelIdLi16ELi16ELi32ELi32ELi8ELi32ELi8ELi8ELi32ELc78ELc78EKPKdS3_KPdEEvlllT_PT11_llS8_llS6_PT12_llPT13_lli,@function
_ZN12_GLOBAL__N_135rocblas_gemm_batched_general_kernelIdLi16ELi16ELi32ELi32ELi8ELi32ELi8ELi8ELi32ELc78ELc78EKPKdS3_KPdEEvlllT_PT11_llS8_llS6_PT12_llPT13_lli: ; @_ZN12_GLOBAL__N_135rocblas_gemm_batched_general_kernelIdLi16ELi16ELi32ELi32ELi8ELi32ELi8ELi8ELi32ELc78ELc78EKPKdS3_KPdEEvlllT_PT11_llS8_llS6_PT12_llPT13_lli
; %bb.0:
	s_load_b32 s28, s[0:1], 0x88
	s_lshr_b32 s20, ttmp7, 16
	s_wait_kmcnt 0x0
	s_cmp_ge_i32 s20, s28
	s_cbranch_scc1 .LBB223_35
; %bb.1:
	s_clause 0x1
	s_load_b512 s[4:19], s[0:1], 0x0
	s_load_b512 s[36:51], s[0:1], 0x40
	v_bfe_u32 v2, v0, 10, 10
	v_dual_mov_b32 v28, 0 :: v_dual_and_b32 v3, 0x3ff, v0
	s_mov_b32 s22, ttmp9
	s_load_b64 s[24:25], s[0:1], 0x80
	s_ashr_i32 s23, ttmp9, 31
	s_delay_alu instid0(VALU_DEP_1)
	v_lshl_add_u32 v1, v2, 4, v3
	s_and_b32 s0, ttmp7, 0xffff
	s_lshl_b64 s[2:3], s[22:23], 5
	s_lshl_b32 s26, s0, 5
	v_and_b32_e32 v26, 7, v0
	v_and_b32_e32 v4, 31, v1
	v_lshrrev_b32_e32 v27, 5, v1
	v_lshrrev_b32_e32 v6, 3, v1
	v_mov_b32_e32 v1, s3
	v_lshl_add_u32 v32, v2, 6, 0x800
	v_or_b32_e32 v0, s2, v4
	s_lshl_b64 s[22:23], s[22:23], 8
	s_wait_kmcnt 0x0
	v_mad_co_u64_u32 v[13:14], null, s14, v27, 0
	v_lshlrev_b32_e32 v21, 3, v4
	v_add_co_u32 v4, s0, v6, s26
	s_delay_alu instid0(VALU_DEP_1) | instskip(SKIP_2) | instid1(VALU_DEP_3)
	v_add_co_ci_u32_e64 v5, null, 0, 0, s0
	v_cmp_gt_i64_e64 s0, s[4:5], v[0:1]
	v_add_co_u32 v0, s2, s2, v3
	v_cmp_gt_i64_e64 s1, s[6:7], v[4:5]
	v_add_co_u32 v5, s26, s26, v2
	v_mad_co_u64_u32 v[9:10], null, s36, v4, 0
	s_wait_alu 0xf1ff
	v_add_co_ci_u32_e64 v1, null, s3, 0, s2
	s_delay_alu instid0(VALU_DEP_3)
	v_mad_co_u64_u32 v[11:12], null, v5, s44, 0
	v_lshlrev_b32_e32 v31, 3, v3
	v_mad_co_u64_u32 v[2:3], null, v5, s50, 0
	v_add_co_u32 v7, vcc_lo, v0, 16
	v_cmp_eq_f64_e64 s29, s[40:41], 0
	v_add_co_ci_u32_e64 v8, null, 0, v1, vcc_lo
	v_cmp_gt_i64_e64 s3, s[4:5], v[0:1]
	v_mad_co_u64_u32 v[15:16], null, v5, s51, v[3:4]
	v_dual_mov_b32 v3, v10 :: v_dual_lshlrev_b32 v22, 3, v26
	v_add_co_u32 v16, vcc_lo, v5, 16
	v_mov_b32_e32 v10, v12
	v_cmp_gt_i64_e64 s4, s[4:5], v[7:8]
	s_delay_alu instid0(VALU_DEP_4)
	v_mad_co_u64_u32 v[18:19], null, s37, v4, v[3:4]
	v_mov_b32_e32 v3, v15
	v_lshl_or_b32 v6, v6, 6, v22
	s_lshl_b64 s[30:31], s[38:39], 3
	s_lshl_b64 s[16:17], s[16:17], 3
	s_mov_b32 s21, 0
	s_add_nc_u64 s[16:17], s[16:17], s[22:23]
	v_add_nc_u32_e32 v30, 0x800, v6
	v_add_co_ci_u32_e64 v6, null, 0, 0, s26
	s_lshl_b64 s[26:27], s[44:45], 4
	s_lshl_b64 s[22:23], s[46:47], 3
	v_cmp_gt_i64_e64 s2, s[6:7], v[5:6]
	s_wait_alu 0xfffd
	v_add_co_ci_u32_e64 v17, null, 0, v6, vcc_lo
	v_mov_b32_e32 v6, v14
	v_mad_co_u64_u32 v[4:5], null, v5, s45, v[10:11]
	v_mov_b32_e32 v10, v18
	s_delay_alu instid0(VALU_DEP_4) | instskip(NEXT) | instid1(VALU_DEP_4)
	v_cmp_gt_i64_e64 s5, s[6:7], v[16:17]
	v_mad_co_u64_u32 v[19:20], null, s15, v27, v[6:7]
	v_lshl_or_b32 v29, v27, 8, v21
	s_lshl_b64 s[6:7], s[50:51], 4
	v_mov_b32_e32 v12, v4
	v_lshlrev_b64_e32 v[4:5], 3, v[9:10]
	s_lshl_b64 s[14:15], s[14:15], 6
	s_delay_alu instid0(VALU_DEP_4) | instskip(NEXT) | instid1(VALU_DEP_2)
	v_mov_b32_e32 v14, v19
	v_add_co_u32 v4, vcc_lo, v4, s30
	s_delay_alu instid0(VALU_DEP_2) | instskip(SKIP_3) | instid1(VALU_DEP_3)
	v_lshlrev_b64_e32 v[6:7], 3, v[13:14]
	s_wait_alu 0xfffd
	v_add_co_ci_u32_e64 v5, null, s31, v5, vcc_lo
	v_cmp_gt_i64_e64 s30, s[8:9], 0
	v_add_co_u32 v6, vcc_lo, s16, v6
	s_wait_alu 0xfffd
	v_add_co_ci_u32_e64 v7, null, s17, v7, vcc_lo
	v_add_co_u32 v33, vcc_lo, v4, v22
	s_wait_alu 0xfffd
	v_add_co_ci_u32_e64 v34, null, 0, v5, vcc_lo
	v_add_co_u32 v35, vcc_lo, v6, v21
	v_lshlrev_b64_e32 v[4:5], 3, v[11:12]
	s_wait_alu 0xfffd
	v_add_co_ci_u32_e64 v36, null, 0, v7, vcc_lo
	s_lshl_b64 s[16:17], s[24:25], 3
	s_wait_alu 0xfffe
	s_lshl_b64 s[24:25], s[26:27], 3
	s_branch .LBB223_4
.LBB223_2:                              ;   in Loop: Header=BB223_4 Depth=1
	s_wait_alu 0xfffe
	s_or_b32 exec_lo, exec_lo, s26
.LBB223_3:                              ;   in Loop: Header=BB223_4 Depth=1
	s_add_co_i32 s20, s20, 0x10000
	s_delay_alu instid0(SALU_CYCLE_1)
	s_cmp_lt_i32 s20, s28
	s_cbranch_scc0 .LBB223_35
.LBB223_4:                              ; =>This Loop Header: Depth=1
                                        ;     Child Loop BB223_7 Depth 2
	s_lshl_b64 s[26:27], s[20:21], 3
	s_and_not1_b32 vcc_lo, exec_lo, s30
	s_wait_alu 0xfffe
	s_add_nc_u64 s[34:35], s[42:43], s[26:27]
	s_add_nc_u64 s[36:37], s[48:49], s[26:27]
	s_clause 0x1
	global_load_b64 v[6:7], v28, s[34:35]
	global_load_b64 v[16:17], v28, s[36:37]
	s_cbranch_vccnz .LBB223_11
; %bb.5:                                ;   in Loop: Header=BB223_4 Depth=1
	s_add_nc_u64 s[34:35], s[18:19], s[26:27]
	s_add_nc_u64 s[26:27], s[12:13], s[26:27]
	s_clause 0x1
	global_load_b64 v[18:19], v28, s[34:35]
	global_load_b64 v[20:21], v28, s[26:27]
	v_mov_b32_e32 v8, 0
	v_dual_mov_b32 v12, 0 :: v_dual_mov_b32 v9, 0
	v_dual_mov_b32 v10, 0 :: v_dual_mov_b32 v13, 0
	;; [unrolled: 1-line block ×3, first 2 shown]
	v_mov_b32_e32 v15, 0
	s_mov_b64 s[26:27], 0
	s_wait_loadcnt 0x1
	v_add_co_u32 v18, vcc_lo, v18, v33
	s_wait_alu 0xfffd
	v_add_co_ci_u32_e64 v19, null, v19, v34, vcc_lo
	s_wait_loadcnt 0x0
	v_add_co_u32 v20, vcc_lo, v20, v35
	s_wait_alu 0xfffd
	v_add_co_ci_u32_e64 v21, null, v21, v36, vcc_lo
	s_branch .LBB223_7
.LBB223_6:                              ;   in Loop: Header=BB223_7 Depth=2
	s_wait_alu 0xfffe
	s_or_b32 exec_lo, exec_lo, s31
	s_wait_loadcnt_dscnt 0x0
	ds_store_b64 v30, v[24:25]
	s_wait_dscnt 0x0
	s_barrier_signal -1
	s_barrier_wait -1
	global_inv scope:SCOPE_SE
	ds_load_b128 v[22:25], v32
	ds_load_2addr_b64 v[37:40], v31 offset1:16
	ds_load_b128 v[41:44], v32 offset:1024
	ds_load_b128 v[45:48], v32 offset:16
	ds_load_b128 v[49:52], v32 offset:1040
	s_add_nc_u64 s[26:27], s[26:27], 8
	v_add_co_u32 v18, vcc_lo, v18, 64
	s_wait_alu 0xfffe
	v_cmp_lt_i64_e64 s31, s[26:27], s[8:9]
	s_wait_alu 0xfffd
	v_add_co_ci_u32_e64 v19, null, 0, v19, vcc_lo
	v_add_co_u32 v20, vcc_lo, v20, s14
	s_wait_alu 0xfffd
	v_add_co_ci_u32_e64 v21, null, s15, v21, vcc_lo
	s_and_b32 vcc_lo, exec_lo, s31
	s_wait_dscnt 0x3
	v_fma_f64 v[14:15], v[37:38], v[22:23], v[14:15]
	v_fma_f64 v[12:13], v[39:40], v[22:23], v[12:13]
	s_wait_dscnt 0x2
	v_fma_f64 v[22:23], v[37:38], v[41:42], v[10:11]
	v_fma_f64 v[37:38], v[39:40], v[41:42], v[8:9]
	ds_load_2addr_b64 v[8:11], v31 offset0:32 offset1:48
	s_wait_dscnt 0x0
	v_fma_f64 v[14:15], v[8:9], v[24:25], v[14:15]
	v_fma_f64 v[12:13], v[10:11], v[24:25], v[12:13]
	v_fma_f64 v[22:23], v[8:9], v[43:44], v[22:23]
	v_fma_f64 v[24:25], v[10:11], v[43:44], v[37:38]
	ds_load_2addr_b64 v[8:11], v31 offset0:64 offset1:80
	s_wait_dscnt 0x0
	v_fma_f64 v[14:15], v[8:9], v[45:46], v[14:15]
	v_fma_f64 v[12:13], v[10:11], v[45:46], v[12:13]
	;; [unrolled: 6-line block ×3, first 2 shown]
	v_fma_f64 v[49:50], v[8:9], v[51:52], v[22:23]
	v_fma_f64 v[51:52], v[10:11], v[51:52], v[24:25]
	ds_load_b128 v[8:11], v32 offset:32
	ds_load_2addr_b64 v[12:15], v31 offset0:128 offset1:144
	ds_load_b128 v[22:25], v32 offset:1056
	ds_load_b128 v[37:40], v32 offset:48
	;; [unrolled: 1-line block ×3, first 2 shown]
	s_wait_dscnt 0x3
	v_fma_f64 v[45:46], v[12:13], v[8:9], v[45:46]
	v_fma_f64 v[8:9], v[14:15], v[8:9], v[47:48]
	s_wait_dscnt 0x2
	v_fma_f64 v[47:48], v[12:13], v[22:23], v[49:50]
	v_fma_f64 v[22:23], v[14:15], v[22:23], v[51:52]
	ds_load_2addr_b64 v[12:15], v31 offset0:160 offset1:176
	s_wait_dscnt 0x0
	v_fma_f64 v[45:46], v[12:13], v[10:11], v[45:46]
	v_fma_f64 v[49:50], v[14:15], v[10:11], v[8:9]
	;; [unrolled: 1-line block ×4, first 2 shown]
	ds_load_2addr_b64 v[8:11], v31 offset0:192 offset1:208
	ds_load_2addr_b64 v[22:25], v31 offset0:224 offset1:240
	s_wait_loadcnt_dscnt 0x0
	s_barrier_signal -1
	s_barrier_wait -1
	global_inv scope:SCOPE_SE
	v_fma_f64 v[45:46], v[8:9], v[37:38], v[45:46]
	v_fma_f64 v[37:38], v[10:11], v[37:38], v[49:50]
	;; [unrolled: 1-line block ×4, first 2 shown]
	s_delay_alu instid0(VALU_DEP_4) | instskip(NEXT) | instid1(VALU_DEP_4)
	v_fma_f64 v[14:15], v[22:23], v[39:40], v[45:46]
	v_fma_f64 v[12:13], v[24:25], v[39:40], v[37:38]
	s_delay_alu instid0(VALU_DEP_4) | instskip(NEXT) | instid1(VALU_DEP_4)
	v_fma_f64 v[10:11], v[22:23], v[43:44], v[8:9]
	v_fma_f64 v[8:9], v[24:25], v[43:44], v[41:42]
	s_wait_alu 0xfffe
	s_cbranch_vccz .LBB223_12
.LBB223_7:                              ;   Parent Loop BB223_4 Depth=1
                                        ; =>  This Inner Loop Header: Depth=2
	s_wait_alu 0xfffe
	v_add_co_u32 v22, s31, v27, s26
	s_wait_alu 0xf1ff
	v_add_co_ci_u32_e64 v23, null, 0, s27, s31
	s_delay_alu instid0(VALU_DEP_1) | instskip(SKIP_3) | instid1(SALU_CYCLE_1)
	v_cmp_gt_i64_e32 vcc_lo, s[8:9], v[22:23]
	v_mov_b32_e32 v22, 0
	v_mov_b32_e32 v23, 0
	s_and_b32 s33, s0, vcc_lo
	s_and_saveexec_b32 s31, s33
	s_cbranch_execz .LBB223_9
; %bb.8:                                ;   in Loop: Header=BB223_7 Depth=2
	flat_load_b64 v[22:23], v[20:21]
.LBB223_9:                              ;   in Loop: Header=BB223_7 Depth=2
	s_wait_alu 0xfffe
	s_or_b32 exec_lo, exec_lo, s31
	v_add_co_u32 v24, s31, v26, s26
	s_wait_alu 0xf1ff
	v_add_co_ci_u32_e64 v25, null, 0, s27, s31
	s_wait_loadcnt_dscnt 0x0
	ds_store_b64 v29, v[22:23]
	v_cmp_gt_i64_e32 vcc_lo, s[8:9], v[24:25]
	v_mov_b32_e32 v24, 0
	v_mov_b32_e32 v25, 0
	s_and_b32 s33, vcc_lo, s1
	s_delay_alu instid0(SALU_CYCLE_1)
	s_and_saveexec_b32 s31, s33
	s_cbranch_execz .LBB223_6
; %bb.10:                               ;   in Loop: Header=BB223_7 Depth=2
	flat_load_b64 v[24:25], v[18:19]
	s_branch .LBB223_6
.LBB223_11:                             ;   in Loop: Header=BB223_4 Depth=1
	v_mov_b32_e32 v14, 0
	v_dual_mov_b32 v10, 0 :: v_dual_mov_b32 v15, 0
	v_dual_mov_b32 v12, 0 :: v_dual_mov_b32 v11, 0
	;; [unrolled: 1-line block ×3, first 2 shown]
	v_mov_b32_e32 v9, 0
.LBB223_12:                             ;   in Loop: Header=BB223_4 Depth=1
	s_wait_loadcnt 0x0
	v_add_co_u32 v18, vcc_lo, v16, s16
	s_wait_alu 0xfffd
	v_add_co_ci_u32_e64 v19, null, s17, v17, vcc_lo
	s_and_not1_b32 vcc_lo, exec_lo, s29
	s_wait_alu 0xfffe
	s_cbranch_vccnz .LBB223_17
; %bb.13:                               ;   in Loop: Header=BB223_4 Depth=1
	s_and_saveexec_b32 s26, s2
	s_cbranch_execz .LBB223_24
; %bb.14:                               ;   in Loop: Header=BB223_4 Depth=1
	v_lshlrev_b64_e32 v[16:17], 3, v[2:3]
	s_delay_alu instid0(VALU_DEP_1) | instskip(SKIP_1) | instid1(VALU_DEP_2)
	v_add_co_u32 v16, vcc_lo, v18, v16
	s_wait_alu 0xfffd
	v_add_co_ci_u32_e64 v17, null, v19, v17, vcc_lo
	s_and_saveexec_b32 s27, s3
	s_cbranch_execnz .LBB223_18
; %bb.15:                               ;   in Loop: Header=BB223_4 Depth=1
	s_wait_alu 0xfffe
	s_or_b32 exec_lo, exec_lo, s27
	s_and_saveexec_b32 s27, s4
	s_cbranch_execnz .LBB223_19
.LBB223_16:                             ;   in Loop: Header=BB223_4 Depth=1
	s_wait_alu 0xfffe
	s_or_b32 exec_lo, exec_lo, s27
	s_delay_alu instid0(SALU_CYCLE_1)
	s_and_b32 exec_lo, exec_lo, s5
	s_cbranch_execnz .LBB223_20
	s_branch .LBB223_24
.LBB223_17:                             ;   in Loop: Header=BB223_4 Depth=1
	s_branch .LBB223_25
.LBB223_18:                             ;   in Loop: Header=BB223_4 Depth=1
	v_mul_f64_e32 v[20:21], s[10:11], v[14:15]
	v_lshlrev_b64_e32 v[22:23], 3, v[0:1]
	s_delay_alu instid0(VALU_DEP_1) | instskip(SKIP_1) | instid1(VALU_DEP_2)
	v_add_co_u32 v22, vcc_lo, v16, v22
	s_wait_alu 0xfffd
	v_add_co_ci_u32_e64 v23, null, v17, v23, vcc_lo
	flat_store_b64 v[22:23], v[20:21]
	s_wait_alu 0xfffe
	s_or_b32 exec_lo, exec_lo, s27
	s_and_saveexec_b32 s27, s4
	s_cbranch_execz .LBB223_16
.LBB223_19:                             ;   in Loop: Header=BB223_4 Depth=1
	v_mul_f64_e32 v[20:21], s[10:11], v[12:13]
	v_lshlrev_b64_e32 v[22:23], 3, v[0:1]
	s_delay_alu instid0(VALU_DEP_1) | instskip(SKIP_1) | instid1(VALU_DEP_2)
	v_add_co_u32 v22, vcc_lo, v16, v22
	s_wait_alu 0xfffd
	v_add_co_ci_u32_e64 v23, null, v17, v23, vcc_lo
	flat_store_b64 v[22:23], v[20:21] offset:128
	s_wait_alu 0xfffe
	s_or_b32 exec_lo, exec_lo, s27
	s_delay_alu instid0(SALU_CYCLE_1)
	s_and_b32 exec_lo, exec_lo, s5
	s_cbranch_execz .LBB223_24
.LBB223_20:                             ;   in Loop: Header=BB223_4 Depth=1
	s_lshl_b64 s[34:35], s[6:7], 3
	v_lshlrev_b64_e32 v[20:21], 3, v[0:1]
	s_wait_alu 0xfffe
	v_add_co_u32 v16, vcc_lo, v16, s34
	s_wait_alu 0xfffd
	v_add_co_ci_u32_e64 v17, null, s35, v17, vcc_lo
	s_delay_alu instid0(VALU_DEP_2) | instskip(SKIP_1) | instid1(VALU_DEP_2)
	v_add_co_u32 v16, vcc_lo, v16, v20
	s_wait_alu 0xfffd
	v_add_co_ci_u32_e64 v17, null, v17, v21, vcc_lo
	s_and_saveexec_b32 s27, s3
	s_cbranch_execz .LBB223_22
; %bb.21:                               ;   in Loop: Header=BB223_4 Depth=1
	v_mul_f64_e32 v[20:21], s[10:11], v[10:11]
	flat_store_b64 v[16:17], v[20:21]
.LBB223_22:                             ;   in Loop: Header=BB223_4 Depth=1
	s_wait_alu 0xfffe
	s_or_b32 exec_lo, exec_lo, s27
	s_delay_alu instid0(SALU_CYCLE_1)
	s_and_b32 exec_lo, exec_lo, s4
	s_cbranch_execz .LBB223_24
; %bb.23:                               ;   in Loop: Header=BB223_4 Depth=1
	v_mul_f64_e32 v[20:21], s[10:11], v[8:9]
	flat_store_b64 v[16:17], v[20:21] offset:128
.LBB223_24:                             ;   in Loop: Header=BB223_4 Depth=1
	s_wait_alu 0xfffe
	s_or_b32 exec_lo, exec_lo, s26
	s_cbranch_execnz .LBB223_3
.LBB223_25:                             ;   in Loop: Header=BB223_4 Depth=1
	s_and_saveexec_b32 s26, s2
	s_cbranch_execz .LBB223_2
; %bb.26:                               ;   in Loop: Header=BB223_4 Depth=1
	v_add_co_u32 v6, vcc_lo, v6, s22
	v_lshlrev_b64_e32 v[20:21], 3, v[2:3]
	s_wait_alu 0xfffd
	v_add_co_ci_u32_e64 v7, null, s23, v7, vcc_lo
	s_delay_alu instid0(VALU_DEP_3) | instskip(SKIP_1) | instid1(VALU_DEP_2)
	v_add_co_u32 v16, vcc_lo, v6, v4
	s_wait_alu 0xfffd
	v_add_co_ci_u32_e64 v17, null, v7, v5, vcc_lo
	v_add_co_u32 v18, vcc_lo, v18, v20
	v_lshlrev_b64_e32 v[6:7], 3, v[0:1]
	s_wait_alu 0xfffd
	v_add_co_ci_u32_e64 v19, null, v19, v21, vcc_lo
	s_and_saveexec_b32 s27, s3
	s_cbranch_execnz .LBB223_29
; %bb.27:                               ;   in Loop: Header=BB223_4 Depth=1
	s_wait_alu 0xfffe
	s_or_b32 exec_lo, exec_lo, s27
	s_and_saveexec_b32 s27, s4
	s_cbranch_execnz .LBB223_30
.LBB223_28:                             ;   in Loop: Header=BB223_4 Depth=1
	s_wait_alu 0xfffe
	s_or_b32 exec_lo, exec_lo, s27
	s_delay_alu instid0(SALU_CYCLE_1)
	s_and_b32 exec_lo, exec_lo, s5
	s_cbranch_execz .LBB223_2
	s_branch .LBB223_31
.LBB223_29:                             ;   in Loop: Header=BB223_4 Depth=1
	v_add_co_u32 v20, vcc_lo, v16, v6
	s_wait_alu 0xfffd
	v_add_co_ci_u32_e64 v21, null, v17, v7, vcc_lo
	flat_load_b64 v[20:21], v[20:21]
	s_wait_loadcnt_dscnt 0x0
	v_mul_f64_e32 v[20:21], s[40:41], v[20:21]
	s_delay_alu instid0(VALU_DEP_1)
	v_fma_f64 v[14:15], s[10:11], v[14:15], v[20:21]
	v_add_co_u32 v20, vcc_lo, v18, v6
	s_wait_alu 0xfffd
	v_add_co_ci_u32_e64 v21, null, v19, v7, vcc_lo
	flat_store_b64 v[20:21], v[14:15]
	s_wait_alu 0xfffe
	s_or_b32 exec_lo, exec_lo, s27
	s_and_saveexec_b32 s27, s4
	s_cbranch_execz .LBB223_28
.LBB223_30:                             ;   in Loop: Header=BB223_4 Depth=1
	v_add_co_u32 v14, vcc_lo, v16, v6
	s_wait_alu 0xfffd
	v_add_co_ci_u32_e64 v15, null, v17, v7, vcc_lo
	flat_load_b64 v[14:15], v[14:15] offset:128
	s_wait_loadcnt_dscnt 0x0
	v_mul_f64_e32 v[14:15], s[40:41], v[14:15]
	s_delay_alu instid0(VALU_DEP_1)
	v_fma_f64 v[12:13], s[10:11], v[12:13], v[14:15]
	v_add_co_u32 v14, vcc_lo, v18, v6
	s_wait_alu 0xfffd
	v_add_co_ci_u32_e64 v15, null, v19, v7, vcc_lo
	flat_store_b64 v[14:15], v[12:13] offset:128
	s_wait_alu 0xfffe
	s_or_b32 exec_lo, exec_lo, s27
	s_delay_alu instid0(SALU_CYCLE_1)
	s_and_b32 exec_lo, exec_lo, s5
	s_cbranch_execz .LBB223_2
.LBB223_31:                             ;   in Loop: Header=BB223_4 Depth=1
	v_add_co_u32 v12, vcc_lo, v16, s24
	s_lshl_b64 s[34:35], s[6:7], 3
	s_wait_alu 0xfffd
	v_add_co_ci_u32_e64 v13, null, s25, v17, vcc_lo
	s_wait_alu 0xfffe
	v_add_co_u32 v14, vcc_lo, v18, s34
	s_wait_alu 0xfffd
	v_add_co_ci_u32_e64 v15, null, s35, v19, vcc_lo
	v_add_co_u32 v12, vcc_lo, v12, v6
	s_wait_alu 0xfffd
	v_add_co_ci_u32_e64 v13, null, v13, v7, vcc_lo
	;; [unrolled: 3-line block ×3, first 2 shown]
	s_and_saveexec_b32 s27, s3
	s_cbranch_execz .LBB223_33
; %bb.32:                               ;   in Loop: Header=BB223_4 Depth=1
	flat_load_b64 v[14:15], v[12:13]
	s_wait_loadcnt_dscnt 0x0
	v_mul_f64_e32 v[14:15], s[40:41], v[14:15]
	s_delay_alu instid0(VALU_DEP_1)
	v_fma_f64 v[10:11], s[10:11], v[10:11], v[14:15]
	flat_store_b64 v[6:7], v[10:11]
.LBB223_33:                             ;   in Loop: Header=BB223_4 Depth=1
	s_wait_alu 0xfffe
	s_or_b32 exec_lo, exec_lo, s27
	s_delay_alu instid0(SALU_CYCLE_1)
	s_and_b32 exec_lo, exec_lo, s4
	s_cbranch_execz .LBB223_2
; %bb.34:                               ;   in Loop: Header=BB223_4 Depth=1
	flat_load_b64 v[10:11], v[12:13] offset:128
	s_wait_loadcnt_dscnt 0x0
	v_mul_f64_e32 v[10:11], s[40:41], v[10:11]
	s_delay_alu instid0(VALU_DEP_1)
	v_fma_f64 v[8:9], s[10:11], v[8:9], v[10:11]
	flat_store_b64 v[6:7], v[8:9] offset:128
	s_branch .LBB223_2
.LBB223_35:
	s_endpgm
	.section	.rodata,"a",@progbits
	.p2align	6, 0x0
	.amdhsa_kernel _ZN12_GLOBAL__N_135rocblas_gemm_batched_general_kernelIdLi16ELi16ELi32ELi32ELi8ELi32ELi8ELi8ELi32ELc78ELc78EKPKdS3_KPdEEvlllT_PT11_llS8_llS6_PT12_llPT13_lli
		.amdhsa_group_segment_fixed_size 4096
		.amdhsa_private_segment_fixed_size 0
		.amdhsa_kernarg_size 140
		.amdhsa_user_sgpr_count 2
		.amdhsa_user_sgpr_dispatch_ptr 0
		.amdhsa_user_sgpr_queue_ptr 0
		.amdhsa_user_sgpr_kernarg_segment_ptr 1
		.amdhsa_user_sgpr_dispatch_id 0
		.amdhsa_user_sgpr_private_segment_size 0
		.amdhsa_wavefront_size32 1
		.amdhsa_uses_dynamic_stack 0
		.amdhsa_enable_private_segment 0
		.amdhsa_system_sgpr_workgroup_id_x 1
		.amdhsa_system_sgpr_workgroup_id_y 1
		.amdhsa_system_sgpr_workgroup_id_z 1
		.amdhsa_system_sgpr_workgroup_info 0
		.amdhsa_system_vgpr_workitem_id 1
		.amdhsa_next_free_vgpr 53
		.amdhsa_next_free_sgpr 52
		.amdhsa_reserve_vcc 1
		.amdhsa_float_round_mode_32 0
		.amdhsa_float_round_mode_16_64 0
		.amdhsa_float_denorm_mode_32 3
		.amdhsa_float_denorm_mode_16_64 3
		.amdhsa_fp16_overflow 0
		.amdhsa_workgroup_processor_mode 1
		.amdhsa_memory_ordered 1
		.amdhsa_forward_progress 1
		.amdhsa_inst_pref_size 20
		.amdhsa_round_robin_scheduling 0
		.amdhsa_exception_fp_ieee_invalid_op 0
		.amdhsa_exception_fp_denorm_src 0
		.amdhsa_exception_fp_ieee_div_zero 0
		.amdhsa_exception_fp_ieee_overflow 0
		.amdhsa_exception_fp_ieee_underflow 0
		.amdhsa_exception_fp_ieee_inexact 0
		.amdhsa_exception_int_div_zero 0
	.end_amdhsa_kernel
	.section	.text._ZN12_GLOBAL__N_135rocblas_gemm_batched_general_kernelIdLi16ELi16ELi32ELi32ELi8ELi32ELi8ELi8ELi32ELc78ELc78EKPKdS3_KPdEEvlllT_PT11_llS8_llS6_PT12_llPT13_lli,"axG",@progbits,_ZN12_GLOBAL__N_135rocblas_gemm_batched_general_kernelIdLi16ELi16ELi32ELi32ELi8ELi32ELi8ELi8ELi32ELc78ELc78EKPKdS3_KPdEEvlllT_PT11_llS8_llS6_PT12_llPT13_lli,comdat
.Lfunc_end223:
	.size	_ZN12_GLOBAL__N_135rocblas_gemm_batched_general_kernelIdLi16ELi16ELi32ELi32ELi8ELi32ELi8ELi8ELi32ELc78ELc78EKPKdS3_KPdEEvlllT_PT11_llS8_llS6_PT12_llPT13_lli, .Lfunc_end223-_ZN12_GLOBAL__N_135rocblas_gemm_batched_general_kernelIdLi16ELi16ELi32ELi32ELi8ELi32ELi8ELi8ELi32ELc78ELc78EKPKdS3_KPdEEvlllT_PT11_llS8_llS6_PT12_llPT13_lli
                                        ; -- End function
	.set _ZN12_GLOBAL__N_135rocblas_gemm_batched_general_kernelIdLi16ELi16ELi32ELi32ELi8ELi32ELi8ELi8ELi32ELc78ELc78EKPKdS3_KPdEEvlllT_PT11_llS8_llS6_PT12_llPT13_lli.num_vgpr, 53
	.set _ZN12_GLOBAL__N_135rocblas_gemm_batched_general_kernelIdLi16ELi16ELi32ELi32ELi8ELi32ELi8ELi8ELi32ELc78ELc78EKPKdS3_KPdEEvlllT_PT11_llS8_llS6_PT12_llPT13_lli.num_agpr, 0
	.set _ZN12_GLOBAL__N_135rocblas_gemm_batched_general_kernelIdLi16ELi16ELi32ELi32ELi8ELi32ELi8ELi8ELi32ELc78ELc78EKPKdS3_KPdEEvlllT_PT11_llS8_llS6_PT12_llPT13_lli.numbered_sgpr, 52
	.set _ZN12_GLOBAL__N_135rocblas_gemm_batched_general_kernelIdLi16ELi16ELi32ELi32ELi8ELi32ELi8ELi8ELi32ELc78ELc78EKPKdS3_KPdEEvlllT_PT11_llS8_llS6_PT12_llPT13_lli.num_named_barrier, 0
	.set _ZN12_GLOBAL__N_135rocblas_gemm_batched_general_kernelIdLi16ELi16ELi32ELi32ELi8ELi32ELi8ELi8ELi32ELc78ELc78EKPKdS3_KPdEEvlllT_PT11_llS8_llS6_PT12_llPT13_lli.private_seg_size, 0
	.set _ZN12_GLOBAL__N_135rocblas_gemm_batched_general_kernelIdLi16ELi16ELi32ELi32ELi8ELi32ELi8ELi8ELi32ELc78ELc78EKPKdS3_KPdEEvlllT_PT11_llS8_llS6_PT12_llPT13_lli.uses_vcc, 1
	.set _ZN12_GLOBAL__N_135rocblas_gemm_batched_general_kernelIdLi16ELi16ELi32ELi32ELi8ELi32ELi8ELi8ELi32ELc78ELc78EKPKdS3_KPdEEvlllT_PT11_llS8_llS6_PT12_llPT13_lli.uses_flat_scratch, 0
	.set _ZN12_GLOBAL__N_135rocblas_gemm_batched_general_kernelIdLi16ELi16ELi32ELi32ELi8ELi32ELi8ELi8ELi32ELc78ELc78EKPKdS3_KPdEEvlllT_PT11_llS8_llS6_PT12_llPT13_lli.has_dyn_sized_stack, 0
	.set _ZN12_GLOBAL__N_135rocblas_gemm_batched_general_kernelIdLi16ELi16ELi32ELi32ELi8ELi32ELi8ELi8ELi32ELc78ELc78EKPKdS3_KPdEEvlllT_PT11_llS8_llS6_PT12_llPT13_lli.has_recursion, 0
	.set _ZN12_GLOBAL__N_135rocblas_gemm_batched_general_kernelIdLi16ELi16ELi32ELi32ELi8ELi32ELi8ELi8ELi32ELc78ELc78EKPKdS3_KPdEEvlllT_PT11_llS8_llS6_PT12_llPT13_lli.has_indirect_call, 0
	.section	.AMDGPU.csdata,"",@progbits
; Kernel info:
; codeLenInByte = 2460
; TotalNumSgprs: 54
; NumVgprs: 53
; ScratchSize: 0
; MemoryBound: 0
; FloatMode: 240
; IeeeMode: 1
; LDSByteSize: 4096 bytes/workgroup (compile time only)
; SGPRBlocks: 0
; VGPRBlocks: 6
; NumSGPRsForWavesPerEU: 54
; NumVGPRsForWavesPerEU: 53
; Occupancy: 16
; WaveLimiterHint : 1
; COMPUTE_PGM_RSRC2:SCRATCH_EN: 0
; COMPUTE_PGM_RSRC2:USER_SGPR: 2
; COMPUTE_PGM_RSRC2:TRAP_HANDLER: 0
; COMPUTE_PGM_RSRC2:TGID_X_EN: 1
; COMPUTE_PGM_RSRC2:TGID_Y_EN: 1
; COMPUTE_PGM_RSRC2:TGID_Z_EN: 1
; COMPUTE_PGM_RSRC2:TIDIG_COMP_CNT: 1
	.section	.text._ZN12_GLOBAL__N_135rocblas_gemm_batched_general_kernelIdLi16ELi16ELi32ELi32ELi8ELi32ELi8ELi8ELi32ELc84ELc78EKPKdS3_KPdEEvlllT_PT11_llS8_llS6_PT12_llPT13_lli,"axG",@progbits,_ZN12_GLOBAL__N_135rocblas_gemm_batched_general_kernelIdLi16ELi16ELi32ELi32ELi8ELi32ELi8ELi8ELi32ELc84ELc78EKPKdS3_KPdEEvlllT_PT11_llS8_llS6_PT12_llPT13_lli,comdat
	.globl	_ZN12_GLOBAL__N_135rocblas_gemm_batched_general_kernelIdLi16ELi16ELi32ELi32ELi8ELi32ELi8ELi8ELi32ELc84ELc78EKPKdS3_KPdEEvlllT_PT11_llS8_llS6_PT12_llPT13_lli ; -- Begin function _ZN12_GLOBAL__N_135rocblas_gemm_batched_general_kernelIdLi16ELi16ELi32ELi32ELi8ELi32ELi8ELi8ELi32ELc84ELc78EKPKdS3_KPdEEvlllT_PT11_llS8_llS6_PT12_llPT13_lli
	.p2align	8
	.type	_ZN12_GLOBAL__N_135rocblas_gemm_batched_general_kernelIdLi16ELi16ELi32ELi32ELi8ELi32ELi8ELi8ELi32ELc84ELc78EKPKdS3_KPdEEvlllT_PT11_llS8_llS6_PT12_llPT13_lli,@function
_ZN12_GLOBAL__N_135rocblas_gemm_batched_general_kernelIdLi16ELi16ELi32ELi32ELi8ELi32ELi8ELi8ELi32ELc84ELc78EKPKdS3_KPdEEvlllT_PT11_llS8_llS6_PT12_llPT13_lli: ; @_ZN12_GLOBAL__N_135rocblas_gemm_batched_general_kernelIdLi16ELi16ELi32ELi32ELi8ELi32ELi8ELi8ELi32ELc84ELc78EKPKdS3_KPdEEvlllT_PT11_llS8_llS6_PT12_llPT13_lli
; %bb.0:
	s_load_b32 s26, s[0:1], 0x88
	s_lshr_b32 s20, ttmp7, 16
	s_wait_kmcnt 0x0
	s_cmp_ge_i32 s20, s26
	s_cbranch_scc1 .LBB224_35
; %bb.1:
	s_mov_b32 s2, ttmp9
	s_ashr_i32 s3, ttmp9, 31
	v_bfe_u32 v1, v0, 10, 10
	s_lshl_b64 s[24:25], s[2:3], 5
	s_delay_alu instid0(SALU_CYCLE_1)
	v_dual_mov_b32 v5, s25 :: v_dual_and_b32 v2, 0x3ff, v0
	s_clause 0x1
	s_load_b512 s[4:19], s[0:1], 0x0
	s_load_b512 s[36:51], s[0:1], 0x40
	v_and_b32_e32 v26, 7, v0
	s_load_b64 s[22:23], s[0:1], 0x80
	v_lshl_add_u32 v3, v1, 4, v2
	s_and_b32 s0, ttmp7, 0xffff
	s_delay_alu instid0(VALU_DEP_2) | instskip(SKIP_1) | instid1(VALU_DEP_2)
	v_dual_mov_b32 v28, 0 :: v_dual_lshlrev_b32 v19, 3, v26
	s_lshl_b32 s2, s0, 5
	v_and_b32_e32 v0, 31, v3
	v_lshrrev_b32_e32 v27, 5, v3
	v_lshrrev_b32_e32 v3, 3, v3
	v_lshlrev_b32_e32 v31, 3, v2
	v_lshl_add_u32 v32, v1, 6, 0x800
	v_or_b32_e32 v4, s24, v0
	v_lshlrev_b32_e32 v0, 3, v0
	v_add_co_u32 v6, s0, v3, s2
	s_delay_alu instid0(VALU_DEP_1) | instskip(SKIP_1) | instid1(VALU_DEP_4)
	v_add_co_ci_u32_e64 v7, null, 0, 0, s0
	v_lshl_or_b32 v3, v3, 6, v19
	v_lshl_or_b32 v29, v27, 8, v0
	s_wait_kmcnt 0x0
	v_mad_co_u64_u32 v[11:12], null, s36, v6, 0
	v_cmp_gt_i64_e64 s1, s[6:7], v[6:7]
	v_add_co_u32 v7, s2, s2, v1
	s_wait_alu 0xf1ff
	v_add_co_ci_u32_e64 v8, null, 0, 0, s2
	v_add_co_u32 v2, s2, s24, v2
	v_add_nc_u32_e32 v30, 0x800, v3
	s_wait_alu 0xf1ff
	v_add_co_ci_u32_e64 v3, null, s25, 0, s2
	v_mad_co_u64_u32 v[0:1], null, v7, s50, 0
	v_add_co_u32 v9, vcc_lo, v2, 16
	s_delay_alu instid0(VALU_DEP_1) | instskip(SKIP_3) | instid1(VALU_DEP_4)
	v_add_co_ci_u32_e64 v10, null, 0, v3, vcc_lo
	v_cmp_gt_i64_e64 s0, s[4:5], v[4:5]
	v_cmp_gt_i64_e64 s3, s[4:5], v[2:3]
	v_mad_co_u64_u32 v[13:14], null, v7, s44, 0
	v_cmp_gt_i64_e64 s4, s[4:5], v[9:10]
	v_mad_co_u64_u32 v[9:10], null, v7, s51, v[1:2]
	v_mov_b32_e32 v1, v12
	v_cmp_eq_f64_e64 s27, s[40:41], 0
	v_add_co_u32 v15, vcc_lo, v7, 16
	v_cmp_gt_i64_e64 s2, s[6:7], v[7:8]
	s_delay_alu instid0(VALU_DEP_4)
	v_mad_co_u64_u32 v[5:6], null, s37, v6, v[1:2]
	s_wait_alu 0xfffd
	v_add_co_ci_u32_e64 v16, null, 0, v8, vcc_lo
	v_mov_b32_e32 v1, v14
	v_mul_lo_u32 v8, s15, v4
	v_mad_co_u64_u32 v[17:18], null, s14, v4, 0
	v_mov_b32_e32 v12, v5
	s_delay_alu instid0(VALU_DEP_4)
	v_mad_co_u64_u32 v[6:7], null, v7, s45, v[1:2]
	s_mul_i32 s14, s14, s25
	v_cmp_gt_i64_e64 s5, s[6:7], v[15:16]
	v_lshlrev_b64_e32 v[4:5], 3, v[11:12]
	s_wait_alu 0xfffe
	v_add3_u32 v18, v18, s14, v8
	s_lshl_b64 s[14:15], s[38:39], 3
	v_lshlrev_b32_e32 v8, 3, v27
	v_mov_b32_e32 v14, v6
	v_cmp_gt_i64_e64 s28, s[8:9], 0
	v_lshlrev_b64_e32 v[6:7], 3, v[17:18]
	s_wait_alu 0xfffe
	v_add_co_u32 v4, vcc_lo, v4, s14
	s_wait_alu 0xfffd
	v_add_co_ci_u32_e64 v5, null, s15, v5, vcc_lo
	s_lshl_b64 s[14:15], s[16:17], 3
	v_mov_b32_e32 v1, v9
	s_wait_alu 0xfffe
	v_add_co_u32 v6, vcc_lo, v6, s14
	s_wait_alu 0xfffd
	v_add_co_ci_u32_e64 v7, null, s15, v7, vcc_lo
	v_add_co_u32 v33, vcc_lo, v4, v19
	s_wait_alu 0xfffd
	v_add_co_ci_u32_e64 v34, null, 0, v5, vcc_lo
	v_add_co_u32 v35, vcc_lo, v6, v8
	v_lshlrev_b64_e32 v[4:5], 3, v[13:14]
	s_wait_alu 0xfffd
	v_add_co_ci_u32_e64 v36, null, 0, v7, vcc_lo
	s_lshl_b64 s[24:25], s[44:45], 4
	s_mov_b32 s21, 0
	s_lshl_b64 s[6:7], s[50:51], 4
	s_lshl_b64 s[14:15], s[22:23], 3
	;; [unrolled: 1-line block ×3, first 2 shown]
	s_wait_alu 0xfffe
	s_lshl_b64 s[22:23], s[24:25], 3
	s_branch .LBB224_4
.LBB224_2:                              ;   in Loop: Header=BB224_4 Depth=1
	s_wait_alu 0xfffe
	s_or_b32 exec_lo, exec_lo, s24
.LBB224_3:                              ;   in Loop: Header=BB224_4 Depth=1
	s_add_co_i32 s20, s20, 0x10000
	s_delay_alu instid0(SALU_CYCLE_1)
	s_cmp_lt_i32 s20, s26
	s_cbranch_scc0 .LBB224_35
.LBB224_4:                              ; =>This Loop Header: Depth=1
                                        ;     Child Loop BB224_7 Depth 2
	s_lshl_b64 s[24:25], s[20:21], 3
	s_and_not1_b32 vcc_lo, exec_lo, s28
	s_wait_alu 0xfffe
	s_add_nc_u64 s[30:31], s[42:43], s[24:25]
	s_add_nc_u64 s[34:35], s[48:49], s[24:25]
	s_clause 0x1
	global_load_b64 v[6:7], v28, s[30:31]
	global_load_b64 v[16:17], v28, s[34:35]
	s_cbranch_vccnz .LBB224_11
; %bb.5:                                ;   in Loop: Header=BB224_4 Depth=1
	s_add_nc_u64 s[30:31], s[18:19], s[24:25]
	s_add_nc_u64 s[24:25], s[12:13], s[24:25]
	s_clause 0x1
	global_load_b64 v[18:19], v28, s[30:31]
	global_load_b64 v[20:21], v28, s[24:25]
	v_mov_b32_e32 v8, 0
	v_dual_mov_b32 v12, 0 :: v_dual_mov_b32 v9, 0
	v_dual_mov_b32 v10, 0 :: v_dual_mov_b32 v13, 0
	;; [unrolled: 1-line block ×3, first 2 shown]
	v_mov_b32_e32 v15, 0
	s_mov_b64 s[24:25], 0
	s_wait_loadcnt 0x1
	v_add_co_u32 v18, vcc_lo, v18, v33
	s_wait_alu 0xfffd
	v_add_co_ci_u32_e64 v19, null, v19, v34, vcc_lo
	s_wait_loadcnt 0x0
	v_add_co_u32 v20, vcc_lo, v20, v35
	s_wait_alu 0xfffd
	v_add_co_ci_u32_e64 v21, null, v21, v36, vcc_lo
	s_branch .LBB224_7
.LBB224_6:                              ;   in Loop: Header=BB224_7 Depth=2
	s_wait_alu 0xfffe
	s_or_b32 exec_lo, exec_lo, s29
	s_wait_loadcnt_dscnt 0x0
	ds_store_b64 v30, v[24:25]
	s_wait_dscnt 0x0
	s_barrier_signal -1
	s_barrier_wait -1
	global_inv scope:SCOPE_SE
	ds_load_b128 v[22:25], v32
	ds_load_2addr_b64 v[37:40], v31 offset1:16
	ds_load_b128 v[41:44], v32 offset:1024
	ds_load_b128 v[45:48], v32 offset:16
	;; [unrolled: 1-line block ×3, first 2 shown]
	s_add_nc_u64 s[24:25], s[24:25], 8
	v_add_co_u32 v18, vcc_lo, v18, 64
	s_wait_alu 0xfffe
	v_cmp_lt_i64_e64 s29, s[24:25], s[8:9]
	s_wait_alu 0xfffd
	v_add_co_ci_u32_e64 v19, null, 0, v19, vcc_lo
	v_add_co_u32 v20, vcc_lo, v20, 64
	s_wait_alu 0xfffd
	v_add_co_ci_u32_e64 v21, null, 0, v21, vcc_lo
	s_and_b32 vcc_lo, exec_lo, s29
	s_wait_dscnt 0x3
	v_fma_f64 v[14:15], v[37:38], v[22:23], v[14:15]
	v_fma_f64 v[12:13], v[39:40], v[22:23], v[12:13]
	s_wait_dscnt 0x2
	v_fma_f64 v[22:23], v[37:38], v[41:42], v[10:11]
	v_fma_f64 v[37:38], v[39:40], v[41:42], v[8:9]
	ds_load_2addr_b64 v[8:11], v31 offset0:32 offset1:48
	s_wait_dscnt 0x0
	v_fma_f64 v[14:15], v[8:9], v[24:25], v[14:15]
	v_fma_f64 v[12:13], v[10:11], v[24:25], v[12:13]
	v_fma_f64 v[22:23], v[8:9], v[43:44], v[22:23]
	v_fma_f64 v[24:25], v[10:11], v[43:44], v[37:38]
	ds_load_2addr_b64 v[8:11], v31 offset0:64 offset1:80
	s_wait_dscnt 0x0
	v_fma_f64 v[14:15], v[8:9], v[45:46], v[14:15]
	v_fma_f64 v[12:13], v[10:11], v[45:46], v[12:13]
	;; [unrolled: 6-line block ×3, first 2 shown]
	v_fma_f64 v[49:50], v[8:9], v[51:52], v[22:23]
	v_fma_f64 v[51:52], v[10:11], v[51:52], v[24:25]
	ds_load_b128 v[8:11], v32 offset:32
	ds_load_2addr_b64 v[12:15], v31 offset0:128 offset1:144
	ds_load_b128 v[22:25], v32 offset:1056
	ds_load_b128 v[37:40], v32 offset:48
	;; [unrolled: 1-line block ×3, first 2 shown]
	s_wait_dscnt 0x3
	v_fma_f64 v[45:46], v[12:13], v[8:9], v[45:46]
	v_fma_f64 v[8:9], v[14:15], v[8:9], v[47:48]
	s_wait_dscnt 0x2
	v_fma_f64 v[47:48], v[12:13], v[22:23], v[49:50]
	v_fma_f64 v[22:23], v[14:15], v[22:23], v[51:52]
	ds_load_2addr_b64 v[12:15], v31 offset0:160 offset1:176
	s_wait_dscnt 0x0
	v_fma_f64 v[45:46], v[12:13], v[10:11], v[45:46]
	v_fma_f64 v[49:50], v[14:15], v[10:11], v[8:9]
	;; [unrolled: 1-line block ×4, first 2 shown]
	ds_load_2addr_b64 v[8:11], v31 offset0:192 offset1:208
	ds_load_2addr_b64 v[22:25], v31 offset0:224 offset1:240
	s_wait_loadcnt_dscnt 0x0
	s_barrier_signal -1
	s_barrier_wait -1
	global_inv scope:SCOPE_SE
	v_fma_f64 v[45:46], v[8:9], v[37:38], v[45:46]
	v_fma_f64 v[37:38], v[10:11], v[37:38], v[49:50]
	;; [unrolled: 1-line block ×4, first 2 shown]
	s_delay_alu instid0(VALU_DEP_4) | instskip(NEXT) | instid1(VALU_DEP_4)
	v_fma_f64 v[14:15], v[22:23], v[39:40], v[45:46]
	v_fma_f64 v[12:13], v[24:25], v[39:40], v[37:38]
	s_delay_alu instid0(VALU_DEP_4) | instskip(NEXT) | instid1(VALU_DEP_4)
	v_fma_f64 v[10:11], v[22:23], v[43:44], v[8:9]
	v_fma_f64 v[8:9], v[24:25], v[43:44], v[41:42]
	s_wait_alu 0xfffe
	s_cbranch_vccz .LBB224_12
.LBB224_7:                              ;   Parent Loop BB224_4 Depth=1
                                        ; =>  This Inner Loop Header: Depth=2
	s_wait_alu 0xfffe
	v_add_co_u32 v22, s29, v27, s24
	s_wait_alu 0xf1ff
	v_add_co_ci_u32_e64 v23, null, 0, s25, s29
	s_delay_alu instid0(VALU_DEP_1)
	v_cmp_gt_i64_e32 vcc_lo, s[8:9], v[22:23]
	v_mov_b32_e32 v22, 0
	v_mov_b32_e32 v23, 0
	s_and_b32 s30, s0, vcc_lo
	s_wait_alu 0xfffe
	s_and_saveexec_b32 s29, s30
	s_cbranch_execz .LBB224_9
; %bb.8:                                ;   in Loop: Header=BB224_7 Depth=2
	flat_load_b64 v[22:23], v[20:21]
.LBB224_9:                              ;   in Loop: Header=BB224_7 Depth=2
	s_wait_alu 0xfffe
	s_or_b32 exec_lo, exec_lo, s29
	v_add_co_u32 v24, s29, v26, s24
	s_wait_alu 0xf1ff
	v_add_co_ci_u32_e64 v25, null, 0, s25, s29
	s_wait_loadcnt_dscnt 0x0
	ds_store_b64 v29, v[22:23]
	v_cmp_gt_i64_e32 vcc_lo, s[8:9], v[24:25]
	v_mov_b32_e32 v24, 0
	v_mov_b32_e32 v25, 0
	s_and_b32 s30, vcc_lo, s1
	s_wait_alu 0xfffe
	s_and_saveexec_b32 s29, s30
	s_cbranch_execz .LBB224_6
; %bb.10:                               ;   in Loop: Header=BB224_7 Depth=2
	flat_load_b64 v[24:25], v[18:19]
	s_branch .LBB224_6
.LBB224_11:                             ;   in Loop: Header=BB224_4 Depth=1
	v_mov_b32_e32 v14, 0
	v_dual_mov_b32 v10, 0 :: v_dual_mov_b32 v15, 0
	v_dual_mov_b32 v12, 0 :: v_dual_mov_b32 v11, 0
	;; [unrolled: 1-line block ×3, first 2 shown]
	v_mov_b32_e32 v9, 0
.LBB224_12:                             ;   in Loop: Header=BB224_4 Depth=1
	s_wait_loadcnt 0x0
	v_add_co_u32 v18, vcc_lo, v16, s14
	s_wait_alu 0xfffd
	v_add_co_ci_u32_e64 v19, null, s15, v17, vcc_lo
	s_and_not1_b32 vcc_lo, exec_lo, s27
	s_wait_alu 0xfffe
	s_cbranch_vccnz .LBB224_17
; %bb.13:                               ;   in Loop: Header=BB224_4 Depth=1
	s_and_saveexec_b32 s24, s2
	s_cbranch_execz .LBB224_24
; %bb.14:                               ;   in Loop: Header=BB224_4 Depth=1
	v_lshlrev_b64_e32 v[16:17], 3, v[0:1]
	s_delay_alu instid0(VALU_DEP_1) | instskip(SKIP_1) | instid1(VALU_DEP_2)
	v_add_co_u32 v16, vcc_lo, v18, v16
	s_wait_alu 0xfffd
	v_add_co_ci_u32_e64 v17, null, v19, v17, vcc_lo
	s_and_saveexec_b32 s25, s3
	s_cbranch_execnz .LBB224_18
; %bb.15:                               ;   in Loop: Header=BB224_4 Depth=1
	s_wait_alu 0xfffe
	s_or_b32 exec_lo, exec_lo, s25
	s_and_saveexec_b32 s25, s4
	s_cbranch_execnz .LBB224_19
.LBB224_16:                             ;   in Loop: Header=BB224_4 Depth=1
	s_wait_alu 0xfffe
	s_or_b32 exec_lo, exec_lo, s25
	s_delay_alu instid0(SALU_CYCLE_1)
	s_and_b32 exec_lo, exec_lo, s5
	s_cbranch_execnz .LBB224_20
	s_branch .LBB224_24
.LBB224_17:                             ;   in Loop: Header=BB224_4 Depth=1
	s_branch .LBB224_25
.LBB224_18:                             ;   in Loop: Header=BB224_4 Depth=1
	v_mul_f64_e32 v[20:21], s[10:11], v[14:15]
	v_lshlrev_b64_e32 v[22:23], 3, v[2:3]
	s_delay_alu instid0(VALU_DEP_1) | instskip(SKIP_1) | instid1(VALU_DEP_2)
	v_add_co_u32 v22, vcc_lo, v16, v22
	s_wait_alu 0xfffd
	v_add_co_ci_u32_e64 v23, null, v17, v23, vcc_lo
	flat_store_b64 v[22:23], v[20:21]
	s_wait_alu 0xfffe
	s_or_b32 exec_lo, exec_lo, s25
	s_and_saveexec_b32 s25, s4
	s_cbranch_execz .LBB224_16
.LBB224_19:                             ;   in Loop: Header=BB224_4 Depth=1
	v_mul_f64_e32 v[20:21], s[10:11], v[12:13]
	v_lshlrev_b64_e32 v[22:23], 3, v[2:3]
	s_delay_alu instid0(VALU_DEP_1) | instskip(SKIP_1) | instid1(VALU_DEP_2)
	v_add_co_u32 v22, vcc_lo, v16, v22
	s_wait_alu 0xfffd
	v_add_co_ci_u32_e64 v23, null, v17, v23, vcc_lo
	flat_store_b64 v[22:23], v[20:21] offset:128
	s_wait_alu 0xfffe
	s_or_b32 exec_lo, exec_lo, s25
	s_delay_alu instid0(SALU_CYCLE_1)
	s_and_b32 exec_lo, exec_lo, s5
	s_cbranch_execz .LBB224_24
.LBB224_20:                             ;   in Loop: Header=BB224_4 Depth=1
	s_lshl_b64 s[30:31], s[6:7], 3
	v_lshlrev_b64_e32 v[20:21], 3, v[2:3]
	s_wait_alu 0xfffe
	v_add_co_u32 v16, vcc_lo, v16, s30
	s_wait_alu 0xfffd
	v_add_co_ci_u32_e64 v17, null, s31, v17, vcc_lo
	s_delay_alu instid0(VALU_DEP_2) | instskip(SKIP_1) | instid1(VALU_DEP_2)
	v_add_co_u32 v16, vcc_lo, v16, v20
	s_wait_alu 0xfffd
	v_add_co_ci_u32_e64 v17, null, v17, v21, vcc_lo
	s_and_saveexec_b32 s25, s3
	s_cbranch_execz .LBB224_22
; %bb.21:                               ;   in Loop: Header=BB224_4 Depth=1
	v_mul_f64_e32 v[20:21], s[10:11], v[10:11]
	flat_store_b64 v[16:17], v[20:21]
.LBB224_22:                             ;   in Loop: Header=BB224_4 Depth=1
	s_wait_alu 0xfffe
	s_or_b32 exec_lo, exec_lo, s25
	s_delay_alu instid0(SALU_CYCLE_1)
	s_and_b32 exec_lo, exec_lo, s4
	s_cbranch_execz .LBB224_24
; %bb.23:                               ;   in Loop: Header=BB224_4 Depth=1
	v_mul_f64_e32 v[20:21], s[10:11], v[8:9]
	flat_store_b64 v[16:17], v[20:21] offset:128
.LBB224_24:                             ;   in Loop: Header=BB224_4 Depth=1
	s_wait_alu 0xfffe
	s_or_b32 exec_lo, exec_lo, s24
	s_cbranch_execnz .LBB224_3
.LBB224_25:                             ;   in Loop: Header=BB224_4 Depth=1
	s_and_saveexec_b32 s24, s2
	s_cbranch_execz .LBB224_2
; %bb.26:                               ;   in Loop: Header=BB224_4 Depth=1
	v_add_co_u32 v6, vcc_lo, v6, s16
	v_lshlrev_b64_e32 v[20:21], 3, v[0:1]
	s_wait_alu 0xfffd
	v_add_co_ci_u32_e64 v7, null, s17, v7, vcc_lo
	s_delay_alu instid0(VALU_DEP_3) | instskip(SKIP_1) | instid1(VALU_DEP_2)
	v_add_co_u32 v16, vcc_lo, v6, v4
	s_wait_alu 0xfffd
	v_add_co_ci_u32_e64 v17, null, v7, v5, vcc_lo
	v_add_co_u32 v18, vcc_lo, v18, v20
	v_lshlrev_b64_e32 v[6:7], 3, v[2:3]
	s_wait_alu 0xfffd
	v_add_co_ci_u32_e64 v19, null, v19, v21, vcc_lo
	s_and_saveexec_b32 s25, s3
	s_cbranch_execnz .LBB224_29
; %bb.27:                               ;   in Loop: Header=BB224_4 Depth=1
	s_wait_alu 0xfffe
	s_or_b32 exec_lo, exec_lo, s25
	s_and_saveexec_b32 s25, s4
	s_cbranch_execnz .LBB224_30
.LBB224_28:                             ;   in Loop: Header=BB224_4 Depth=1
	s_wait_alu 0xfffe
	s_or_b32 exec_lo, exec_lo, s25
	s_delay_alu instid0(SALU_CYCLE_1)
	s_and_b32 exec_lo, exec_lo, s5
	s_cbranch_execz .LBB224_2
	s_branch .LBB224_31
.LBB224_29:                             ;   in Loop: Header=BB224_4 Depth=1
	v_add_co_u32 v20, vcc_lo, v16, v6
	s_wait_alu 0xfffd
	v_add_co_ci_u32_e64 v21, null, v17, v7, vcc_lo
	flat_load_b64 v[20:21], v[20:21]
	s_wait_loadcnt_dscnt 0x0
	v_mul_f64_e32 v[20:21], s[40:41], v[20:21]
	s_delay_alu instid0(VALU_DEP_1)
	v_fma_f64 v[14:15], s[10:11], v[14:15], v[20:21]
	v_add_co_u32 v20, vcc_lo, v18, v6
	s_wait_alu 0xfffd
	v_add_co_ci_u32_e64 v21, null, v19, v7, vcc_lo
	flat_store_b64 v[20:21], v[14:15]
	s_wait_alu 0xfffe
	s_or_b32 exec_lo, exec_lo, s25
	s_and_saveexec_b32 s25, s4
	s_cbranch_execz .LBB224_28
.LBB224_30:                             ;   in Loop: Header=BB224_4 Depth=1
	v_add_co_u32 v14, vcc_lo, v16, v6
	s_wait_alu 0xfffd
	v_add_co_ci_u32_e64 v15, null, v17, v7, vcc_lo
	flat_load_b64 v[14:15], v[14:15] offset:128
	s_wait_loadcnt_dscnt 0x0
	v_mul_f64_e32 v[14:15], s[40:41], v[14:15]
	s_delay_alu instid0(VALU_DEP_1)
	v_fma_f64 v[12:13], s[10:11], v[12:13], v[14:15]
	v_add_co_u32 v14, vcc_lo, v18, v6
	s_wait_alu 0xfffd
	v_add_co_ci_u32_e64 v15, null, v19, v7, vcc_lo
	flat_store_b64 v[14:15], v[12:13] offset:128
	s_wait_alu 0xfffe
	s_or_b32 exec_lo, exec_lo, s25
	s_delay_alu instid0(SALU_CYCLE_1)
	s_and_b32 exec_lo, exec_lo, s5
	s_cbranch_execz .LBB224_2
.LBB224_31:                             ;   in Loop: Header=BB224_4 Depth=1
	v_add_co_u32 v12, vcc_lo, v16, s22
	s_lshl_b64 s[30:31], s[6:7], 3
	s_wait_alu 0xfffd
	v_add_co_ci_u32_e64 v13, null, s23, v17, vcc_lo
	s_wait_alu 0xfffe
	v_add_co_u32 v14, vcc_lo, v18, s30
	s_wait_alu 0xfffd
	v_add_co_ci_u32_e64 v15, null, s31, v19, vcc_lo
	v_add_co_u32 v12, vcc_lo, v12, v6
	s_wait_alu 0xfffd
	v_add_co_ci_u32_e64 v13, null, v13, v7, vcc_lo
	;; [unrolled: 3-line block ×3, first 2 shown]
	s_and_saveexec_b32 s25, s3
	s_cbranch_execz .LBB224_33
; %bb.32:                               ;   in Loop: Header=BB224_4 Depth=1
	flat_load_b64 v[14:15], v[12:13]
	s_wait_loadcnt_dscnt 0x0
	v_mul_f64_e32 v[14:15], s[40:41], v[14:15]
	s_delay_alu instid0(VALU_DEP_1)
	v_fma_f64 v[10:11], s[10:11], v[10:11], v[14:15]
	flat_store_b64 v[6:7], v[10:11]
.LBB224_33:                             ;   in Loop: Header=BB224_4 Depth=1
	s_wait_alu 0xfffe
	s_or_b32 exec_lo, exec_lo, s25
	s_delay_alu instid0(SALU_CYCLE_1)
	s_and_b32 exec_lo, exec_lo, s4
	s_cbranch_execz .LBB224_2
; %bb.34:                               ;   in Loop: Header=BB224_4 Depth=1
	flat_load_b64 v[10:11], v[12:13] offset:128
	s_wait_loadcnt_dscnt 0x0
	v_mul_f64_e32 v[10:11], s[40:41], v[10:11]
	s_delay_alu instid0(VALU_DEP_1)
	v_fma_f64 v[8:9], s[10:11], v[8:9], v[10:11]
	flat_store_b64 v[6:7], v[8:9] offset:128
	s_branch .LBB224_2
.LBB224_35:
	s_endpgm
	.section	.rodata,"a",@progbits
	.p2align	6, 0x0
	.amdhsa_kernel _ZN12_GLOBAL__N_135rocblas_gemm_batched_general_kernelIdLi16ELi16ELi32ELi32ELi8ELi32ELi8ELi8ELi32ELc84ELc78EKPKdS3_KPdEEvlllT_PT11_llS8_llS6_PT12_llPT13_lli
		.amdhsa_group_segment_fixed_size 4096
		.amdhsa_private_segment_fixed_size 0
		.amdhsa_kernarg_size 140
		.amdhsa_user_sgpr_count 2
		.amdhsa_user_sgpr_dispatch_ptr 0
		.amdhsa_user_sgpr_queue_ptr 0
		.amdhsa_user_sgpr_kernarg_segment_ptr 1
		.amdhsa_user_sgpr_dispatch_id 0
		.amdhsa_user_sgpr_private_segment_size 0
		.amdhsa_wavefront_size32 1
		.amdhsa_uses_dynamic_stack 0
		.amdhsa_enable_private_segment 0
		.amdhsa_system_sgpr_workgroup_id_x 1
		.amdhsa_system_sgpr_workgroup_id_y 1
		.amdhsa_system_sgpr_workgroup_id_z 1
		.amdhsa_system_sgpr_workgroup_info 0
		.amdhsa_system_vgpr_workitem_id 1
		.amdhsa_next_free_vgpr 53
		.amdhsa_next_free_sgpr 52
		.amdhsa_reserve_vcc 1
		.amdhsa_float_round_mode_32 0
		.amdhsa_float_round_mode_16_64 0
		.amdhsa_float_denorm_mode_32 3
		.amdhsa_float_denorm_mode_16_64 3
		.amdhsa_fp16_overflow 0
		.amdhsa_workgroup_processor_mode 1
		.amdhsa_memory_ordered 1
		.amdhsa_forward_progress 1
		.amdhsa_inst_pref_size 20
		.amdhsa_round_robin_scheduling 0
		.amdhsa_exception_fp_ieee_invalid_op 0
		.amdhsa_exception_fp_denorm_src 0
		.amdhsa_exception_fp_ieee_div_zero 0
		.amdhsa_exception_fp_ieee_overflow 0
		.amdhsa_exception_fp_ieee_underflow 0
		.amdhsa_exception_fp_ieee_inexact 0
		.amdhsa_exception_int_div_zero 0
	.end_amdhsa_kernel
	.section	.text._ZN12_GLOBAL__N_135rocblas_gemm_batched_general_kernelIdLi16ELi16ELi32ELi32ELi8ELi32ELi8ELi8ELi32ELc84ELc78EKPKdS3_KPdEEvlllT_PT11_llS8_llS6_PT12_llPT13_lli,"axG",@progbits,_ZN12_GLOBAL__N_135rocblas_gemm_batched_general_kernelIdLi16ELi16ELi32ELi32ELi8ELi32ELi8ELi8ELi32ELc84ELc78EKPKdS3_KPdEEvlllT_PT11_llS8_llS6_PT12_llPT13_lli,comdat
.Lfunc_end224:
	.size	_ZN12_GLOBAL__N_135rocblas_gemm_batched_general_kernelIdLi16ELi16ELi32ELi32ELi8ELi32ELi8ELi8ELi32ELc84ELc78EKPKdS3_KPdEEvlllT_PT11_llS8_llS6_PT12_llPT13_lli, .Lfunc_end224-_ZN12_GLOBAL__N_135rocblas_gemm_batched_general_kernelIdLi16ELi16ELi32ELi32ELi8ELi32ELi8ELi8ELi32ELc84ELc78EKPKdS3_KPdEEvlllT_PT11_llS8_llS6_PT12_llPT13_lli
                                        ; -- End function
	.set _ZN12_GLOBAL__N_135rocblas_gemm_batched_general_kernelIdLi16ELi16ELi32ELi32ELi8ELi32ELi8ELi8ELi32ELc84ELc78EKPKdS3_KPdEEvlllT_PT11_llS8_llS6_PT12_llPT13_lli.num_vgpr, 53
	.set _ZN12_GLOBAL__N_135rocblas_gemm_batched_general_kernelIdLi16ELi16ELi32ELi32ELi8ELi32ELi8ELi8ELi32ELc84ELc78EKPKdS3_KPdEEvlllT_PT11_llS8_llS6_PT12_llPT13_lli.num_agpr, 0
	.set _ZN12_GLOBAL__N_135rocblas_gemm_batched_general_kernelIdLi16ELi16ELi32ELi32ELi8ELi32ELi8ELi8ELi32ELc84ELc78EKPKdS3_KPdEEvlllT_PT11_llS8_llS6_PT12_llPT13_lli.numbered_sgpr, 52
	.set _ZN12_GLOBAL__N_135rocblas_gemm_batched_general_kernelIdLi16ELi16ELi32ELi32ELi8ELi32ELi8ELi8ELi32ELc84ELc78EKPKdS3_KPdEEvlllT_PT11_llS8_llS6_PT12_llPT13_lli.num_named_barrier, 0
	.set _ZN12_GLOBAL__N_135rocblas_gemm_batched_general_kernelIdLi16ELi16ELi32ELi32ELi8ELi32ELi8ELi8ELi32ELc84ELc78EKPKdS3_KPdEEvlllT_PT11_llS8_llS6_PT12_llPT13_lli.private_seg_size, 0
	.set _ZN12_GLOBAL__N_135rocblas_gemm_batched_general_kernelIdLi16ELi16ELi32ELi32ELi8ELi32ELi8ELi8ELi32ELc84ELc78EKPKdS3_KPdEEvlllT_PT11_llS8_llS6_PT12_llPT13_lli.uses_vcc, 1
	.set _ZN12_GLOBAL__N_135rocblas_gemm_batched_general_kernelIdLi16ELi16ELi32ELi32ELi8ELi32ELi8ELi8ELi32ELc84ELc78EKPKdS3_KPdEEvlllT_PT11_llS8_llS6_PT12_llPT13_lli.uses_flat_scratch, 0
	.set _ZN12_GLOBAL__N_135rocblas_gemm_batched_general_kernelIdLi16ELi16ELi32ELi32ELi8ELi32ELi8ELi8ELi32ELc84ELc78EKPKdS3_KPdEEvlllT_PT11_llS8_llS6_PT12_llPT13_lli.has_dyn_sized_stack, 0
	.set _ZN12_GLOBAL__N_135rocblas_gemm_batched_general_kernelIdLi16ELi16ELi32ELi32ELi8ELi32ELi8ELi8ELi32ELc84ELc78EKPKdS3_KPdEEvlllT_PT11_llS8_llS6_PT12_llPT13_lli.has_recursion, 0
	.set _ZN12_GLOBAL__N_135rocblas_gemm_batched_general_kernelIdLi16ELi16ELi32ELi32ELi8ELi32ELi8ELi8ELi32ELc84ELc78EKPKdS3_KPdEEvlllT_PT11_llS8_llS6_PT12_llPT13_lli.has_indirect_call, 0
	.section	.AMDGPU.csdata,"",@progbits
; Kernel info:
; codeLenInByte = 2472
; TotalNumSgprs: 54
; NumVgprs: 53
; ScratchSize: 0
; MemoryBound: 0
; FloatMode: 240
; IeeeMode: 1
; LDSByteSize: 4096 bytes/workgroup (compile time only)
; SGPRBlocks: 0
; VGPRBlocks: 6
; NumSGPRsForWavesPerEU: 54
; NumVGPRsForWavesPerEU: 53
; Occupancy: 16
; WaveLimiterHint : 1
; COMPUTE_PGM_RSRC2:SCRATCH_EN: 0
; COMPUTE_PGM_RSRC2:USER_SGPR: 2
; COMPUTE_PGM_RSRC2:TRAP_HANDLER: 0
; COMPUTE_PGM_RSRC2:TGID_X_EN: 1
; COMPUTE_PGM_RSRC2:TGID_Y_EN: 1
; COMPUTE_PGM_RSRC2:TGID_Z_EN: 1
; COMPUTE_PGM_RSRC2:TIDIG_COMP_CNT: 1
	.section	.text._ZN12_GLOBAL__N_135rocblas_gemm_batched_general_kernelIdLi16ELi16ELi32ELi32ELi8ELi32ELi8ELi8ELi32ELc78ELc84EKPKdS3_KPdEEvlllT_PT11_llS8_llS6_PT12_llPT13_lli,"axG",@progbits,_ZN12_GLOBAL__N_135rocblas_gemm_batched_general_kernelIdLi16ELi16ELi32ELi32ELi8ELi32ELi8ELi8ELi32ELc78ELc84EKPKdS3_KPdEEvlllT_PT11_llS8_llS6_PT12_llPT13_lli,comdat
	.globl	_ZN12_GLOBAL__N_135rocblas_gemm_batched_general_kernelIdLi16ELi16ELi32ELi32ELi8ELi32ELi8ELi8ELi32ELc78ELc84EKPKdS3_KPdEEvlllT_PT11_llS8_llS6_PT12_llPT13_lli ; -- Begin function _ZN12_GLOBAL__N_135rocblas_gemm_batched_general_kernelIdLi16ELi16ELi32ELi32ELi8ELi32ELi8ELi8ELi32ELc78ELc84EKPKdS3_KPdEEvlllT_PT11_llS8_llS6_PT12_llPT13_lli
	.p2align	8
	.type	_ZN12_GLOBAL__N_135rocblas_gemm_batched_general_kernelIdLi16ELi16ELi32ELi32ELi8ELi32ELi8ELi8ELi32ELc78ELc84EKPKdS3_KPdEEvlllT_PT11_llS8_llS6_PT12_llPT13_lli,@function
_ZN12_GLOBAL__N_135rocblas_gemm_batched_general_kernelIdLi16ELi16ELi32ELi32ELi8ELi32ELi8ELi8ELi32ELc78ELc84EKPKdS3_KPdEEvlllT_PT11_llS8_llS6_PT12_llPT13_lli: ; @_ZN12_GLOBAL__N_135rocblas_gemm_batched_general_kernelIdLi16ELi16ELi32ELi32ELi8ELi32ELi8ELi8ELi32ELc78ELc84EKPKdS3_KPdEEvlllT_PT11_llS8_llS6_PT12_llPT13_lli
; %bb.0:
	s_load_b32 s30, s[0:1], 0x88
	s_lshr_b32 s20, ttmp7, 16
	s_wait_kmcnt 0x0
	s_cmp_ge_i32 s20, s30
	s_cbranch_scc1 .LBB225_35
; %bb.1:
	s_mov_b32 s22, ttmp9
	s_ashr_i32 s23, ttmp9, 31
	v_bfe_u32 v4, v0, 10, 10
	s_lshl_b64 s[2:3], s[22:23], 5
	s_delay_alu instid0(SALU_CYCLE_1)
	v_dual_mov_b32 v1, s3 :: v_dual_and_b32 v6, 0x3ff, v0
	s_clause 0x1
	s_load_b512 s[4:19], s[0:1], 0x0
	s_load_b512 s[36:51], s[0:1], 0x40
	s_and_b32 s26, ttmp7, 0xffff
	v_and_b32_e32 v26, 7, v0
	v_lshl_add_u32 v16, v4, 4, v6
	s_lshl_b32 s27, s26, 5
	s_load_b64 s[24:25], s[0:1], 0x80
	v_lshl_add_u32 v32, v4, 6, 0x800
	v_lshlrev_b32_e32 v31, 3, v6
	v_and_b32_e32 v2, 31, v16
	v_lshrrev_b32_e32 v5, 3, v16
	v_lshrrev_b32_e32 v27, 5, v16
	s_mov_b32 s21, 0
	s_lshl_b32 s26, s26, 8
	v_or_b32_e32 v0, s2, v2
	v_dual_mov_b32 v28, 0 :: v_dual_lshlrev_b32 v17, 3, v2
	v_add_co_u32 v2, s0, v5, s27
	s_delay_alu instid0(VALU_DEP_1)
	v_add_co_ci_u32_e64 v3, null, 0, 0, s0
	v_add_co_u32 v4, s27, s27, v4
	s_wait_kmcnt 0x0
	v_cmp_gt_i64_e64 s0, s[4:5], v[0:1]
	v_add_co_u32 v0, s2, s2, v6
	s_wait_alu 0xf1ff
	v_add_co_ci_u32_e64 v1, null, s3, 0, s2
	v_cmp_gt_i64_e64 s1, s[6:7], v[2:3]
	v_mad_co_u64_u32 v[2:3], null, v4, s50, 0
	v_mad_co_u64_u32 v[10:11], null, v4, s44, 0
	v_add_co_u32 v8, vcc_lo, v0, 16
	s_delay_alu instid0(VALU_DEP_1) | instskip(SKIP_2) | instid1(VALU_DEP_3)
	v_add_co_ci_u32_e64 v9, null, 0, v1, vcc_lo
	v_cmp_gt_i64_e64 s3, s[4:5], v[0:1]
	v_add_co_u32 v14, vcc_lo, v4, 16
	v_cmp_gt_i64_e64 s4, s[4:5], v[8:9]
	v_mad_co_u64_u32 v[8:9], null, v4, s51, v[3:4]
	v_mov_b32_e32 v3, v11
	v_lshlrev_b32_e32 v7, 3, v26
	v_cmp_eq_f64_e64 s31, s[40:41], 0
	s_lshl_b64 s[28:29], s[38:39], 3
	s_lshl_b64 s[22:23], s[22:23], 8
	;; [unrolled: 1-line block ×3, first 2 shown]
	v_lshl_or_b32 v5, v5, 6, v7
	v_mad_co_u64_u32 v[6:7], null, s36, v26, 0
	s_add_nc_u64 s[16:17], s[16:17], s[22:23]
	v_cmp_gt_i64_e64 s33, s[8:9], 0
	v_lshl_or_b32 v29, v27, 8, v17
	s_lshl_b64 s[34:35], s[44:45], 4
	s_lshl_b64 s[22:23], s[24:25], 3
	;; [unrolled: 1-line block ×3, first 2 shown]
	v_mad_co_u64_u32 v[11:12], null, s37, v26, v[7:8]
	v_mad_co_u64_u32 v[12:13], null, s14, v27, 0
	v_add_nc_u32_e32 v30, 0x800, v5
	v_add_co_ci_u32_e64 v5, null, 0, 0, s27
	s_mov_b32 s27, s21
	v_mov_b32_e32 v7, v11
	s_wait_alu 0xfffe
	s_add_nc_u64 s[26:27], s[28:29], s[26:27]
	v_cmp_gt_i64_e64 s2, s[6:7], v[4:5]
	s_wait_alu 0xfffd
	v_add_co_ci_u32_e64 v15, null, 0, v5, vcc_lo
	v_mad_co_u64_u32 v[4:5], null, v4, s45, v[3:4]
	v_mov_b32_e32 v5, v13
	v_mov_b32_e32 v3, v8
	s_delay_alu instid0(VALU_DEP_4) | instskip(SKIP_4) | instid1(VALU_DEP_2)
	v_cmp_gt_i64_e64 s5, s[6:7], v[14:15]
	s_lshl_b64 s[6:7], s[50:51], 4
	v_mad_co_u64_u32 v[8:9], null, s15, v27, v[5:6]
	v_mov_b32_e32 v11, v4
	s_lshl_b64 s[14:15], s[14:15], 6
	v_dual_mov_b32 v13, v8 :: v_dual_and_b32 v8, 0x1ff8, v16
	v_lshlrev_b64_e32 v[4:5], 3, v[6:7]
	s_wait_alu 0xfffe
	s_delay_alu instid0(VALU_DEP_1) | instskip(SKIP_1) | instid1(VALU_DEP_2)
	v_add_co_u32 v6, vcc_lo, s26, v4
	s_wait_alu 0xfffd
	v_add_co_ci_u32_e64 v7, null, s27, v5, vcc_lo
	v_lshlrev_b64_e32 v[4:5], 3, v[12:13]
	s_delay_alu instid0(VALU_DEP_3) | instskip(SKIP_1) | instid1(VALU_DEP_3)
	v_add_co_u32 v33, vcc_lo, v6, v8
	s_wait_alu 0xfffd
	v_add_co_ci_u32_e64 v34, null, 0, v7, vcc_lo
	s_lshl_b64 s[26:27], s[34:35], 3
	v_add_co_u32 v4, vcc_lo, s16, v4
	s_wait_alu 0xfffd
	v_add_co_ci_u32_e64 v5, null, s17, v5, vcc_lo
	s_lshl_b64 s[16:17], s[36:37], 6
	v_add_co_u32 v35, vcc_lo, v4, v17
	s_wait_alu 0xfffd
	v_add_co_ci_u32_e64 v36, null, 0, v5, vcc_lo
	v_lshlrev_b64_e32 v[4:5], 3, v[10:11]
	s_branch .LBB225_4
.LBB225_2:                              ;   in Loop: Header=BB225_4 Depth=1
	s_wait_alu 0xfffe
	s_or_b32 exec_lo, exec_lo, s28
.LBB225_3:                              ;   in Loop: Header=BB225_4 Depth=1
	s_add_co_i32 s20, s20, 0x10000
	s_delay_alu instid0(SALU_CYCLE_1)
	s_cmp_lt_i32 s20, s30
	s_cbranch_scc0 .LBB225_35
.LBB225_4:                              ; =>This Loop Header: Depth=1
                                        ;     Child Loop BB225_7 Depth 2
	s_lshl_b64 s[28:29], s[20:21], 3
	s_and_not1_b32 vcc_lo, exec_lo, s33
	s_wait_alu 0xfffe
	s_add_nc_u64 s[34:35], s[42:43], s[28:29]
	s_add_nc_u64 s[36:37], s[48:49], s[28:29]
	s_clause 0x1
	global_load_b64 v[6:7], v28, s[34:35]
	global_load_b64 v[16:17], v28, s[36:37]
	s_cbranch_vccnz .LBB225_11
; %bb.5:                                ;   in Loop: Header=BB225_4 Depth=1
	s_add_nc_u64 s[34:35], s[18:19], s[28:29]
	s_add_nc_u64 s[28:29], s[12:13], s[28:29]
	s_clause 0x1
	global_load_b64 v[18:19], v28, s[34:35]
	global_load_b64 v[20:21], v28, s[28:29]
	v_mov_b32_e32 v8, 0
	v_dual_mov_b32 v12, 0 :: v_dual_mov_b32 v9, 0
	v_dual_mov_b32 v10, 0 :: v_dual_mov_b32 v13, 0
	;; [unrolled: 1-line block ×3, first 2 shown]
	v_mov_b32_e32 v15, 0
	s_mov_b64 s[28:29], 0
	s_wait_loadcnt 0x1
	v_add_co_u32 v18, vcc_lo, v18, v33
	s_wait_alu 0xfffd
	v_add_co_ci_u32_e64 v19, null, v19, v34, vcc_lo
	s_wait_loadcnt 0x0
	v_add_co_u32 v20, vcc_lo, v20, v35
	s_wait_alu 0xfffd
	v_add_co_ci_u32_e64 v21, null, v21, v36, vcc_lo
	s_branch .LBB225_7
.LBB225_6:                              ;   in Loop: Header=BB225_7 Depth=2
	s_wait_alu 0xfffe
	s_or_b32 exec_lo, exec_lo, s34
	s_wait_loadcnt_dscnt 0x0
	ds_store_b64 v30, v[24:25]
	s_wait_dscnt 0x0
	s_barrier_signal -1
	s_barrier_wait -1
	global_inv scope:SCOPE_SE
	ds_load_b128 v[22:25], v32
	ds_load_2addr_b64 v[37:40], v31 offset1:16
	ds_load_b128 v[41:44], v32 offset:1024
	ds_load_b128 v[45:48], v32 offset:16
	;; [unrolled: 1-line block ×3, first 2 shown]
	s_add_nc_u64 s[28:29], s[28:29], 8
	v_add_co_u32 v18, vcc_lo, v18, s16
	s_wait_alu 0xfffe
	v_cmp_lt_i64_e64 s34, s[28:29], s[8:9]
	s_wait_alu 0xfffd
	v_add_co_ci_u32_e64 v19, null, s17, v19, vcc_lo
	v_add_co_u32 v20, vcc_lo, v20, s14
	s_wait_alu 0xfffd
	v_add_co_ci_u32_e64 v21, null, s15, v21, vcc_lo
	s_and_b32 vcc_lo, exec_lo, s34
	s_wait_dscnt 0x3
	v_fma_f64 v[14:15], v[37:38], v[22:23], v[14:15]
	v_fma_f64 v[12:13], v[39:40], v[22:23], v[12:13]
	s_wait_dscnt 0x2
	v_fma_f64 v[22:23], v[37:38], v[41:42], v[10:11]
	v_fma_f64 v[37:38], v[39:40], v[41:42], v[8:9]
	ds_load_2addr_b64 v[8:11], v31 offset0:32 offset1:48
	s_wait_dscnt 0x0
	v_fma_f64 v[14:15], v[8:9], v[24:25], v[14:15]
	v_fma_f64 v[12:13], v[10:11], v[24:25], v[12:13]
	v_fma_f64 v[22:23], v[8:9], v[43:44], v[22:23]
	v_fma_f64 v[24:25], v[10:11], v[43:44], v[37:38]
	ds_load_2addr_b64 v[8:11], v31 offset0:64 offset1:80
	s_wait_dscnt 0x0
	v_fma_f64 v[14:15], v[8:9], v[45:46], v[14:15]
	v_fma_f64 v[12:13], v[10:11], v[45:46], v[12:13]
	;; [unrolled: 6-line block ×3, first 2 shown]
	v_fma_f64 v[49:50], v[8:9], v[51:52], v[22:23]
	v_fma_f64 v[51:52], v[10:11], v[51:52], v[24:25]
	ds_load_b128 v[8:11], v32 offset:32
	ds_load_2addr_b64 v[12:15], v31 offset0:128 offset1:144
	ds_load_b128 v[22:25], v32 offset:1056
	ds_load_b128 v[37:40], v32 offset:48
	;; [unrolled: 1-line block ×3, first 2 shown]
	s_wait_dscnt 0x3
	v_fma_f64 v[45:46], v[12:13], v[8:9], v[45:46]
	v_fma_f64 v[8:9], v[14:15], v[8:9], v[47:48]
	s_wait_dscnt 0x2
	v_fma_f64 v[47:48], v[12:13], v[22:23], v[49:50]
	v_fma_f64 v[22:23], v[14:15], v[22:23], v[51:52]
	ds_load_2addr_b64 v[12:15], v31 offset0:160 offset1:176
	s_wait_dscnt 0x0
	v_fma_f64 v[45:46], v[12:13], v[10:11], v[45:46]
	v_fma_f64 v[49:50], v[14:15], v[10:11], v[8:9]
	;; [unrolled: 1-line block ×4, first 2 shown]
	ds_load_2addr_b64 v[8:11], v31 offset0:192 offset1:208
	ds_load_2addr_b64 v[22:25], v31 offset0:224 offset1:240
	s_wait_loadcnt_dscnt 0x0
	s_barrier_signal -1
	s_barrier_wait -1
	global_inv scope:SCOPE_SE
	v_fma_f64 v[45:46], v[8:9], v[37:38], v[45:46]
	v_fma_f64 v[37:38], v[10:11], v[37:38], v[49:50]
	;; [unrolled: 1-line block ×4, first 2 shown]
	s_delay_alu instid0(VALU_DEP_4) | instskip(NEXT) | instid1(VALU_DEP_4)
	v_fma_f64 v[14:15], v[22:23], v[39:40], v[45:46]
	v_fma_f64 v[12:13], v[24:25], v[39:40], v[37:38]
	s_delay_alu instid0(VALU_DEP_4) | instskip(NEXT) | instid1(VALU_DEP_4)
	v_fma_f64 v[10:11], v[22:23], v[43:44], v[8:9]
	v_fma_f64 v[8:9], v[24:25], v[43:44], v[41:42]
	s_wait_alu 0xfffe
	s_cbranch_vccz .LBB225_12
.LBB225_7:                              ;   Parent Loop BB225_4 Depth=1
                                        ; =>  This Inner Loop Header: Depth=2
	s_wait_alu 0xfffe
	v_add_co_u32 v22, s34, v27, s28
	s_wait_alu 0xf1ff
	v_add_co_ci_u32_e64 v23, null, 0, s29, s34
	s_delay_alu instid0(VALU_DEP_1)
	v_cmp_gt_i64_e32 vcc_lo, s[8:9], v[22:23]
	v_mov_b32_e32 v22, 0
	v_mov_b32_e32 v23, 0
	s_and_b32 s35, s0, vcc_lo
	s_wait_alu 0xfffe
	s_and_saveexec_b32 s34, s35
	s_cbranch_execz .LBB225_9
; %bb.8:                                ;   in Loop: Header=BB225_7 Depth=2
	flat_load_b64 v[22:23], v[20:21]
.LBB225_9:                              ;   in Loop: Header=BB225_7 Depth=2
	s_wait_alu 0xfffe
	s_or_b32 exec_lo, exec_lo, s34
	v_add_co_u32 v24, s34, v26, s28
	s_wait_alu 0xf1ff
	v_add_co_ci_u32_e64 v25, null, 0, s29, s34
	s_wait_loadcnt_dscnt 0x0
	ds_store_b64 v29, v[22:23]
	v_cmp_gt_i64_e32 vcc_lo, s[8:9], v[24:25]
	v_mov_b32_e32 v24, 0
	v_mov_b32_e32 v25, 0
	s_and_b32 s35, vcc_lo, s1
	s_wait_alu 0xfffe
	s_and_saveexec_b32 s34, s35
	s_cbranch_execz .LBB225_6
; %bb.10:                               ;   in Loop: Header=BB225_7 Depth=2
	flat_load_b64 v[24:25], v[18:19]
	s_branch .LBB225_6
.LBB225_11:                             ;   in Loop: Header=BB225_4 Depth=1
	v_mov_b32_e32 v14, 0
	v_dual_mov_b32 v10, 0 :: v_dual_mov_b32 v15, 0
	v_dual_mov_b32 v12, 0 :: v_dual_mov_b32 v11, 0
	;; [unrolled: 1-line block ×3, first 2 shown]
	v_mov_b32_e32 v9, 0
.LBB225_12:                             ;   in Loop: Header=BB225_4 Depth=1
	s_wait_loadcnt 0x0
	v_add_co_u32 v18, vcc_lo, v16, s22
	s_wait_alu 0xfffd
	v_add_co_ci_u32_e64 v19, null, s23, v17, vcc_lo
	s_and_not1_b32 vcc_lo, exec_lo, s31
	s_wait_alu 0xfffe
	s_cbranch_vccnz .LBB225_17
; %bb.13:                               ;   in Loop: Header=BB225_4 Depth=1
	s_and_saveexec_b32 s28, s2
	s_cbranch_execz .LBB225_24
; %bb.14:                               ;   in Loop: Header=BB225_4 Depth=1
	v_lshlrev_b64_e32 v[16:17], 3, v[2:3]
	s_delay_alu instid0(VALU_DEP_1) | instskip(SKIP_1) | instid1(VALU_DEP_2)
	v_add_co_u32 v16, vcc_lo, v18, v16
	s_wait_alu 0xfffd
	v_add_co_ci_u32_e64 v17, null, v19, v17, vcc_lo
	s_and_saveexec_b32 s29, s3
	s_cbranch_execnz .LBB225_18
; %bb.15:                               ;   in Loop: Header=BB225_4 Depth=1
	s_wait_alu 0xfffe
	s_or_b32 exec_lo, exec_lo, s29
	s_and_saveexec_b32 s29, s4
	s_cbranch_execnz .LBB225_19
.LBB225_16:                             ;   in Loop: Header=BB225_4 Depth=1
	s_wait_alu 0xfffe
	s_or_b32 exec_lo, exec_lo, s29
	s_delay_alu instid0(SALU_CYCLE_1)
	s_and_b32 exec_lo, exec_lo, s5
	s_cbranch_execnz .LBB225_20
	s_branch .LBB225_24
.LBB225_17:                             ;   in Loop: Header=BB225_4 Depth=1
	s_branch .LBB225_25
.LBB225_18:                             ;   in Loop: Header=BB225_4 Depth=1
	v_mul_f64_e32 v[20:21], s[10:11], v[14:15]
	v_lshlrev_b64_e32 v[22:23], 3, v[0:1]
	s_delay_alu instid0(VALU_DEP_1) | instskip(SKIP_1) | instid1(VALU_DEP_2)
	v_add_co_u32 v22, vcc_lo, v16, v22
	s_wait_alu 0xfffd
	v_add_co_ci_u32_e64 v23, null, v17, v23, vcc_lo
	flat_store_b64 v[22:23], v[20:21]
	s_wait_alu 0xfffe
	s_or_b32 exec_lo, exec_lo, s29
	s_and_saveexec_b32 s29, s4
	s_cbranch_execz .LBB225_16
.LBB225_19:                             ;   in Loop: Header=BB225_4 Depth=1
	v_mul_f64_e32 v[20:21], s[10:11], v[12:13]
	v_lshlrev_b64_e32 v[22:23], 3, v[0:1]
	s_delay_alu instid0(VALU_DEP_1) | instskip(SKIP_1) | instid1(VALU_DEP_2)
	v_add_co_u32 v22, vcc_lo, v16, v22
	s_wait_alu 0xfffd
	v_add_co_ci_u32_e64 v23, null, v17, v23, vcc_lo
	flat_store_b64 v[22:23], v[20:21] offset:128
	s_wait_alu 0xfffe
	s_or_b32 exec_lo, exec_lo, s29
	s_delay_alu instid0(SALU_CYCLE_1)
	s_and_b32 exec_lo, exec_lo, s5
	s_cbranch_execz .LBB225_24
.LBB225_20:                             ;   in Loop: Header=BB225_4 Depth=1
	s_lshl_b64 s[34:35], s[6:7], 3
	v_lshlrev_b64_e32 v[20:21], 3, v[0:1]
	s_wait_alu 0xfffe
	v_add_co_u32 v16, vcc_lo, v16, s34
	s_wait_alu 0xfffd
	v_add_co_ci_u32_e64 v17, null, s35, v17, vcc_lo
	s_delay_alu instid0(VALU_DEP_2) | instskip(SKIP_1) | instid1(VALU_DEP_2)
	v_add_co_u32 v16, vcc_lo, v16, v20
	s_wait_alu 0xfffd
	v_add_co_ci_u32_e64 v17, null, v17, v21, vcc_lo
	s_and_saveexec_b32 s29, s3
	s_cbranch_execz .LBB225_22
; %bb.21:                               ;   in Loop: Header=BB225_4 Depth=1
	v_mul_f64_e32 v[20:21], s[10:11], v[10:11]
	flat_store_b64 v[16:17], v[20:21]
.LBB225_22:                             ;   in Loop: Header=BB225_4 Depth=1
	s_wait_alu 0xfffe
	s_or_b32 exec_lo, exec_lo, s29
	s_delay_alu instid0(SALU_CYCLE_1)
	s_and_b32 exec_lo, exec_lo, s4
	s_cbranch_execz .LBB225_24
; %bb.23:                               ;   in Loop: Header=BB225_4 Depth=1
	v_mul_f64_e32 v[20:21], s[10:11], v[8:9]
	flat_store_b64 v[16:17], v[20:21] offset:128
.LBB225_24:                             ;   in Loop: Header=BB225_4 Depth=1
	s_wait_alu 0xfffe
	s_or_b32 exec_lo, exec_lo, s28
	s_cbranch_execnz .LBB225_3
.LBB225_25:                             ;   in Loop: Header=BB225_4 Depth=1
	s_and_saveexec_b32 s28, s2
	s_cbranch_execz .LBB225_2
; %bb.26:                               ;   in Loop: Header=BB225_4 Depth=1
	v_add_co_u32 v6, vcc_lo, v6, s24
	v_lshlrev_b64_e32 v[20:21], 3, v[2:3]
	s_wait_alu 0xfffd
	v_add_co_ci_u32_e64 v7, null, s25, v7, vcc_lo
	s_delay_alu instid0(VALU_DEP_3) | instskip(SKIP_1) | instid1(VALU_DEP_2)
	v_add_co_u32 v16, vcc_lo, v6, v4
	s_wait_alu 0xfffd
	v_add_co_ci_u32_e64 v17, null, v7, v5, vcc_lo
	v_add_co_u32 v18, vcc_lo, v18, v20
	v_lshlrev_b64_e32 v[6:7], 3, v[0:1]
	s_wait_alu 0xfffd
	v_add_co_ci_u32_e64 v19, null, v19, v21, vcc_lo
	s_and_saveexec_b32 s29, s3
	s_cbranch_execnz .LBB225_29
; %bb.27:                               ;   in Loop: Header=BB225_4 Depth=1
	s_wait_alu 0xfffe
	s_or_b32 exec_lo, exec_lo, s29
	s_and_saveexec_b32 s29, s4
	s_cbranch_execnz .LBB225_30
.LBB225_28:                             ;   in Loop: Header=BB225_4 Depth=1
	s_wait_alu 0xfffe
	s_or_b32 exec_lo, exec_lo, s29
	s_delay_alu instid0(SALU_CYCLE_1)
	s_and_b32 exec_lo, exec_lo, s5
	s_cbranch_execz .LBB225_2
	s_branch .LBB225_31
.LBB225_29:                             ;   in Loop: Header=BB225_4 Depth=1
	v_add_co_u32 v20, vcc_lo, v16, v6
	s_wait_alu 0xfffd
	v_add_co_ci_u32_e64 v21, null, v17, v7, vcc_lo
	flat_load_b64 v[20:21], v[20:21]
	s_wait_loadcnt_dscnt 0x0
	v_mul_f64_e32 v[20:21], s[40:41], v[20:21]
	s_delay_alu instid0(VALU_DEP_1)
	v_fma_f64 v[14:15], s[10:11], v[14:15], v[20:21]
	v_add_co_u32 v20, vcc_lo, v18, v6
	s_wait_alu 0xfffd
	v_add_co_ci_u32_e64 v21, null, v19, v7, vcc_lo
	flat_store_b64 v[20:21], v[14:15]
	s_wait_alu 0xfffe
	s_or_b32 exec_lo, exec_lo, s29
	s_and_saveexec_b32 s29, s4
	s_cbranch_execz .LBB225_28
.LBB225_30:                             ;   in Loop: Header=BB225_4 Depth=1
	v_add_co_u32 v14, vcc_lo, v16, v6
	s_wait_alu 0xfffd
	v_add_co_ci_u32_e64 v15, null, v17, v7, vcc_lo
	flat_load_b64 v[14:15], v[14:15] offset:128
	s_wait_loadcnt_dscnt 0x0
	v_mul_f64_e32 v[14:15], s[40:41], v[14:15]
	s_delay_alu instid0(VALU_DEP_1)
	v_fma_f64 v[12:13], s[10:11], v[12:13], v[14:15]
	v_add_co_u32 v14, vcc_lo, v18, v6
	s_wait_alu 0xfffd
	v_add_co_ci_u32_e64 v15, null, v19, v7, vcc_lo
	flat_store_b64 v[14:15], v[12:13] offset:128
	s_wait_alu 0xfffe
	s_or_b32 exec_lo, exec_lo, s29
	s_delay_alu instid0(SALU_CYCLE_1)
	s_and_b32 exec_lo, exec_lo, s5
	s_cbranch_execz .LBB225_2
.LBB225_31:                             ;   in Loop: Header=BB225_4 Depth=1
	v_add_co_u32 v12, vcc_lo, v16, s26
	s_lshl_b64 s[34:35], s[6:7], 3
	s_wait_alu 0xfffd
	v_add_co_ci_u32_e64 v13, null, s27, v17, vcc_lo
	s_wait_alu 0xfffe
	v_add_co_u32 v14, vcc_lo, v18, s34
	s_wait_alu 0xfffd
	v_add_co_ci_u32_e64 v15, null, s35, v19, vcc_lo
	v_add_co_u32 v12, vcc_lo, v12, v6
	s_wait_alu 0xfffd
	v_add_co_ci_u32_e64 v13, null, v13, v7, vcc_lo
	;; [unrolled: 3-line block ×3, first 2 shown]
	s_and_saveexec_b32 s29, s3
	s_cbranch_execz .LBB225_33
; %bb.32:                               ;   in Loop: Header=BB225_4 Depth=1
	flat_load_b64 v[14:15], v[12:13]
	s_wait_loadcnt_dscnt 0x0
	v_mul_f64_e32 v[14:15], s[40:41], v[14:15]
	s_delay_alu instid0(VALU_DEP_1)
	v_fma_f64 v[10:11], s[10:11], v[10:11], v[14:15]
	flat_store_b64 v[6:7], v[10:11]
.LBB225_33:                             ;   in Loop: Header=BB225_4 Depth=1
	s_wait_alu 0xfffe
	s_or_b32 exec_lo, exec_lo, s29
	s_delay_alu instid0(SALU_CYCLE_1)
	s_and_b32 exec_lo, exec_lo, s4
	s_cbranch_execz .LBB225_2
; %bb.34:                               ;   in Loop: Header=BB225_4 Depth=1
	flat_load_b64 v[10:11], v[12:13] offset:128
	s_wait_loadcnt_dscnt 0x0
	v_mul_f64_e32 v[10:11], s[40:41], v[10:11]
	s_delay_alu instid0(VALU_DEP_1)
	v_fma_f64 v[8:9], s[10:11], v[8:9], v[10:11]
	flat_store_b64 v[6:7], v[8:9] offset:128
	s_branch .LBB225_2
.LBB225_35:
	s_endpgm
	.section	.rodata,"a",@progbits
	.p2align	6, 0x0
	.amdhsa_kernel _ZN12_GLOBAL__N_135rocblas_gemm_batched_general_kernelIdLi16ELi16ELi32ELi32ELi8ELi32ELi8ELi8ELi32ELc78ELc84EKPKdS3_KPdEEvlllT_PT11_llS8_llS6_PT12_llPT13_lli
		.amdhsa_group_segment_fixed_size 4096
		.amdhsa_private_segment_fixed_size 0
		.amdhsa_kernarg_size 140
		.amdhsa_user_sgpr_count 2
		.amdhsa_user_sgpr_dispatch_ptr 0
		.amdhsa_user_sgpr_queue_ptr 0
		.amdhsa_user_sgpr_kernarg_segment_ptr 1
		.amdhsa_user_sgpr_dispatch_id 0
		.amdhsa_user_sgpr_private_segment_size 0
		.amdhsa_wavefront_size32 1
		.amdhsa_uses_dynamic_stack 0
		.amdhsa_enable_private_segment 0
		.amdhsa_system_sgpr_workgroup_id_x 1
		.amdhsa_system_sgpr_workgroup_id_y 1
		.amdhsa_system_sgpr_workgroup_id_z 1
		.amdhsa_system_sgpr_workgroup_info 0
		.amdhsa_system_vgpr_workitem_id 1
		.amdhsa_next_free_vgpr 53
		.amdhsa_next_free_sgpr 52
		.amdhsa_reserve_vcc 1
		.amdhsa_float_round_mode_32 0
		.amdhsa_float_round_mode_16_64 0
		.amdhsa_float_denorm_mode_32 3
		.amdhsa_float_denorm_mode_16_64 3
		.amdhsa_fp16_overflow 0
		.amdhsa_workgroup_processor_mode 1
		.amdhsa_memory_ordered 1
		.amdhsa_forward_progress 1
		.amdhsa_inst_pref_size 20
		.amdhsa_round_robin_scheduling 0
		.amdhsa_exception_fp_ieee_invalid_op 0
		.amdhsa_exception_fp_denorm_src 0
		.amdhsa_exception_fp_ieee_div_zero 0
		.amdhsa_exception_fp_ieee_overflow 0
		.amdhsa_exception_fp_ieee_underflow 0
		.amdhsa_exception_fp_ieee_inexact 0
		.amdhsa_exception_int_div_zero 0
	.end_amdhsa_kernel
	.section	.text._ZN12_GLOBAL__N_135rocblas_gemm_batched_general_kernelIdLi16ELi16ELi32ELi32ELi8ELi32ELi8ELi8ELi32ELc78ELc84EKPKdS3_KPdEEvlllT_PT11_llS8_llS6_PT12_llPT13_lli,"axG",@progbits,_ZN12_GLOBAL__N_135rocblas_gemm_batched_general_kernelIdLi16ELi16ELi32ELi32ELi8ELi32ELi8ELi8ELi32ELc78ELc84EKPKdS3_KPdEEvlllT_PT11_llS8_llS6_PT12_llPT13_lli,comdat
.Lfunc_end225:
	.size	_ZN12_GLOBAL__N_135rocblas_gemm_batched_general_kernelIdLi16ELi16ELi32ELi32ELi8ELi32ELi8ELi8ELi32ELc78ELc84EKPKdS3_KPdEEvlllT_PT11_llS8_llS6_PT12_llPT13_lli, .Lfunc_end225-_ZN12_GLOBAL__N_135rocblas_gemm_batched_general_kernelIdLi16ELi16ELi32ELi32ELi8ELi32ELi8ELi8ELi32ELc78ELc84EKPKdS3_KPdEEvlllT_PT11_llS8_llS6_PT12_llPT13_lli
                                        ; -- End function
	.set _ZN12_GLOBAL__N_135rocblas_gemm_batched_general_kernelIdLi16ELi16ELi32ELi32ELi8ELi32ELi8ELi8ELi32ELc78ELc84EKPKdS3_KPdEEvlllT_PT11_llS8_llS6_PT12_llPT13_lli.num_vgpr, 53
	.set _ZN12_GLOBAL__N_135rocblas_gemm_batched_general_kernelIdLi16ELi16ELi32ELi32ELi8ELi32ELi8ELi8ELi32ELc78ELc84EKPKdS3_KPdEEvlllT_PT11_llS8_llS6_PT12_llPT13_lli.num_agpr, 0
	.set _ZN12_GLOBAL__N_135rocblas_gemm_batched_general_kernelIdLi16ELi16ELi32ELi32ELi8ELi32ELi8ELi8ELi32ELc78ELc84EKPKdS3_KPdEEvlllT_PT11_llS8_llS6_PT12_llPT13_lli.numbered_sgpr, 52
	.set _ZN12_GLOBAL__N_135rocblas_gemm_batched_general_kernelIdLi16ELi16ELi32ELi32ELi8ELi32ELi8ELi8ELi32ELc78ELc84EKPKdS3_KPdEEvlllT_PT11_llS8_llS6_PT12_llPT13_lli.num_named_barrier, 0
	.set _ZN12_GLOBAL__N_135rocblas_gemm_batched_general_kernelIdLi16ELi16ELi32ELi32ELi8ELi32ELi8ELi8ELi32ELc78ELc84EKPKdS3_KPdEEvlllT_PT11_llS8_llS6_PT12_llPT13_lli.private_seg_size, 0
	.set _ZN12_GLOBAL__N_135rocblas_gemm_batched_general_kernelIdLi16ELi16ELi32ELi32ELi8ELi32ELi8ELi8ELi32ELc78ELc84EKPKdS3_KPdEEvlllT_PT11_llS8_llS6_PT12_llPT13_lli.uses_vcc, 1
	.set _ZN12_GLOBAL__N_135rocblas_gemm_batched_general_kernelIdLi16ELi16ELi32ELi32ELi8ELi32ELi8ELi8ELi32ELc78ELc84EKPKdS3_KPdEEvlllT_PT11_llS8_llS6_PT12_llPT13_lli.uses_flat_scratch, 0
	.set _ZN12_GLOBAL__N_135rocblas_gemm_batched_general_kernelIdLi16ELi16ELi32ELi32ELi8ELi32ELi8ELi8ELi32ELc78ELc84EKPKdS3_KPdEEvlllT_PT11_llS8_llS6_PT12_llPT13_lli.has_dyn_sized_stack, 0
	.set _ZN12_GLOBAL__N_135rocblas_gemm_batched_general_kernelIdLi16ELi16ELi32ELi32ELi8ELi32ELi8ELi8ELi32ELc78ELc84EKPKdS3_KPdEEvlllT_PT11_llS8_llS6_PT12_llPT13_lli.has_recursion, 0
	.set _ZN12_GLOBAL__N_135rocblas_gemm_batched_general_kernelIdLi16ELi16ELi32ELi32ELi8ELi32ELi8ELi8ELi32ELc78ELc84EKPKdS3_KPdEEvlllT_PT11_llS8_llS6_PT12_llPT13_lli.has_indirect_call, 0
	.section	.AMDGPU.csdata,"",@progbits
; Kernel info:
; codeLenInByte = 2484
; TotalNumSgprs: 54
; NumVgprs: 53
; ScratchSize: 0
; MemoryBound: 0
; FloatMode: 240
; IeeeMode: 1
; LDSByteSize: 4096 bytes/workgroup (compile time only)
; SGPRBlocks: 0
; VGPRBlocks: 6
; NumSGPRsForWavesPerEU: 54
; NumVGPRsForWavesPerEU: 53
; Occupancy: 16
; WaveLimiterHint : 1
; COMPUTE_PGM_RSRC2:SCRATCH_EN: 0
; COMPUTE_PGM_RSRC2:USER_SGPR: 2
; COMPUTE_PGM_RSRC2:TRAP_HANDLER: 0
; COMPUTE_PGM_RSRC2:TGID_X_EN: 1
; COMPUTE_PGM_RSRC2:TGID_Y_EN: 1
; COMPUTE_PGM_RSRC2:TGID_Z_EN: 1
; COMPUTE_PGM_RSRC2:TIDIG_COMP_CNT: 1
	.section	.text._ZN12_GLOBAL__N_135rocblas_gemm_batched_general_kernelIdLi16ELi16ELi32ELi32ELi8ELi32ELi8ELi8ELi32ELc84ELc84EKPKdS3_KPdEEvlllT_PT11_llS8_llS6_PT12_llPT13_lli,"axG",@progbits,_ZN12_GLOBAL__N_135rocblas_gemm_batched_general_kernelIdLi16ELi16ELi32ELi32ELi8ELi32ELi8ELi8ELi32ELc84ELc84EKPKdS3_KPdEEvlllT_PT11_llS8_llS6_PT12_llPT13_lli,comdat
	.globl	_ZN12_GLOBAL__N_135rocblas_gemm_batched_general_kernelIdLi16ELi16ELi32ELi32ELi8ELi32ELi8ELi8ELi32ELc84ELc84EKPKdS3_KPdEEvlllT_PT11_llS8_llS6_PT12_llPT13_lli ; -- Begin function _ZN12_GLOBAL__N_135rocblas_gemm_batched_general_kernelIdLi16ELi16ELi32ELi32ELi8ELi32ELi8ELi8ELi32ELc84ELc84EKPKdS3_KPdEEvlllT_PT11_llS8_llS6_PT12_llPT13_lli
	.p2align	8
	.type	_ZN12_GLOBAL__N_135rocblas_gemm_batched_general_kernelIdLi16ELi16ELi32ELi32ELi8ELi32ELi8ELi8ELi32ELc84ELc84EKPKdS3_KPdEEvlllT_PT11_llS8_llS6_PT12_llPT13_lli,@function
_ZN12_GLOBAL__N_135rocblas_gemm_batched_general_kernelIdLi16ELi16ELi32ELi32ELi8ELi32ELi8ELi8ELi32ELc84ELc84EKPKdS3_KPdEEvlllT_PT11_llS8_llS6_PT12_llPT13_lli: ; @_ZN12_GLOBAL__N_135rocblas_gemm_batched_general_kernelIdLi16ELi16ELi32ELi32ELi8ELi32ELi8ELi8ELi32ELc84ELc84EKPKdS3_KPdEEvlllT_PT11_llS8_llS6_PT12_llPT13_lli
; %bb.0:
	s_load_b32 s28, s[0:1], 0x88
	s_lshr_b32 s20, ttmp7, 16
	s_wait_kmcnt 0x0
	s_cmp_ge_i32 s20, s28
	s_cbranch_scc1 .LBB226_35
; %bb.1:
	s_clause 0x1
	s_load_b512 s[4:19], s[0:1], 0x0
	s_load_b512 s[36:51], s[0:1], 0x40
	v_bfe_u32 v2, v0, 10, 10
	v_dual_mov_b32 v28, 0 :: v_dual_and_b32 v3, 0x3ff, v0
	s_mov_b32 s2, ttmp9
	s_ashr_i32 s3, ttmp9, 31
	s_and_b32 s30, ttmp7, 0xffff
	s_delay_alu instid0(VALU_DEP_1) | instskip(SKIP_1) | instid1(SALU_CYCLE_1)
	v_lshl_add_u32 v18, v2, 4, v3
	s_lshl_b64 s[24:25], s[2:3], 5
	v_dual_mov_b32 v5, s25 :: v_dual_and_b32 v26, 7, v0
	s_lshl_b32 s2, s30, 5
	s_delay_alu instid0(VALU_DEP_2)
	v_and_b32_e32 v0, 31, v18
	v_lshrrev_b32_e32 v6, 3, v18
	s_load_b64 s[22:23], s[0:1], 0x80
	v_lshl_add_u32 v32, v2, 6, 0x800
	v_lshrrev_b32_e32 v27, 5, v18
	v_or_b32_e32 v4, s24, v0
	v_lshlrev_b32_e32 v31, 3, v3
	s_mov_b32 s21, 0
	s_wait_kmcnt 0x0
	v_mad_co_u64_u32 v[9:10], null, s36, v26, 0
	v_lshlrev_b32_e32 v7, 3, v0
	v_add_co_u32 v0, s0, v6, s2
	s_delay_alu instid0(VALU_DEP_1) | instskip(SKIP_2) | instid1(VALU_DEP_3)
	v_add_co_ci_u32_e64 v1, null, 0, 0, s0
	v_cmp_gt_i64_e64 s0, s[4:5], v[4:5]
	v_add_co_u32 v5, s2, s2, v2
	v_cmp_gt_i64_e64 s1, s[6:7], v[0:1]
	v_add_co_u32 v2, s3, s24, v3
	s_delay_alu instid0(VALU_DEP_3)
	v_mad_co_u64_u32 v[0:1], null, v5, s50, 0
	v_lshl_or_b32 v29, v27, 8, v7
	s_wait_alu 0xf1ff
	v_add_co_ci_u32_e64 v3, null, s25, 0, s3
	v_add_co_u32 v11, vcc_lo, v2, 16
	v_cmp_eq_f64_e64 s29, s[40:41], 0
	v_mad_co_u64_u32 v[13:14], null, v5, s51, v[1:2]
	v_lshlrev_b32_e32 v8, 3, v26
	v_add_co_ci_u32_e64 v12, null, 0, v3, vcc_lo
	v_add_co_u32 v14, vcc_lo, v5, 16
	s_delay_alu instid0(VALU_DEP_3) | instskip(SKIP_3) | instid1(VALU_DEP_4)
	v_lshl_or_b32 v6, v6, 6, v8
	v_mad_co_u64_u32 v[7:8], null, v5, s44, 0
	v_cmp_gt_i64_e64 s3, s[4:5], v[2:3]
	v_cmp_gt_i64_e64 s4, s[4:5], v[11:12]
	v_add_nc_u32_e32 v30, 0x800, v6
	v_add_co_ci_u32_e64 v6, null, 0, 0, s2
	s_lshl_b32 s30, s30, 8
	v_dual_mov_b32 v1, v8 :: v_dual_mov_b32 v8, v10
	v_cmp_gt_i64_e64 s2, s[6:7], v[5:6]
	s_wait_alu 0xfffd
	v_add_co_ci_u32_e64 v15, null, 0, v6, vcc_lo
	s_delay_alu instid0(VALU_DEP_3)
	v_mad_co_u64_u32 v[5:6], null, v5, s45, v[1:2]
	v_mad_co_u64_u32 v[16:17], null, s37, v26, v[8:9]
	v_mul_lo_u32 v6, s15, v4
	v_and_b32_e32 v11, 0x1ff8, v18
	s_mov_b32 s31, s21
	s_lshl_b64 s[34:35], s[38:39], 3
	s_delay_alu instid0(VALU_DEP_4)
	v_mov_b32_e32 v8, v5
	v_mad_co_u64_u32 v[4:5], null, s14, v4, 0
	v_mov_b32_e32 v10, v16
	s_mul_i32 s14, s14, s25
	s_add_nc_u64 s[30:31], s[34:35], s[30:31]
	v_cmp_gt_i64_e64 s5, s[6:7], v[14:15]
	v_mov_b32_e32 v1, v13
	v_lshlrev_b64_e32 v[9:10], 3, v[9:10]
	s_wait_alu 0xfffe
	v_add3_u32 v5, v5, s14, v6
	s_lshl_b64 s[14:15], s[16:17], 3
	s_lshl_b64 s[26:27], s[44:45], 4
	;; [unrolled: 1-line block ×4, first 2 shown]
	v_add_co_u32 v6, vcc_lo, s30, v9
	v_lshlrev_b64_e32 v[4:5], 3, v[4:5]
	s_wait_alu 0xfffd
	v_add_co_ci_u32_e64 v9, null, s31, v10, vcc_lo
	s_delay_alu instid0(VALU_DEP_3) | instskip(SKIP_2) | instid1(VALU_DEP_3)
	v_add_co_u32 v33, vcc_lo, v6, v11
	v_lshlrev_b32_e32 v6, 3, v27
	s_wait_alu 0xfffd
	v_add_co_ci_u32_e64 v34, null, 0, v9, vcc_lo
	s_wait_alu 0xfffe
	v_add_co_u32 v4, vcc_lo, v4, s14
	s_wait_alu 0xfffd
	v_add_co_ci_u32_e64 v5, null, s15, v5, vcc_lo
	v_cmp_gt_i64_e64 s30, s[8:9], 0
	s_delay_alu instid0(VALU_DEP_3) | instskip(SKIP_1) | instid1(VALU_DEP_3)
	v_add_co_u32 v35, vcc_lo, v4, v6
	s_wait_alu 0xfffd
	v_add_co_ci_u32_e64 v36, null, 0, v5, vcc_lo
	v_lshlrev_b64_e32 v[4:5], 3, v[7:8]
	s_lshl_b64 s[14:15], s[36:37], 6
	s_lshl_b64 s[22:23], s[46:47], 3
	;; [unrolled: 1-line block ×3, first 2 shown]
	s_branch .LBB226_4
.LBB226_2:                              ;   in Loop: Header=BB226_4 Depth=1
	s_wait_alu 0xfffe
	s_or_b32 exec_lo, exec_lo, s26
.LBB226_3:                              ;   in Loop: Header=BB226_4 Depth=1
	s_add_co_i32 s20, s20, 0x10000
	s_delay_alu instid0(SALU_CYCLE_1)
	s_cmp_lt_i32 s20, s28
	s_cbranch_scc0 .LBB226_35
.LBB226_4:                              ; =>This Loop Header: Depth=1
                                        ;     Child Loop BB226_7 Depth 2
	s_lshl_b64 s[26:27], s[20:21], 3
	s_and_not1_b32 vcc_lo, exec_lo, s30
	s_wait_alu 0xfffe
	s_add_nc_u64 s[34:35], s[42:43], s[26:27]
	s_add_nc_u64 s[36:37], s[48:49], s[26:27]
	s_clause 0x1
	global_load_b64 v[6:7], v28, s[34:35]
	global_load_b64 v[16:17], v28, s[36:37]
	s_cbranch_vccnz .LBB226_11
; %bb.5:                                ;   in Loop: Header=BB226_4 Depth=1
	s_add_nc_u64 s[34:35], s[18:19], s[26:27]
	s_add_nc_u64 s[26:27], s[12:13], s[26:27]
	s_clause 0x1
	global_load_b64 v[18:19], v28, s[34:35]
	global_load_b64 v[20:21], v28, s[26:27]
	v_mov_b32_e32 v8, 0
	v_dual_mov_b32 v12, 0 :: v_dual_mov_b32 v9, 0
	v_dual_mov_b32 v10, 0 :: v_dual_mov_b32 v13, 0
	;; [unrolled: 1-line block ×3, first 2 shown]
	v_mov_b32_e32 v15, 0
	s_mov_b64 s[26:27], 0
	s_wait_loadcnt 0x1
	v_add_co_u32 v18, vcc_lo, v18, v33
	s_wait_alu 0xfffd
	v_add_co_ci_u32_e64 v19, null, v19, v34, vcc_lo
	s_wait_loadcnt 0x0
	v_add_co_u32 v20, vcc_lo, v20, v35
	s_wait_alu 0xfffd
	v_add_co_ci_u32_e64 v21, null, v21, v36, vcc_lo
	s_branch .LBB226_7
.LBB226_6:                              ;   in Loop: Header=BB226_7 Depth=2
	s_wait_alu 0xfffe
	s_or_b32 exec_lo, exec_lo, s31
	s_wait_loadcnt_dscnt 0x0
	ds_store_b64 v30, v[24:25]
	s_wait_dscnt 0x0
	s_barrier_signal -1
	s_barrier_wait -1
	global_inv scope:SCOPE_SE
	ds_load_b128 v[22:25], v32
	ds_load_2addr_b64 v[37:40], v31 offset1:16
	ds_load_b128 v[41:44], v32 offset:1024
	ds_load_b128 v[45:48], v32 offset:16
	;; [unrolled: 1-line block ×3, first 2 shown]
	s_add_nc_u64 s[26:27], s[26:27], 8
	v_add_co_u32 v18, vcc_lo, v18, s14
	s_wait_alu 0xfffe
	v_cmp_lt_i64_e64 s31, s[26:27], s[8:9]
	s_wait_alu 0xfffd
	v_add_co_ci_u32_e64 v19, null, s15, v19, vcc_lo
	v_add_co_u32 v20, vcc_lo, v20, 64
	s_wait_alu 0xfffd
	v_add_co_ci_u32_e64 v21, null, 0, v21, vcc_lo
	s_and_b32 vcc_lo, exec_lo, s31
	s_wait_dscnt 0x3
	v_fma_f64 v[14:15], v[37:38], v[22:23], v[14:15]
	v_fma_f64 v[12:13], v[39:40], v[22:23], v[12:13]
	s_wait_dscnt 0x2
	v_fma_f64 v[22:23], v[37:38], v[41:42], v[10:11]
	v_fma_f64 v[37:38], v[39:40], v[41:42], v[8:9]
	ds_load_2addr_b64 v[8:11], v31 offset0:32 offset1:48
	s_wait_dscnt 0x0
	v_fma_f64 v[14:15], v[8:9], v[24:25], v[14:15]
	v_fma_f64 v[12:13], v[10:11], v[24:25], v[12:13]
	v_fma_f64 v[22:23], v[8:9], v[43:44], v[22:23]
	v_fma_f64 v[24:25], v[10:11], v[43:44], v[37:38]
	ds_load_2addr_b64 v[8:11], v31 offset0:64 offset1:80
	s_wait_dscnt 0x0
	v_fma_f64 v[14:15], v[8:9], v[45:46], v[14:15]
	v_fma_f64 v[12:13], v[10:11], v[45:46], v[12:13]
	;; [unrolled: 6-line block ×3, first 2 shown]
	v_fma_f64 v[49:50], v[8:9], v[51:52], v[22:23]
	v_fma_f64 v[51:52], v[10:11], v[51:52], v[24:25]
	ds_load_b128 v[8:11], v32 offset:32
	ds_load_2addr_b64 v[12:15], v31 offset0:128 offset1:144
	ds_load_b128 v[22:25], v32 offset:1056
	ds_load_b128 v[37:40], v32 offset:48
	;; [unrolled: 1-line block ×3, first 2 shown]
	s_wait_dscnt 0x3
	v_fma_f64 v[45:46], v[12:13], v[8:9], v[45:46]
	v_fma_f64 v[8:9], v[14:15], v[8:9], v[47:48]
	s_wait_dscnt 0x2
	v_fma_f64 v[47:48], v[12:13], v[22:23], v[49:50]
	v_fma_f64 v[22:23], v[14:15], v[22:23], v[51:52]
	ds_load_2addr_b64 v[12:15], v31 offset0:160 offset1:176
	s_wait_dscnt 0x0
	v_fma_f64 v[45:46], v[12:13], v[10:11], v[45:46]
	v_fma_f64 v[49:50], v[14:15], v[10:11], v[8:9]
	;; [unrolled: 1-line block ×4, first 2 shown]
	ds_load_2addr_b64 v[8:11], v31 offset0:192 offset1:208
	ds_load_2addr_b64 v[22:25], v31 offset0:224 offset1:240
	s_wait_loadcnt_dscnt 0x0
	s_barrier_signal -1
	s_barrier_wait -1
	global_inv scope:SCOPE_SE
	v_fma_f64 v[45:46], v[8:9], v[37:38], v[45:46]
	v_fma_f64 v[37:38], v[10:11], v[37:38], v[49:50]
	;; [unrolled: 1-line block ×4, first 2 shown]
	s_delay_alu instid0(VALU_DEP_4) | instskip(NEXT) | instid1(VALU_DEP_4)
	v_fma_f64 v[14:15], v[22:23], v[39:40], v[45:46]
	v_fma_f64 v[12:13], v[24:25], v[39:40], v[37:38]
	s_delay_alu instid0(VALU_DEP_4) | instskip(NEXT) | instid1(VALU_DEP_4)
	v_fma_f64 v[10:11], v[22:23], v[43:44], v[8:9]
	v_fma_f64 v[8:9], v[24:25], v[43:44], v[41:42]
	s_wait_alu 0xfffe
	s_cbranch_vccz .LBB226_12
.LBB226_7:                              ;   Parent Loop BB226_4 Depth=1
                                        ; =>  This Inner Loop Header: Depth=2
	s_wait_alu 0xfffe
	v_add_co_u32 v22, s31, v27, s26
	s_wait_alu 0xf1ff
	v_add_co_ci_u32_e64 v23, null, 0, s27, s31
	s_delay_alu instid0(VALU_DEP_1) | instskip(SKIP_3) | instid1(SALU_CYCLE_1)
	v_cmp_gt_i64_e32 vcc_lo, s[8:9], v[22:23]
	v_mov_b32_e32 v22, 0
	v_mov_b32_e32 v23, 0
	s_and_b32 s33, s0, vcc_lo
	s_and_saveexec_b32 s31, s33
	s_cbranch_execz .LBB226_9
; %bb.8:                                ;   in Loop: Header=BB226_7 Depth=2
	flat_load_b64 v[22:23], v[20:21]
.LBB226_9:                              ;   in Loop: Header=BB226_7 Depth=2
	s_wait_alu 0xfffe
	s_or_b32 exec_lo, exec_lo, s31
	v_add_co_u32 v24, s31, v26, s26
	s_wait_alu 0xf1ff
	v_add_co_ci_u32_e64 v25, null, 0, s27, s31
	s_wait_loadcnt_dscnt 0x0
	ds_store_b64 v29, v[22:23]
	v_cmp_gt_i64_e32 vcc_lo, s[8:9], v[24:25]
	v_mov_b32_e32 v24, 0
	v_mov_b32_e32 v25, 0
	s_and_b32 s33, vcc_lo, s1
	s_delay_alu instid0(SALU_CYCLE_1)
	s_and_saveexec_b32 s31, s33
	s_cbranch_execz .LBB226_6
; %bb.10:                               ;   in Loop: Header=BB226_7 Depth=2
	flat_load_b64 v[24:25], v[18:19]
	s_branch .LBB226_6
.LBB226_11:                             ;   in Loop: Header=BB226_4 Depth=1
	v_mov_b32_e32 v14, 0
	v_dual_mov_b32 v10, 0 :: v_dual_mov_b32 v15, 0
	v_dual_mov_b32 v12, 0 :: v_dual_mov_b32 v11, 0
	;; [unrolled: 1-line block ×3, first 2 shown]
	v_mov_b32_e32 v9, 0
.LBB226_12:                             ;   in Loop: Header=BB226_4 Depth=1
	s_wait_loadcnt 0x0
	v_add_co_u32 v18, vcc_lo, v16, s16
	s_wait_alu 0xfffd
	v_add_co_ci_u32_e64 v19, null, s17, v17, vcc_lo
	s_and_not1_b32 vcc_lo, exec_lo, s29
	s_wait_alu 0xfffe
	s_cbranch_vccnz .LBB226_17
; %bb.13:                               ;   in Loop: Header=BB226_4 Depth=1
	s_and_saveexec_b32 s26, s2
	s_cbranch_execz .LBB226_24
; %bb.14:                               ;   in Loop: Header=BB226_4 Depth=1
	v_lshlrev_b64_e32 v[16:17], 3, v[0:1]
	s_delay_alu instid0(VALU_DEP_1) | instskip(SKIP_1) | instid1(VALU_DEP_2)
	v_add_co_u32 v16, vcc_lo, v18, v16
	s_wait_alu 0xfffd
	v_add_co_ci_u32_e64 v17, null, v19, v17, vcc_lo
	s_and_saveexec_b32 s27, s3
	s_cbranch_execnz .LBB226_18
; %bb.15:                               ;   in Loop: Header=BB226_4 Depth=1
	s_wait_alu 0xfffe
	s_or_b32 exec_lo, exec_lo, s27
	s_and_saveexec_b32 s27, s4
	s_cbranch_execnz .LBB226_19
.LBB226_16:                             ;   in Loop: Header=BB226_4 Depth=1
	s_wait_alu 0xfffe
	s_or_b32 exec_lo, exec_lo, s27
	s_delay_alu instid0(SALU_CYCLE_1)
	s_and_b32 exec_lo, exec_lo, s5
	s_cbranch_execnz .LBB226_20
	s_branch .LBB226_24
.LBB226_17:                             ;   in Loop: Header=BB226_4 Depth=1
	s_branch .LBB226_25
.LBB226_18:                             ;   in Loop: Header=BB226_4 Depth=1
	v_mul_f64_e32 v[20:21], s[10:11], v[14:15]
	v_lshlrev_b64_e32 v[22:23], 3, v[2:3]
	s_delay_alu instid0(VALU_DEP_1) | instskip(SKIP_1) | instid1(VALU_DEP_2)
	v_add_co_u32 v22, vcc_lo, v16, v22
	s_wait_alu 0xfffd
	v_add_co_ci_u32_e64 v23, null, v17, v23, vcc_lo
	flat_store_b64 v[22:23], v[20:21]
	s_wait_alu 0xfffe
	s_or_b32 exec_lo, exec_lo, s27
	s_and_saveexec_b32 s27, s4
	s_cbranch_execz .LBB226_16
.LBB226_19:                             ;   in Loop: Header=BB226_4 Depth=1
	v_mul_f64_e32 v[20:21], s[10:11], v[12:13]
	v_lshlrev_b64_e32 v[22:23], 3, v[2:3]
	s_delay_alu instid0(VALU_DEP_1) | instskip(SKIP_1) | instid1(VALU_DEP_2)
	v_add_co_u32 v22, vcc_lo, v16, v22
	s_wait_alu 0xfffd
	v_add_co_ci_u32_e64 v23, null, v17, v23, vcc_lo
	flat_store_b64 v[22:23], v[20:21] offset:128
	s_wait_alu 0xfffe
	s_or_b32 exec_lo, exec_lo, s27
	s_delay_alu instid0(SALU_CYCLE_1)
	s_and_b32 exec_lo, exec_lo, s5
	s_cbranch_execz .LBB226_24
.LBB226_20:                             ;   in Loop: Header=BB226_4 Depth=1
	s_lshl_b64 s[34:35], s[6:7], 3
	v_lshlrev_b64_e32 v[20:21], 3, v[2:3]
	s_wait_alu 0xfffe
	v_add_co_u32 v16, vcc_lo, v16, s34
	s_wait_alu 0xfffd
	v_add_co_ci_u32_e64 v17, null, s35, v17, vcc_lo
	s_delay_alu instid0(VALU_DEP_2) | instskip(SKIP_1) | instid1(VALU_DEP_2)
	v_add_co_u32 v16, vcc_lo, v16, v20
	s_wait_alu 0xfffd
	v_add_co_ci_u32_e64 v17, null, v17, v21, vcc_lo
	s_and_saveexec_b32 s27, s3
	s_cbranch_execz .LBB226_22
; %bb.21:                               ;   in Loop: Header=BB226_4 Depth=1
	v_mul_f64_e32 v[20:21], s[10:11], v[10:11]
	flat_store_b64 v[16:17], v[20:21]
.LBB226_22:                             ;   in Loop: Header=BB226_4 Depth=1
	s_wait_alu 0xfffe
	s_or_b32 exec_lo, exec_lo, s27
	s_delay_alu instid0(SALU_CYCLE_1)
	s_and_b32 exec_lo, exec_lo, s4
	s_cbranch_execz .LBB226_24
; %bb.23:                               ;   in Loop: Header=BB226_4 Depth=1
	v_mul_f64_e32 v[20:21], s[10:11], v[8:9]
	flat_store_b64 v[16:17], v[20:21] offset:128
.LBB226_24:                             ;   in Loop: Header=BB226_4 Depth=1
	s_wait_alu 0xfffe
	s_or_b32 exec_lo, exec_lo, s26
	s_cbranch_execnz .LBB226_3
.LBB226_25:                             ;   in Loop: Header=BB226_4 Depth=1
	s_and_saveexec_b32 s26, s2
	s_cbranch_execz .LBB226_2
; %bb.26:                               ;   in Loop: Header=BB226_4 Depth=1
	v_add_co_u32 v6, vcc_lo, v6, s22
	v_lshlrev_b64_e32 v[20:21], 3, v[0:1]
	s_wait_alu 0xfffd
	v_add_co_ci_u32_e64 v7, null, s23, v7, vcc_lo
	s_delay_alu instid0(VALU_DEP_3) | instskip(SKIP_1) | instid1(VALU_DEP_2)
	v_add_co_u32 v16, vcc_lo, v6, v4
	s_wait_alu 0xfffd
	v_add_co_ci_u32_e64 v17, null, v7, v5, vcc_lo
	v_add_co_u32 v18, vcc_lo, v18, v20
	v_lshlrev_b64_e32 v[6:7], 3, v[2:3]
	s_wait_alu 0xfffd
	v_add_co_ci_u32_e64 v19, null, v19, v21, vcc_lo
	s_and_saveexec_b32 s27, s3
	s_cbranch_execnz .LBB226_29
; %bb.27:                               ;   in Loop: Header=BB226_4 Depth=1
	s_wait_alu 0xfffe
	s_or_b32 exec_lo, exec_lo, s27
	s_and_saveexec_b32 s27, s4
	s_cbranch_execnz .LBB226_30
.LBB226_28:                             ;   in Loop: Header=BB226_4 Depth=1
	s_wait_alu 0xfffe
	s_or_b32 exec_lo, exec_lo, s27
	s_delay_alu instid0(SALU_CYCLE_1)
	s_and_b32 exec_lo, exec_lo, s5
	s_cbranch_execz .LBB226_2
	s_branch .LBB226_31
.LBB226_29:                             ;   in Loop: Header=BB226_4 Depth=1
	v_add_co_u32 v20, vcc_lo, v16, v6
	s_wait_alu 0xfffd
	v_add_co_ci_u32_e64 v21, null, v17, v7, vcc_lo
	flat_load_b64 v[20:21], v[20:21]
	s_wait_loadcnt_dscnt 0x0
	v_mul_f64_e32 v[20:21], s[40:41], v[20:21]
	s_delay_alu instid0(VALU_DEP_1)
	v_fma_f64 v[14:15], s[10:11], v[14:15], v[20:21]
	v_add_co_u32 v20, vcc_lo, v18, v6
	s_wait_alu 0xfffd
	v_add_co_ci_u32_e64 v21, null, v19, v7, vcc_lo
	flat_store_b64 v[20:21], v[14:15]
	s_wait_alu 0xfffe
	s_or_b32 exec_lo, exec_lo, s27
	s_and_saveexec_b32 s27, s4
	s_cbranch_execz .LBB226_28
.LBB226_30:                             ;   in Loop: Header=BB226_4 Depth=1
	v_add_co_u32 v14, vcc_lo, v16, v6
	s_wait_alu 0xfffd
	v_add_co_ci_u32_e64 v15, null, v17, v7, vcc_lo
	flat_load_b64 v[14:15], v[14:15] offset:128
	s_wait_loadcnt_dscnt 0x0
	v_mul_f64_e32 v[14:15], s[40:41], v[14:15]
	s_delay_alu instid0(VALU_DEP_1)
	v_fma_f64 v[12:13], s[10:11], v[12:13], v[14:15]
	v_add_co_u32 v14, vcc_lo, v18, v6
	s_wait_alu 0xfffd
	v_add_co_ci_u32_e64 v15, null, v19, v7, vcc_lo
	flat_store_b64 v[14:15], v[12:13] offset:128
	s_wait_alu 0xfffe
	s_or_b32 exec_lo, exec_lo, s27
	s_delay_alu instid0(SALU_CYCLE_1)
	s_and_b32 exec_lo, exec_lo, s5
	s_cbranch_execz .LBB226_2
.LBB226_31:                             ;   in Loop: Header=BB226_4 Depth=1
	v_add_co_u32 v12, vcc_lo, v16, s24
	s_lshl_b64 s[34:35], s[6:7], 3
	s_wait_alu 0xfffd
	v_add_co_ci_u32_e64 v13, null, s25, v17, vcc_lo
	s_wait_alu 0xfffe
	v_add_co_u32 v14, vcc_lo, v18, s34
	s_wait_alu 0xfffd
	v_add_co_ci_u32_e64 v15, null, s35, v19, vcc_lo
	v_add_co_u32 v12, vcc_lo, v12, v6
	s_wait_alu 0xfffd
	v_add_co_ci_u32_e64 v13, null, v13, v7, vcc_lo
	v_add_co_u32 v6, vcc_lo, v14, v6
	s_wait_alu 0xfffd
	v_add_co_ci_u32_e64 v7, null, v15, v7, vcc_lo
	s_and_saveexec_b32 s27, s3
	s_cbranch_execz .LBB226_33
; %bb.32:                               ;   in Loop: Header=BB226_4 Depth=1
	flat_load_b64 v[14:15], v[12:13]
	s_wait_loadcnt_dscnt 0x0
	v_mul_f64_e32 v[14:15], s[40:41], v[14:15]
	s_delay_alu instid0(VALU_DEP_1)
	v_fma_f64 v[10:11], s[10:11], v[10:11], v[14:15]
	flat_store_b64 v[6:7], v[10:11]
.LBB226_33:                             ;   in Loop: Header=BB226_4 Depth=1
	s_wait_alu 0xfffe
	s_or_b32 exec_lo, exec_lo, s27
	s_delay_alu instid0(SALU_CYCLE_1)
	s_and_b32 exec_lo, exec_lo, s4
	s_cbranch_execz .LBB226_2
; %bb.34:                               ;   in Loop: Header=BB226_4 Depth=1
	flat_load_b64 v[10:11], v[12:13] offset:128
	s_wait_loadcnt_dscnt 0x0
	v_mul_f64_e32 v[10:11], s[40:41], v[10:11]
	s_delay_alu instid0(VALU_DEP_1)
	v_fma_f64 v[8:9], s[10:11], v[8:9], v[10:11]
	flat_store_b64 v[6:7], v[8:9] offset:128
	s_branch .LBB226_2
.LBB226_35:
	s_endpgm
	.section	.rodata,"a",@progbits
	.p2align	6, 0x0
	.amdhsa_kernel _ZN12_GLOBAL__N_135rocblas_gemm_batched_general_kernelIdLi16ELi16ELi32ELi32ELi8ELi32ELi8ELi8ELi32ELc84ELc84EKPKdS3_KPdEEvlllT_PT11_llS8_llS6_PT12_llPT13_lli
		.amdhsa_group_segment_fixed_size 4096
		.amdhsa_private_segment_fixed_size 0
		.amdhsa_kernarg_size 140
		.amdhsa_user_sgpr_count 2
		.amdhsa_user_sgpr_dispatch_ptr 0
		.amdhsa_user_sgpr_queue_ptr 0
		.amdhsa_user_sgpr_kernarg_segment_ptr 1
		.amdhsa_user_sgpr_dispatch_id 0
		.amdhsa_user_sgpr_private_segment_size 0
		.amdhsa_wavefront_size32 1
		.amdhsa_uses_dynamic_stack 0
		.amdhsa_enable_private_segment 0
		.amdhsa_system_sgpr_workgroup_id_x 1
		.amdhsa_system_sgpr_workgroup_id_y 1
		.amdhsa_system_sgpr_workgroup_id_z 1
		.amdhsa_system_sgpr_workgroup_info 0
		.amdhsa_system_vgpr_workitem_id 1
		.amdhsa_next_free_vgpr 53
		.amdhsa_next_free_sgpr 52
		.amdhsa_reserve_vcc 1
		.amdhsa_float_round_mode_32 0
		.amdhsa_float_round_mode_16_64 0
		.amdhsa_float_denorm_mode_32 3
		.amdhsa_float_denorm_mode_16_64 3
		.amdhsa_fp16_overflow 0
		.amdhsa_workgroup_processor_mode 1
		.amdhsa_memory_ordered 1
		.amdhsa_forward_progress 1
		.amdhsa_inst_pref_size 20
		.amdhsa_round_robin_scheduling 0
		.amdhsa_exception_fp_ieee_invalid_op 0
		.amdhsa_exception_fp_denorm_src 0
		.amdhsa_exception_fp_ieee_div_zero 0
		.amdhsa_exception_fp_ieee_overflow 0
		.amdhsa_exception_fp_ieee_underflow 0
		.amdhsa_exception_fp_ieee_inexact 0
		.amdhsa_exception_int_div_zero 0
	.end_amdhsa_kernel
	.section	.text._ZN12_GLOBAL__N_135rocblas_gemm_batched_general_kernelIdLi16ELi16ELi32ELi32ELi8ELi32ELi8ELi8ELi32ELc84ELc84EKPKdS3_KPdEEvlllT_PT11_llS8_llS6_PT12_llPT13_lli,"axG",@progbits,_ZN12_GLOBAL__N_135rocblas_gemm_batched_general_kernelIdLi16ELi16ELi32ELi32ELi8ELi32ELi8ELi8ELi32ELc84ELc84EKPKdS3_KPdEEvlllT_PT11_llS8_llS6_PT12_llPT13_lli,comdat
.Lfunc_end226:
	.size	_ZN12_GLOBAL__N_135rocblas_gemm_batched_general_kernelIdLi16ELi16ELi32ELi32ELi8ELi32ELi8ELi8ELi32ELc84ELc84EKPKdS3_KPdEEvlllT_PT11_llS8_llS6_PT12_llPT13_lli, .Lfunc_end226-_ZN12_GLOBAL__N_135rocblas_gemm_batched_general_kernelIdLi16ELi16ELi32ELi32ELi8ELi32ELi8ELi8ELi32ELc84ELc84EKPKdS3_KPdEEvlllT_PT11_llS8_llS6_PT12_llPT13_lli
                                        ; -- End function
	.set _ZN12_GLOBAL__N_135rocblas_gemm_batched_general_kernelIdLi16ELi16ELi32ELi32ELi8ELi32ELi8ELi8ELi32ELc84ELc84EKPKdS3_KPdEEvlllT_PT11_llS8_llS6_PT12_llPT13_lli.num_vgpr, 53
	.set _ZN12_GLOBAL__N_135rocblas_gemm_batched_general_kernelIdLi16ELi16ELi32ELi32ELi8ELi32ELi8ELi8ELi32ELc84ELc84EKPKdS3_KPdEEvlllT_PT11_llS8_llS6_PT12_llPT13_lli.num_agpr, 0
	.set _ZN12_GLOBAL__N_135rocblas_gemm_batched_general_kernelIdLi16ELi16ELi32ELi32ELi8ELi32ELi8ELi8ELi32ELc84ELc84EKPKdS3_KPdEEvlllT_PT11_llS8_llS6_PT12_llPT13_lli.numbered_sgpr, 52
	.set _ZN12_GLOBAL__N_135rocblas_gemm_batched_general_kernelIdLi16ELi16ELi32ELi32ELi8ELi32ELi8ELi8ELi32ELc84ELc84EKPKdS3_KPdEEvlllT_PT11_llS8_llS6_PT12_llPT13_lli.num_named_barrier, 0
	.set _ZN12_GLOBAL__N_135rocblas_gemm_batched_general_kernelIdLi16ELi16ELi32ELi32ELi8ELi32ELi8ELi8ELi32ELc84ELc84EKPKdS3_KPdEEvlllT_PT11_llS8_llS6_PT12_llPT13_lli.private_seg_size, 0
	.set _ZN12_GLOBAL__N_135rocblas_gemm_batched_general_kernelIdLi16ELi16ELi32ELi32ELi8ELi32ELi8ELi8ELi32ELc84ELc84EKPKdS3_KPdEEvlllT_PT11_llS8_llS6_PT12_llPT13_lli.uses_vcc, 1
	.set _ZN12_GLOBAL__N_135rocblas_gemm_batched_general_kernelIdLi16ELi16ELi32ELi32ELi8ELi32ELi8ELi8ELi32ELc84ELc84EKPKdS3_KPdEEvlllT_PT11_llS8_llS6_PT12_llPT13_lli.uses_flat_scratch, 0
	.set _ZN12_GLOBAL__N_135rocblas_gemm_batched_general_kernelIdLi16ELi16ELi32ELi32ELi8ELi32ELi8ELi8ELi32ELc84ELc84EKPKdS3_KPdEEvlllT_PT11_llS8_llS6_PT12_llPT13_lli.has_dyn_sized_stack, 0
	.set _ZN12_GLOBAL__N_135rocblas_gemm_batched_general_kernelIdLi16ELi16ELi32ELi32ELi8ELi32ELi8ELi8ELi32ELc84ELc84EKPKdS3_KPdEEvlllT_PT11_llS8_llS6_PT12_llPT13_lli.has_recursion, 0
	.set _ZN12_GLOBAL__N_135rocblas_gemm_batched_general_kernelIdLi16ELi16ELi32ELi32ELi8ELi32ELi8ELi8ELi32ELc84ELc84EKPKdS3_KPdEEvlllT_PT11_llS8_llS6_PT12_llPT13_lli.has_indirect_call, 0
	.section	.AMDGPU.csdata,"",@progbits
; Kernel info:
; codeLenInByte = 2492
; TotalNumSgprs: 54
; NumVgprs: 53
; ScratchSize: 0
; MemoryBound: 0
; FloatMode: 240
; IeeeMode: 1
; LDSByteSize: 4096 bytes/workgroup (compile time only)
; SGPRBlocks: 0
; VGPRBlocks: 6
; NumSGPRsForWavesPerEU: 54
; NumVGPRsForWavesPerEU: 53
; Occupancy: 16
; WaveLimiterHint : 1
; COMPUTE_PGM_RSRC2:SCRATCH_EN: 0
; COMPUTE_PGM_RSRC2:USER_SGPR: 2
; COMPUTE_PGM_RSRC2:TRAP_HANDLER: 0
; COMPUTE_PGM_RSRC2:TGID_X_EN: 1
; COMPUTE_PGM_RSRC2:TGID_Y_EN: 1
; COMPUTE_PGM_RSRC2:TGID_Z_EN: 1
; COMPUTE_PGM_RSRC2:TIDIG_COMP_CNT: 1
	.section	.text._ZN12_GLOBAL__N_135rocblas_gemm_batched_general_kernelIdLi16ELi16ELi32ELi32ELi8ELi32ELi8ELi8ELi32ELc67ELc67EKPKdS3_KPdEEvlllT_PT11_llS8_llS6_PT12_llPT13_lli,"axG",@progbits,_ZN12_GLOBAL__N_135rocblas_gemm_batched_general_kernelIdLi16ELi16ELi32ELi32ELi8ELi32ELi8ELi8ELi32ELc67ELc67EKPKdS3_KPdEEvlllT_PT11_llS8_llS6_PT12_llPT13_lli,comdat
	.globl	_ZN12_GLOBAL__N_135rocblas_gemm_batched_general_kernelIdLi16ELi16ELi32ELi32ELi8ELi32ELi8ELi8ELi32ELc67ELc67EKPKdS3_KPdEEvlllT_PT11_llS8_llS6_PT12_llPT13_lli ; -- Begin function _ZN12_GLOBAL__N_135rocblas_gemm_batched_general_kernelIdLi16ELi16ELi32ELi32ELi8ELi32ELi8ELi8ELi32ELc67ELc67EKPKdS3_KPdEEvlllT_PT11_llS8_llS6_PT12_llPT13_lli
	.p2align	8
	.type	_ZN12_GLOBAL__N_135rocblas_gemm_batched_general_kernelIdLi16ELi16ELi32ELi32ELi8ELi32ELi8ELi8ELi32ELc67ELc67EKPKdS3_KPdEEvlllT_PT11_llS8_llS6_PT12_llPT13_lli,@function
_ZN12_GLOBAL__N_135rocblas_gemm_batched_general_kernelIdLi16ELi16ELi32ELi32ELi8ELi32ELi8ELi8ELi32ELc67ELc67EKPKdS3_KPdEEvlllT_PT11_llS8_llS6_PT12_llPT13_lli: ; @_ZN12_GLOBAL__N_135rocblas_gemm_batched_general_kernelIdLi16ELi16ELi32ELi32ELi8ELi32ELi8ELi8ELi32ELc67ELc67EKPKdS3_KPdEEvlllT_PT11_llS8_llS6_PT12_llPT13_lli
; %bb.0:
	s_load_b32 s28, s[0:1], 0x88
	s_lshr_b32 s20, ttmp7, 16
	s_wait_kmcnt 0x0
	s_cmp_ge_i32 s20, s28
	s_cbranch_scc1 .LBB227_35
; %bb.1:
	s_clause 0x1
	s_load_b512 s[4:19], s[0:1], 0x0
	s_load_b512 s[36:51], s[0:1], 0x40
	v_bfe_u32 v2, v0, 10, 10
	v_dual_mov_b32 v28, 0 :: v_dual_and_b32 v3, 0x3ff, v0
	s_mov_b32 s2, ttmp9
	s_ashr_i32 s3, ttmp9, 31
	s_and_b32 s30, ttmp7, 0xffff
	s_delay_alu instid0(VALU_DEP_1) | instskip(SKIP_1) | instid1(SALU_CYCLE_1)
	v_lshl_add_u32 v18, v2, 4, v3
	s_lshl_b64 s[24:25], s[2:3], 5
	v_dual_mov_b32 v5, s25 :: v_dual_and_b32 v26, 7, v0
	s_lshl_b32 s2, s30, 5
	s_delay_alu instid0(VALU_DEP_2)
	v_and_b32_e32 v0, 31, v18
	v_lshrrev_b32_e32 v6, 3, v18
	s_load_b64 s[22:23], s[0:1], 0x80
	v_lshl_add_u32 v32, v2, 6, 0x800
	v_lshrrev_b32_e32 v27, 5, v18
	v_or_b32_e32 v4, s24, v0
	v_lshlrev_b32_e32 v31, 3, v3
	s_mov_b32 s21, 0
	s_wait_kmcnt 0x0
	v_mad_co_u64_u32 v[9:10], null, s36, v26, 0
	v_lshlrev_b32_e32 v7, 3, v0
	v_add_co_u32 v0, s0, v6, s2
	s_delay_alu instid0(VALU_DEP_1) | instskip(SKIP_2) | instid1(VALU_DEP_3)
	v_add_co_ci_u32_e64 v1, null, 0, 0, s0
	v_cmp_gt_i64_e64 s0, s[4:5], v[4:5]
	v_add_co_u32 v5, s2, s2, v2
	v_cmp_gt_i64_e64 s1, s[6:7], v[0:1]
	v_add_co_u32 v2, s3, s24, v3
	s_delay_alu instid0(VALU_DEP_3)
	v_mad_co_u64_u32 v[0:1], null, v5, s50, 0
	v_lshl_or_b32 v29, v27, 8, v7
	s_wait_alu 0xf1ff
	v_add_co_ci_u32_e64 v3, null, s25, 0, s3
	v_add_co_u32 v11, vcc_lo, v2, 16
	v_cmp_eq_f64_e64 s29, s[40:41], 0
	v_mad_co_u64_u32 v[13:14], null, v5, s51, v[1:2]
	v_lshlrev_b32_e32 v8, 3, v26
	v_add_co_ci_u32_e64 v12, null, 0, v3, vcc_lo
	v_add_co_u32 v14, vcc_lo, v5, 16
	s_delay_alu instid0(VALU_DEP_3) | instskip(SKIP_3) | instid1(VALU_DEP_4)
	v_lshl_or_b32 v6, v6, 6, v8
	v_mad_co_u64_u32 v[7:8], null, v5, s44, 0
	v_cmp_gt_i64_e64 s3, s[4:5], v[2:3]
	v_cmp_gt_i64_e64 s4, s[4:5], v[11:12]
	v_add_nc_u32_e32 v30, 0x800, v6
	v_add_co_ci_u32_e64 v6, null, 0, 0, s2
	s_lshl_b32 s30, s30, 8
	v_dual_mov_b32 v1, v8 :: v_dual_mov_b32 v8, v10
	v_cmp_gt_i64_e64 s2, s[6:7], v[5:6]
	s_wait_alu 0xfffd
	v_add_co_ci_u32_e64 v15, null, 0, v6, vcc_lo
	s_delay_alu instid0(VALU_DEP_3)
	v_mad_co_u64_u32 v[5:6], null, v5, s45, v[1:2]
	v_mad_co_u64_u32 v[16:17], null, s37, v26, v[8:9]
	v_mul_lo_u32 v6, s15, v4
	v_and_b32_e32 v11, 0x1ff8, v18
	s_mov_b32 s31, s21
	s_lshl_b64 s[34:35], s[38:39], 3
	s_delay_alu instid0(VALU_DEP_4)
	v_mov_b32_e32 v8, v5
	v_mad_co_u64_u32 v[4:5], null, s14, v4, 0
	v_mov_b32_e32 v10, v16
	s_mul_i32 s14, s14, s25
	s_add_nc_u64 s[30:31], s[34:35], s[30:31]
	v_cmp_gt_i64_e64 s5, s[6:7], v[14:15]
	v_mov_b32_e32 v1, v13
	v_lshlrev_b64_e32 v[9:10], 3, v[9:10]
	s_wait_alu 0xfffe
	v_add3_u32 v5, v5, s14, v6
	s_lshl_b64 s[14:15], s[16:17], 3
	s_lshl_b64 s[26:27], s[44:45], 4
	;; [unrolled: 1-line block ×4, first 2 shown]
	v_add_co_u32 v6, vcc_lo, s30, v9
	v_lshlrev_b64_e32 v[4:5], 3, v[4:5]
	s_wait_alu 0xfffd
	v_add_co_ci_u32_e64 v9, null, s31, v10, vcc_lo
	s_delay_alu instid0(VALU_DEP_3) | instskip(SKIP_2) | instid1(VALU_DEP_3)
	v_add_co_u32 v33, vcc_lo, v6, v11
	v_lshlrev_b32_e32 v6, 3, v27
	s_wait_alu 0xfffd
	v_add_co_ci_u32_e64 v34, null, 0, v9, vcc_lo
	s_wait_alu 0xfffe
	v_add_co_u32 v4, vcc_lo, v4, s14
	s_wait_alu 0xfffd
	v_add_co_ci_u32_e64 v5, null, s15, v5, vcc_lo
	v_cmp_gt_i64_e64 s30, s[8:9], 0
	s_delay_alu instid0(VALU_DEP_3) | instskip(SKIP_1) | instid1(VALU_DEP_3)
	v_add_co_u32 v35, vcc_lo, v4, v6
	s_wait_alu 0xfffd
	v_add_co_ci_u32_e64 v36, null, 0, v5, vcc_lo
	v_lshlrev_b64_e32 v[4:5], 3, v[7:8]
	s_lshl_b64 s[14:15], s[36:37], 6
	s_lshl_b64 s[22:23], s[46:47], 3
	;; [unrolled: 1-line block ×3, first 2 shown]
	s_branch .LBB227_4
.LBB227_2:                              ;   in Loop: Header=BB227_4 Depth=1
	s_wait_alu 0xfffe
	s_or_b32 exec_lo, exec_lo, s26
.LBB227_3:                              ;   in Loop: Header=BB227_4 Depth=1
	s_add_co_i32 s20, s20, 0x10000
	s_delay_alu instid0(SALU_CYCLE_1)
	s_cmp_lt_i32 s20, s28
	s_cbranch_scc0 .LBB227_35
.LBB227_4:                              ; =>This Loop Header: Depth=1
                                        ;     Child Loop BB227_7 Depth 2
	s_lshl_b64 s[26:27], s[20:21], 3
	s_and_not1_b32 vcc_lo, exec_lo, s30
	s_wait_alu 0xfffe
	s_add_nc_u64 s[34:35], s[42:43], s[26:27]
	s_add_nc_u64 s[36:37], s[48:49], s[26:27]
	s_clause 0x1
	global_load_b64 v[6:7], v28, s[34:35]
	global_load_b64 v[16:17], v28, s[36:37]
	s_cbranch_vccnz .LBB227_11
; %bb.5:                                ;   in Loop: Header=BB227_4 Depth=1
	s_add_nc_u64 s[34:35], s[18:19], s[26:27]
	s_add_nc_u64 s[26:27], s[12:13], s[26:27]
	s_clause 0x1
	global_load_b64 v[18:19], v28, s[34:35]
	global_load_b64 v[20:21], v28, s[26:27]
	v_mov_b32_e32 v8, 0
	v_dual_mov_b32 v12, 0 :: v_dual_mov_b32 v9, 0
	v_dual_mov_b32 v10, 0 :: v_dual_mov_b32 v13, 0
	v_dual_mov_b32 v14, 0 :: v_dual_mov_b32 v11, 0
	v_mov_b32_e32 v15, 0
	s_mov_b64 s[26:27], 0
	s_wait_loadcnt 0x1
	v_add_co_u32 v18, vcc_lo, v18, v33
	s_wait_alu 0xfffd
	v_add_co_ci_u32_e64 v19, null, v19, v34, vcc_lo
	s_wait_loadcnt 0x0
	v_add_co_u32 v20, vcc_lo, v20, v35
	s_wait_alu 0xfffd
	v_add_co_ci_u32_e64 v21, null, v21, v36, vcc_lo
	s_branch .LBB227_7
.LBB227_6:                              ;   in Loop: Header=BB227_7 Depth=2
	s_wait_alu 0xfffe
	s_or_b32 exec_lo, exec_lo, s31
	s_wait_loadcnt_dscnt 0x0
	ds_store_b64 v30, v[24:25]
	s_wait_dscnt 0x0
	s_barrier_signal -1
	s_barrier_wait -1
	global_inv scope:SCOPE_SE
	ds_load_b128 v[22:25], v32
	ds_load_2addr_b64 v[37:40], v31 offset1:16
	ds_load_b128 v[41:44], v32 offset:1024
	ds_load_b128 v[45:48], v32 offset:16
	;; [unrolled: 1-line block ×3, first 2 shown]
	s_add_nc_u64 s[26:27], s[26:27], 8
	v_add_co_u32 v18, vcc_lo, v18, s14
	s_wait_alu 0xfffe
	v_cmp_lt_i64_e64 s31, s[26:27], s[8:9]
	s_wait_alu 0xfffd
	v_add_co_ci_u32_e64 v19, null, s15, v19, vcc_lo
	v_add_co_u32 v20, vcc_lo, v20, 64
	s_wait_alu 0xfffd
	v_add_co_ci_u32_e64 v21, null, 0, v21, vcc_lo
	s_and_b32 vcc_lo, exec_lo, s31
	s_wait_dscnt 0x3
	v_fma_f64 v[14:15], v[37:38], v[22:23], v[14:15]
	v_fma_f64 v[12:13], v[39:40], v[22:23], v[12:13]
	s_wait_dscnt 0x2
	v_fma_f64 v[22:23], v[37:38], v[41:42], v[10:11]
	v_fma_f64 v[37:38], v[39:40], v[41:42], v[8:9]
	ds_load_2addr_b64 v[8:11], v31 offset0:32 offset1:48
	s_wait_dscnt 0x0
	v_fma_f64 v[14:15], v[8:9], v[24:25], v[14:15]
	v_fma_f64 v[12:13], v[10:11], v[24:25], v[12:13]
	v_fma_f64 v[22:23], v[8:9], v[43:44], v[22:23]
	v_fma_f64 v[24:25], v[10:11], v[43:44], v[37:38]
	ds_load_2addr_b64 v[8:11], v31 offset0:64 offset1:80
	s_wait_dscnt 0x0
	v_fma_f64 v[14:15], v[8:9], v[45:46], v[14:15]
	v_fma_f64 v[12:13], v[10:11], v[45:46], v[12:13]
	;; [unrolled: 6-line block ×3, first 2 shown]
	v_fma_f64 v[49:50], v[8:9], v[51:52], v[22:23]
	v_fma_f64 v[51:52], v[10:11], v[51:52], v[24:25]
	ds_load_b128 v[8:11], v32 offset:32
	ds_load_2addr_b64 v[12:15], v31 offset0:128 offset1:144
	ds_load_b128 v[22:25], v32 offset:1056
	ds_load_b128 v[37:40], v32 offset:48
	;; [unrolled: 1-line block ×3, first 2 shown]
	s_wait_dscnt 0x3
	v_fma_f64 v[45:46], v[12:13], v[8:9], v[45:46]
	v_fma_f64 v[8:9], v[14:15], v[8:9], v[47:48]
	s_wait_dscnt 0x2
	v_fma_f64 v[47:48], v[12:13], v[22:23], v[49:50]
	v_fma_f64 v[22:23], v[14:15], v[22:23], v[51:52]
	ds_load_2addr_b64 v[12:15], v31 offset0:160 offset1:176
	s_wait_dscnt 0x0
	v_fma_f64 v[45:46], v[12:13], v[10:11], v[45:46]
	v_fma_f64 v[49:50], v[14:15], v[10:11], v[8:9]
	;; [unrolled: 1-line block ×4, first 2 shown]
	ds_load_2addr_b64 v[8:11], v31 offset0:192 offset1:208
	ds_load_2addr_b64 v[22:25], v31 offset0:224 offset1:240
	s_wait_loadcnt_dscnt 0x0
	s_barrier_signal -1
	s_barrier_wait -1
	global_inv scope:SCOPE_SE
	v_fma_f64 v[45:46], v[8:9], v[37:38], v[45:46]
	v_fma_f64 v[37:38], v[10:11], v[37:38], v[49:50]
	;; [unrolled: 1-line block ×4, first 2 shown]
	s_delay_alu instid0(VALU_DEP_4) | instskip(NEXT) | instid1(VALU_DEP_4)
	v_fma_f64 v[14:15], v[22:23], v[39:40], v[45:46]
	v_fma_f64 v[12:13], v[24:25], v[39:40], v[37:38]
	s_delay_alu instid0(VALU_DEP_4) | instskip(NEXT) | instid1(VALU_DEP_4)
	v_fma_f64 v[10:11], v[22:23], v[43:44], v[8:9]
	v_fma_f64 v[8:9], v[24:25], v[43:44], v[41:42]
	s_wait_alu 0xfffe
	s_cbranch_vccz .LBB227_12
.LBB227_7:                              ;   Parent Loop BB227_4 Depth=1
                                        ; =>  This Inner Loop Header: Depth=2
	s_wait_alu 0xfffe
	v_add_co_u32 v22, s31, v27, s26
	s_wait_alu 0xf1ff
	v_add_co_ci_u32_e64 v23, null, 0, s27, s31
	s_delay_alu instid0(VALU_DEP_1) | instskip(SKIP_3) | instid1(SALU_CYCLE_1)
	v_cmp_gt_i64_e32 vcc_lo, s[8:9], v[22:23]
	v_mov_b32_e32 v22, 0
	v_mov_b32_e32 v23, 0
	s_and_b32 s33, s0, vcc_lo
	s_and_saveexec_b32 s31, s33
	s_cbranch_execz .LBB227_9
; %bb.8:                                ;   in Loop: Header=BB227_7 Depth=2
	flat_load_b64 v[22:23], v[20:21]
.LBB227_9:                              ;   in Loop: Header=BB227_7 Depth=2
	s_wait_alu 0xfffe
	s_or_b32 exec_lo, exec_lo, s31
	v_add_co_u32 v24, s31, v26, s26
	s_wait_alu 0xf1ff
	v_add_co_ci_u32_e64 v25, null, 0, s27, s31
	s_wait_loadcnt_dscnt 0x0
	ds_store_b64 v29, v[22:23]
	v_cmp_gt_i64_e32 vcc_lo, s[8:9], v[24:25]
	v_mov_b32_e32 v24, 0
	v_mov_b32_e32 v25, 0
	s_and_b32 s33, vcc_lo, s1
	s_delay_alu instid0(SALU_CYCLE_1)
	s_and_saveexec_b32 s31, s33
	s_cbranch_execz .LBB227_6
; %bb.10:                               ;   in Loop: Header=BB227_7 Depth=2
	flat_load_b64 v[24:25], v[18:19]
	s_branch .LBB227_6
.LBB227_11:                             ;   in Loop: Header=BB227_4 Depth=1
	v_mov_b32_e32 v14, 0
	v_dual_mov_b32 v10, 0 :: v_dual_mov_b32 v15, 0
	v_dual_mov_b32 v12, 0 :: v_dual_mov_b32 v11, 0
	;; [unrolled: 1-line block ×3, first 2 shown]
	v_mov_b32_e32 v9, 0
.LBB227_12:                             ;   in Loop: Header=BB227_4 Depth=1
	s_wait_loadcnt 0x0
	v_add_co_u32 v18, vcc_lo, v16, s16
	s_wait_alu 0xfffd
	v_add_co_ci_u32_e64 v19, null, s17, v17, vcc_lo
	s_and_not1_b32 vcc_lo, exec_lo, s29
	s_wait_alu 0xfffe
	s_cbranch_vccnz .LBB227_17
; %bb.13:                               ;   in Loop: Header=BB227_4 Depth=1
	s_and_saveexec_b32 s26, s2
	s_cbranch_execz .LBB227_24
; %bb.14:                               ;   in Loop: Header=BB227_4 Depth=1
	v_lshlrev_b64_e32 v[16:17], 3, v[0:1]
	s_delay_alu instid0(VALU_DEP_1) | instskip(SKIP_1) | instid1(VALU_DEP_2)
	v_add_co_u32 v16, vcc_lo, v18, v16
	s_wait_alu 0xfffd
	v_add_co_ci_u32_e64 v17, null, v19, v17, vcc_lo
	s_and_saveexec_b32 s27, s3
	s_cbranch_execnz .LBB227_18
; %bb.15:                               ;   in Loop: Header=BB227_4 Depth=1
	s_wait_alu 0xfffe
	s_or_b32 exec_lo, exec_lo, s27
	s_and_saveexec_b32 s27, s4
	s_cbranch_execnz .LBB227_19
.LBB227_16:                             ;   in Loop: Header=BB227_4 Depth=1
	s_wait_alu 0xfffe
	s_or_b32 exec_lo, exec_lo, s27
	s_delay_alu instid0(SALU_CYCLE_1)
	s_and_b32 exec_lo, exec_lo, s5
	s_cbranch_execnz .LBB227_20
	s_branch .LBB227_24
.LBB227_17:                             ;   in Loop: Header=BB227_4 Depth=1
	s_branch .LBB227_25
.LBB227_18:                             ;   in Loop: Header=BB227_4 Depth=1
	v_mul_f64_e32 v[20:21], s[10:11], v[14:15]
	v_lshlrev_b64_e32 v[22:23], 3, v[2:3]
	s_delay_alu instid0(VALU_DEP_1) | instskip(SKIP_1) | instid1(VALU_DEP_2)
	v_add_co_u32 v22, vcc_lo, v16, v22
	s_wait_alu 0xfffd
	v_add_co_ci_u32_e64 v23, null, v17, v23, vcc_lo
	flat_store_b64 v[22:23], v[20:21]
	s_wait_alu 0xfffe
	s_or_b32 exec_lo, exec_lo, s27
	s_and_saveexec_b32 s27, s4
	s_cbranch_execz .LBB227_16
.LBB227_19:                             ;   in Loop: Header=BB227_4 Depth=1
	v_mul_f64_e32 v[20:21], s[10:11], v[12:13]
	v_lshlrev_b64_e32 v[22:23], 3, v[2:3]
	s_delay_alu instid0(VALU_DEP_1) | instskip(SKIP_1) | instid1(VALU_DEP_2)
	v_add_co_u32 v22, vcc_lo, v16, v22
	s_wait_alu 0xfffd
	v_add_co_ci_u32_e64 v23, null, v17, v23, vcc_lo
	flat_store_b64 v[22:23], v[20:21] offset:128
	s_wait_alu 0xfffe
	s_or_b32 exec_lo, exec_lo, s27
	s_delay_alu instid0(SALU_CYCLE_1)
	s_and_b32 exec_lo, exec_lo, s5
	s_cbranch_execz .LBB227_24
.LBB227_20:                             ;   in Loop: Header=BB227_4 Depth=1
	s_lshl_b64 s[34:35], s[6:7], 3
	v_lshlrev_b64_e32 v[20:21], 3, v[2:3]
	s_wait_alu 0xfffe
	v_add_co_u32 v16, vcc_lo, v16, s34
	s_wait_alu 0xfffd
	v_add_co_ci_u32_e64 v17, null, s35, v17, vcc_lo
	s_delay_alu instid0(VALU_DEP_2) | instskip(SKIP_1) | instid1(VALU_DEP_2)
	v_add_co_u32 v16, vcc_lo, v16, v20
	s_wait_alu 0xfffd
	v_add_co_ci_u32_e64 v17, null, v17, v21, vcc_lo
	s_and_saveexec_b32 s27, s3
	s_cbranch_execz .LBB227_22
; %bb.21:                               ;   in Loop: Header=BB227_4 Depth=1
	v_mul_f64_e32 v[20:21], s[10:11], v[10:11]
	flat_store_b64 v[16:17], v[20:21]
.LBB227_22:                             ;   in Loop: Header=BB227_4 Depth=1
	s_wait_alu 0xfffe
	s_or_b32 exec_lo, exec_lo, s27
	s_delay_alu instid0(SALU_CYCLE_1)
	s_and_b32 exec_lo, exec_lo, s4
	s_cbranch_execz .LBB227_24
; %bb.23:                               ;   in Loop: Header=BB227_4 Depth=1
	v_mul_f64_e32 v[20:21], s[10:11], v[8:9]
	flat_store_b64 v[16:17], v[20:21] offset:128
.LBB227_24:                             ;   in Loop: Header=BB227_4 Depth=1
	s_wait_alu 0xfffe
	s_or_b32 exec_lo, exec_lo, s26
	s_cbranch_execnz .LBB227_3
.LBB227_25:                             ;   in Loop: Header=BB227_4 Depth=1
	s_and_saveexec_b32 s26, s2
	s_cbranch_execz .LBB227_2
; %bb.26:                               ;   in Loop: Header=BB227_4 Depth=1
	v_add_co_u32 v6, vcc_lo, v6, s22
	v_lshlrev_b64_e32 v[20:21], 3, v[0:1]
	s_wait_alu 0xfffd
	v_add_co_ci_u32_e64 v7, null, s23, v7, vcc_lo
	s_delay_alu instid0(VALU_DEP_3) | instskip(SKIP_1) | instid1(VALU_DEP_2)
	v_add_co_u32 v16, vcc_lo, v6, v4
	s_wait_alu 0xfffd
	v_add_co_ci_u32_e64 v17, null, v7, v5, vcc_lo
	v_add_co_u32 v18, vcc_lo, v18, v20
	v_lshlrev_b64_e32 v[6:7], 3, v[2:3]
	s_wait_alu 0xfffd
	v_add_co_ci_u32_e64 v19, null, v19, v21, vcc_lo
	s_and_saveexec_b32 s27, s3
	s_cbranch_execnz .LBB227_29
; %bb.27:                               ;   in Loop: Header=BB227_4 Depth=1
	s_wait_alu 0xfffe
	s_or_b32 exec_lo, exec_lo, s27
	s_and_saveexec_b32 s27, s4
	s_cbranch_execnz .LBB227_30
.LBB227_28:                             ;   in Loop: Header=BB227_4 Depth=1
	s_wait_alu 0xfffe
	s_or_b32 exec_lo, exec_lo, s27
	s_delay_alu instid0(SALU_CYCLE_1)
	s_and_b32 exec_lo, exec_lo, s5
	s_cbranch_execz .LBB227_2
	s_branch .LBB227_31
.LBB227_29:                             ;   in Loop: Header=BB227_4 Depth=1
	v_add_co_u32 v20, vcc_lo, v16, v6
	s_wait_alu 0xfffd
	v_add_co_ci_u32_e64 v21, null, v17, v7, vcc_lo
	flat_load_b64 v[20:21], v[20:21]
	s_wait_loadcnt_dscnt 0x0
	v_mul_f64_e32 v[20:21], s[40:41], v[20:21]
	s_delay_alu instid0(VALU_DEP_1)
	v_fma_f64 v[14:15], s[10:11], v[14:15], v[20:21]
	v_add_co_u32 v20, vcc_lo, v18, v6
	s_wait_alu 0xfffd
	v_add_co_ci_u32_e64 v21, null, v19, v7, vcc_lo
	flat_store_b64 v[20:21], v[14:15]
	s_wait_alu 0xfffe
	s_or_b32 exec_lo, exec_lo, s27
	s_and_saveexec_b32 s27, s4
	s_cbranch_execz .LBB227_28
.LBB227_30:                             ;   in Loop: Header=BB227_4 Depth=1
	v_add_co_u32 v14, vcc_lo, v16, v6
	s_wait_alu 0xfffd
	v_add_co_ci_u32_e64 v15, null, v17, v7, vcc_lo
	flat_load_b64 v[14:15], v[14:15] offset:128
	s_wait_loadcnt_dscnt 0x0
	v_mul_f64_e32 v[14:15], s[40:41], v[14:15]
	s_delay_alu instid0(VALU_DEP_1)
	v_fma_f64 v[12:13], s[10:11], v[12:13], v[14:15]
	v_add_co_u32 v14, vcc_lo, v18, v6
	s_wait_alu 0xfffd
	v_add_co_ci_u32_e64 v15, null, v19, v7, vcc_lo
	flat_store_b64 v[14:15], v[12:13] offset:128
	s_wait_alu 0xfffe
	s_or_b32 exec_lo, exec_lo, s27
	s_delay_alu instid0(SALU_CYCLE_1)
	s_and_b32 exec_lo, exec_lo, s5
	s_cbranch_execz .LBB227_2
.LBB227_31:                             ;   in Loop: Header=BB227_4 Depth=1
	v_add_co_u32 v12, vcc_lo, v16, s24
	s_lshl_b64 s[34:35], s[6:7], 3
	s_wait_alu 0xfffd
	v_add_co_ci_u32_e64 v13, null, s25, v17, vcc_lo
	s_wait_alu 0xfffe
	v_add_co_u32 v14, vcc_lo, v18, s34
	s_wait_alu 0xfffd
	v_add_co_ci_u32_e64 v15, null, s35, v19, vcc_lo
	v_add_co_u32 v12, vcc_lo, v12, v6
	s_wait_alu 0xfffd
	v_add_co_ci_u32_e64 v13, null, v13, v7, vcc_lo
	;; [unrolled: 3-line block ×3, first 2 shown]
	s_and_saveexec_b32 s27, s3
	s_cbranch_execz .LBB227_33
; %bb.32:                               ;   in Loop: Header=BB227_4 Depth=1
	flat_load_b64 v[14:15], v[12:13]
	s_wait_loadcnt_dscnt 0x0
	v_mul_f64_e32 v[14:15], s[40:41], v[14:15]
	s_delay_alu instid0(VALU_DEP_1)
	v_fma_f64 v[10:11], s[10:11], v[10:11], v[14:15]
	flat_store_b64 v[6:7], v[10:11]
.LBB227_33:                             ;   in Loop: Header=BB227_4 Depth=1
	s_wait_alu 0xfffe
	s_or_b32 exec_lo, exec_lo, s27
	s_delay_alu instid0(SALU_CYCLE_1)
	s_and_b32 exec_lo, exec_lo, s4
	s_cbranch_execz .LBB227_2
; %bb.34:                               ;   in Loop: Header=BB227_4 Depth=1
	flat_load_b64 v[10:11], v[12:13] offset:128
	s_wait_loadcnt_dscnt 0x0
	v_mul_f64_e32 v[10:11], s[40:41], v[10:11]
	s_delay_alu instid0(VALU_DEP_1)
	v_fma_f64 v[8:9], s[10:11], v[8:9], v[10:11]
	flat_store_b64 v[6:7], v[8:9] offset:128
	s_branch .LBB227_2
.LBB227_35:
	s_endpgm
	.section	.rodata,"a",@progbits
	.p2align	6, 0x0
	.amdhsa_kernel _ZN12_GLOBAL__N_135rocblas_gemm_batched_general_kernelIdLi16ELi16ELi32ELi32ELi8ELi32ELi8ELi8ELi32ELc67ELc67EKPKdS3_KPdEEvlllT_PT11_llS8_llS6_PT12_llPT13_lli
		.amdhsa_group_segment_fixed_size 4096
		.amdhsa_private_segment_fixed_size 0
		.amdhsa_kernarg_size 140
		.amdhsa_user_sgpr_count 2
		.amdhsa_user_sgpr_dispatch_ptr 0
		.amdhsa_user_sgpr_queue_ptr 0
		.amdhsa_user_sgpr_kernarg_segment_ptr 1
		.amdhsa_user_sgpr_dispatch_id 0
		.amdhsa_user_sgpr_private_segment_size 0
		.amdhsa_wavefront_size32 1
		.amdhsa_uses_dynamic_stack 0
		.amdhsa_enable_private_segment 0
		.amdhsa_system_sgpr_workgroup_id_x 1
		.amdhsa_system_sgpr_workgroup_id_y 1
		.amdhsa_system_sgpr_workgroup_id_z 1
		.amdhsa_system_sgpr_workgroup_info 0
		.amdhsa_system_vgpr_workitem_id 1
		.amdhsa_next_free_vgpr 53
		.amdhsa_next_free_sgpr 52
		.amdhsa_reserve_vcc 1
		.amdhsa_float_round_mode_32 0
		.amdhsa_float_round_mode_16_64 0
		.amdhsa_float_denorm_mode_32 3
		.amdhsa_float_denorm_mode_16_64 3
		.amdhsa_fp16_overflow 0
		.amdhsa_workgroup_processor_mode 1
		.amdhsa_memory_ordered 1
		.amdhsa_forward_progress 1
		.amdhsa_inst_pref_size 20
		.amdhsa_round_robin_scheduling 0
		.amdhsa_exception_fp_ieee_invalid_op 0
		.amdhsa_exception_fp_denorm_src 0
		.amdhsa_exception_fp_ieee_div_zero 0
		.amdhsa_exception_fp_ieee_overflow 0
		.amdhsa_exception_fp_ieee_underflow 0
		.amdhsa_exception_fp_ieee_inexact 0
		.amdhsa_exception_int_div_zero 0
	.end_amdhsa_kernel
	.section	.text._ZN12_GLOBAL__N_135rocblas_gemm_batched_general_kernelIdLi16ELi16ELi32ELi32ELi8ELi32ELi8ELi8ELi32ELc67ELc67EKPKdS3_KPdEEvlllT_PT11_llS8_llS6_PT12_llPT13_lli,"axG",@progbits,_ZN12_GLOBAL__N_135rocblas_gemm_batched_general_kernelIdLi16ELi16ELi32ELi32ELi8ELi32ELi8ELi8ELi32ELc67ELc67EKPKdS3_KPdEEvlllT_PT11_llS8_llS6_PT12_llPT13_lli,comdat
.Lfunc_end227:
	.size	_ZN12_GLOBAL__N_135rocblas_gemm_batched_general_kernelIdLi16ELi16ELi32ELi32ELi8ELi32ELi8ELi8ELi32ELc67ELc67EKPKdS3_KPdEEvlllT_PT11_llS8_llS6_PT12_llPT13_lli, .Lfunc_end227-_ZN12_GLOBAL__N_135rocblas_gemm_batched_general_kernelIdLi16ELi16ELi32ELi32ELi8ELi32ELi8ELi8ELi32ELc67ELc67EKPKdS3_KPdEEvlllT_PT11_llS8_llS6_PT12_llPT13_lli
                                        ; -- End function
	.set _ZN12_GLOBAL__N_135rocblas_gemm_batched_general_kernelIdLi16ELi16ELi32ELi32ELi8ELi32ELi8ELi8ELi32ELc67ELc67EKPKdS3_KPdEEvlllT_PT11_llS8_llS6_PT12_llPT13_lli.num_vgpr, 53
	.set _ZN12_GLOBAL__N_135rocblas_gemm_batched_general_kernelIdLi16ELi16ELi32ELi32ELi8ELi32ELi8ELi8ELi32ELc67ELc67EKPKdS3_KPdEEvlllT_PT11_llS8_llS6_PT12_llPT13_lli.num_agpr, 0
	.set _ZN12_GLOBAL__N_135rocblas_gemm_batched_general_kernelIdLi16ELi16ELi32ELi32ELi8ELi32ELi8ELi8ELi32ELc67ELc67EKPKdS3_KPdEEvlllT_PT11_llS8_llS6_PT12_llPT13_lli.numbered_sgpr, 52
	.set _ZN12_GLOBAL__N_135rocblas_gemm_batched_general_kernelIdLi16ELi16ELi32ELi32ELi8ELi32ELi8ELi8ELi32ELc67ELc67EKPKdS3_KPdEEvlllT_PT11_llS8_llS6_PT12_llPT13_lli.num_named_barrier, 0
	.set _ZN12_GLOBAL__N_135rocblas_gemm_batched_general_kernelIdLi16ELi16ELi32ELi32ELi8ELi32ELi8ELi8ELi32ELc67ELc67EKPKdS3_KPdEEvlllT_PT11_llS8_llS6_PT12_llPT13_lli.private_seg_size, 0
	.set _ZN12_GLOBAL__N_135rocblas_gemm_batched_general_kernelIdLi16ELi16ELi32ELi32ELi8ELi32ELi8ELi8ELi32ELc67ELc67EKPKdS3_KPdEEvlllT_PT11_llS8_llS6_PT12_llPT13_lli.uses_vcc, 1
	.set _ZN12_GLOBAL__N_135rocblas_gemm_batched_general_kernelIdLi16ELi16ELi32ELi32ELi8ELi32ELi8ELi8ELi32ELc67ELc67EKPKdS3_KPdEEvlllT_PT11_llS8_llS6_PT12_llPT13_lli.uses_flat_scratch, 0
	.set _ZN12_GLOBAL__N_135rocblas_gemm_batched_general_kernelIdLi16ELi16ELi32ELi32ELi8ELi32ELi8ELi8ELi32ELc67ELc67EKPKdS3_KPdEEvlllT_PT11_llS8_llS6_PT12_llPT13_lli.has_dyn_sized_stack, 0
	.set _ZN12_GLOBAL__N_135rocblas_gemm_batched_general_kernelIdLi16ELi16ELi32ELi32ELi8ELi32ELi8ELi8ELi32ELc67ELc67EKPKdS3_KPdEEvlllT_PT11_llS8_llS6_PT12_llPT13_lli.has_recursion, 0
	.set _ZN12_GLOBAL__N_135rocblas_gemm_batched_general_kernelIdLi16ELi16ELi32ELi32ELi8ELi32ELi8ELi8ELi32ELc67ELc67EKPKdS3_KPdEEvlllT_PT11_llS8_llS6_PT12_llPT13_lli.has_indirect_call, 0
	.section	.AMDGPU.csdata,"",@progbits
; Kernel info:
; codeLenInByte = 2492
; TotalNumSgprs: 54
; NumVgprs: 53
; ScratchSize: 0
; MemoryBound: 0
; FloatMode: 240
; IeeeMode: 1
; LDSByteSize: 4096 bytes/workgroup (compile time only)
; SGPRBlocks: 0
; VGPRBlocks: 6
; NumSGPRsForWavesPerEU: 54
; NumVGPRsForWavesPerEU: 53
; Occupancy: 16
; WaveLimiterHint : 1
; COMPUTE_PGM_RSRC2:SCRATCH_EN: 0
; COMPUTE_PGM_RSRC2:USER_SGPR: 2
; COMPUTE_PGM_RSRC2:TRAP_HANDLER: 0
; COMPUTE_PGM_RSRC2:TGID_X_EN: 1
; COMPUTE_PGM_RSRC2:TGID_Y_EN: 1
; COMPUTE_PGM_RSRC2:TGID_Z_EN: 1
; COMPUTE_PGM_RSRC2:TIDIG_COMP_CNT: 1
	.section	.text._ZN12_GLOBAL__N_135rocblas_gemm_batched_general_kernelIdLi16ELi16ELi32ELi32ELi8ELi32ELi8ELi8ELi32ELc67ELc78EKPKdS3_KPdEEvlllT_PT11_llS8_llS6_PT12_llPT13_lli,"axG",@progbits,_ZN12_GLOBAL__N_135rocblas_gemm_batched_general_kernelIdLi16ELi16ELi32ELi32ELi8ELi32ELi8ELi8ELi32ELc67ELc78EKPKdS3_KPdEEvlllT_PT11_llS8_llS6_PT12_llPT13_lli,comdat
	.globl	_ZN12_GLOBAL__N_135rocblas_gemm_batched_general_kernelIdLi16ELi16ELi32ELi32ELi8ELi32ELi8ELi8ELi32ELc67ELc78EKPKdS3_KPdEEvlllT_PT11_llS8_llS6_PT12_llPT13_lli ; -- Begin function _ZN12_GLOBAL__N_135rocblas_gemm_batched_general_kernelIdLi16ELi16ELi32ELi32ELi8ELi32ELi8ELi8ELi32ELc67ELc78EKPKdS3_KPdEEvlllT_PT11_llS8_llS6_PT12_llPT13_lli
	.p2align	8
	.type	_ZN12_GLOBAL__N_135rocblas_gemm_batched_general_kernelIdLi16ELi16ELi32ELi32ELi8ELi32ELi8ELi8ELi32ELc67ELc78EKPKdS3_KPdEEvlllT_PT11_llS8_llS6_PT12_llPT13_lli,@function
_ZN12_GLOBAL__N_135rocblas_gemm_batched_general_kernelIdLi16ELi16ELi32ELi32ELi8ELi32ELi8ELi8ELi32ELc67ELc78EKPKdS3_KPdEEvlllT_PT11_llS8_llS6_PT12_llPT13_lli: ; @_ZN12_GLOBAL__N_135rocblas_gemm_batched_general_kernelIdLi16ELi16ELi32ELi32ELi8ELi32ELi8ELi8ELi32ELc67ELc78EKPKdS3_KPdEEvlllT_PT11_llS8_llS6_PT12_llPT13_lli
; %bb.0:
	s_load_b32 s26, s[0:1], 0x88
	s_lshr_b32 s20, ttmp7, 16
	s_wait_kmcnt 0x0
	s_cmp_ge_i32 s20, s26
	s_cbranch_scc1 .LBB228_35
; %bb.1:
	s_mov_b32 s2, ttmp9
	s_ashr_i32 s3, ttmp9, 31
	v_bfe_u32 v1, v0, 10, 10
	s_lshl_b64 s[24:25], s[2:3], 5
	s_delay_alu instid0(SALU_CYCLE_1)
	v_dual_mov_b32 v5, s25 :: v_dual_and_b32 v2, 0x3ff, v0
	s_clause 0x1
	s_load_b512 s[4:19], s[0:1], 0x0
	s_load_b512 s[36:51], s[0:1], 0x40
	v_and_b32_e32 v26, 7, v0
	s_load_b64 s[22:23], s[0:1], 0x80
	v_lshl_add_u32 v3, v1, 4, v2
	s_and_b32 s0, ttmp7, 0xffff
	s_delay_alu instid0(VALU_DEP_2) | instskip(SKIP_1) | instid1(VALU_DEP_2)
	v_dual_mov_b32 v28, 0 :: v_dual_lshlrev_b32 v19, 3, v26
	s_lshl_b32 s2, s0, 5
	v_and_b32_e32 v0, 31, v3
	v_lshrrev_b32_e32 v27, 5, v3
	v_lshrrev_b32_e32 v3, 3, v3
	v_lshlrev_b32_e32 v31, 3, v2
	v_lshl_add_u32 v32, v1, 6, 0x800
	v_or_b32_e32 v4, s24, v0
	v_lshlrev_b32_e32 v0, 3, v0
	v_add_co_u32 v6, s0, v3, s2
	s_delay_alu instid0(VALU_DEP_1) | instskip(SKIP_1) | instid1(VALU_DEP_4)
	v_add_co_ci_u32_e64 v7, null, 0, 0, s0
	v_lshl_or_b32 v3, v3, 6, v19
	v_lshl_or_b32 v29, v27, 8, v0
	s_wait_kmcnt 0x0
	v_mad_co_u64_u32 v[11:12], null, s36, v6, 0
	v_cmp_gt_i64_e64 s1, s[6:7], v[6:7]
	v_add_co_u32 v7, s2, s2, v1
	s_wait_alu 0xf1ff
	v_add_co_ci_u32_e64 v8, null, 0, 0, s2
	v_add_co_u32 v2, s2, s24, v2
	v_add_nc_u32_e32 v30, 0x800, v3
	s_wait_alu 0xf1ff
	v_add_co_ci_u32_e64 v3, null, s25, 0, s2
	v_mad_co_u64_u32 v[0:1], null, v7, s50, 0
	v_add_co_u32 v9, vcc_lo, v2, 16
	s_delay_alu instid0(VALU_DEP_1) | instskip(SKIP_3) | instid1(VALU_DEP_4)
	v_add_co_ci_u32_e64 v10, null, 0, v3, vcc_lo
	v_cmp_gt_i64_e64 s0, s[4:5], v[4:5]
	v_cmp_gt_i64_e64 s3, s[4:5], v[2:3]
	v_mad_co_u64_u32 v[13:14], null, v7, s44, 0
	v_cmp_gt_i64_e64 s4, s[4:5], v[9:10]
	v_mad_co_u64_u32 v[9:10], null, v7, s51, v[1:2]
	v_mov_b32_e32 v1, v12
	v_cmp_eq_f64_e64 s27, s[40:41], 0
	v_add_co_u32 v15, vcc_lo, v7, 16
	v_cmp_gt_i64_e64 s2, s[6:7], v[7:8]
	s_delay_alu instid0(VALU_DEP_4)
	v_mad_co_u64_u32 v[5:6], null, s37, v6, v[1:2]
	s_wait_alu 0xfffd
	v_add_co_ci_u32_e64 v16, null, 0, v8, vcc_lo
	v_mov_b32_e32 v1, v14
	v_mul_lo_u32 v8, s15, v4
	v_mad_co_u64_u32 v[17:18], null, s14, v4, 0
	v_mov_b32_e32 v12, v5
	s_delay_alu instid0(VALU_DEP_4)
	v_mad_co_u64_u32 v[6:7], null, v7, s45, v[1:2]
	s_mul_i32 s14, s14, s25
	v_cmp_gt_i64_e64 s5, s[6:7], v[15:16]
	v_lshlrev_b64_e32 v[4:5], 3, v[11:12]
	s_wait_alu 0xfffe
	v_add3_u32 v18, v18, s14, v8
	s_lshl_b64 s[14:15], s[38:39], 3
	v_lshlrev_b32_e32 v8, 3, v27
	v_mov_b32_e32 v14, v6
	v_cmp_gt_i64_e64 s28, s[8:9], 0
	v_lshlrev_b64_e32 v[6:7], 3, v[17:18]
	s_wait_alu 0xfffe
	v_add_co_u32 v4, vcc_lo, v4, s14
	s_wait_alu 0xfffd
	v_add_co_ci_u32_e64 v5, null, s15, v5, vcc_lo
	s_lshl_b64 s[14:15], s[16:17], 3
	v_mov_b32_e32 v1, v9
	s_wait_alu 0xfffe
	v_add_co_u32 v6, vcc_lo, v6, s14
	s_wait_alu 0xfffd
	v_add_co_ci_u32_e64 v7, null, s15, v7, vcc_lo
	v_add_co_u32 v33, vcc_lo, v4, v19
	s_wait_alu 0xfffd
	v_add_co_ci_u32_e64 v34, null, 0, v5, vcc_lo
	v_add_co_u32 v35, vcc_lo, v6, v8
	v_lshlrev_b64_e32 v[4:5], 3, v[13:14]
	s_wait_alu 0xfffd
	v_add_co_ci_u32_e64 v36, null, 0, v7, vcc_lo
	s_lshl_b64 s[24:25], s[44:45], 4
	s_mov_b32 s21, 0
	s_lshl_b64 s[6:7], s[50:51], 4
	s_lshl_b64 s[14:15], s[22:23], 3
	;; [unrolled: 1-line block ×3, first 2 shown]
	s_wait_alu 0xfffe
	s_lshl_b64 s[22:23], s[24:25], 3
	s_branch .LBB228_4
.LBB228_2:                              ;   in Loop: Header=BB228_4 Depth=1
	s_wait_alu 0xfffe
	s_or_b32 exec_lo, exec_lo, s24
.LBB228_3:                              ;   in Loop: Header=BB228_4 Depth=1
	s_add_co_i32 s20, s20, 0x10000
	s_delay_alu instid0(SALU_CYCLE_1)
	s_cmp_lt_i32 s20, s26
	s_cbranch_scc0 .LBB228_35
.LBB228_4:                              ; =>This Loop Header: Depth=1
                                        ;     Child Loop BB228_7 Depth 2
	s_lshl_b64 s[24:25], s[20:21], 3
	s_and_not1_b32 vcc_lo, exec_lo, s28
	s_wait_alu 0xfffe
	s_add_nc_u64 s[30:31], s[42:43], s[24:25]
	s_add_nc_u64 s[34:35], s[48:49], s[24:25]
	s_clause 0x1
	global_load_b64 v[6:7], v28, s[30:31]
	global_load_b64 v[16:17], v28, s[34:35]
	s_cbranch_vccnz .LBB228_11
; %bb.5:                                ;   in Loop: Header=BB228_4 Depth=1
	s_add_nc_u64 s[30:31], s[18:19], s[24:25]
	s_add_nc_u64 s[24:25], s[12:13], s[24:25]
	s_clause 0x1
	global_load_b64 v[18:19], v28, s[30:31]
	global_load_b64 v[20:21], v28, s[24:25]
	v_mov_b32_e32 v8, 0
	v_dual_mov_b32 v12, 0 :: v_dual_mov_b32 v9, 0
	v_dual_mov_b32 v10, 0 :: v_dual_mov_b32 v13, 0
	;; [unrolled: 1-line block ×3, first 2 shown]
	v_mov_b32_e32 v15, 0
	s_mov_b64 s[24:25], 0
	s_wait_loadcnt 0x1
	v_add_co_u32 v18, vcc_lo, v18, v33
	s_wait_alu 0xfffd
	v_add_co_ci_u32_e64 v19, null, v19, v34, vcc_lo
	s_wait_loadcnt 0x0
	v_add_co_u32 v20, vcc_lo, v20, v35
	s_wait_alu 0xfffd
	v_add_co_ci_u32_e64 v21, null, v21, v36, vcc_lo
	s_branch .LBB228_7
.LBB228_6:                              ;   in Loop: Header=BB228_7 Depth=2
	s_wait_alu 0xfffe
	s_or_b32 exec_lo, exec_lo, s29
	s_wait_loadcnt_dscnt 0x0
	ds_store_b64 v30, v[24:25]
	s_wait_dscnt 0x0
	s_barrier_signal -1
	s_barrier_wait -1
	global_inv scope:SCOPE_SE
	ds_load_b128 v[22:25], v32
	ds_load_2addr_b64 v[37:40], v31 offset1:16
	ds_load_b128 v[41:44], v32 offset:1024
	ds_load_b128 v[45:48], v32 offset:16
	ds_load_b128 v[49:52], v32 offset:1040
	s_add_nc_u64 s[24:25], s[24:25], 8
	v_add_co_u32 v18, vcc_lo, v18, 64
	s_wait_alu 0xfffe
	v_cmp_lt_i64_e64 s29, s[24:25], s[8:9]
	s_wait_alu 0xfffd
	v_add_co_ci_u32_e64 v19, null, 0, v19, vcc_lo
	v_add_co_u32 v20, vcc_lo, v20, 64
	s_wait_alu 0xfffd
	v_add_co_ci_u32_e64 v21, null, 0, v21, vcc_lo
	s_and_b32 vcc_lo, exec_lo, s29
	s_wait_dscnt 0x3
	v_fma_f64 v[14:15], v[37:38], v[22:23], v[14:15]
	v_fma_f64 v[12:13], v[39:40], v[22:23], v[12:13]
	s_wait_dscnt 0x2
	v_fma_f64 v[22:23], v[37:38], v[41:42], v[10:11]
	v_fma_f64 v[37:38], v[39:40], v[41:42], v[8:9]
	ds_load_2addr_b64 v[8:11], v31 offset0:32 offset1:48
	s_wait_dscnt 0x0
	v_fma_f64 v[14:15], v[8:9], v[24:25], v[14:15]
	v_fma_f64 v[12:13], v[10:11], v[24:25], v[12:13]
	v_fma_f64 v[22:23], v[8:9], v[43:44], v[22:23]
	v_fma_f64 v[24:25], v[10:11], v[43:44], v[37:38]
	ds_load_2addr_b64 v[8:11], v31 offset0:64 offset1:80
	s_wait_dscnt 0x0
	v_fma_f64 v[14:15], v[8:9], v[45:46], v[14:15]
	v_fma_f64 v[12:13], v[10:11], v[45:46], v[12:13]
	v_fma_f64 v[22:23], v[8:9], v[49:50], v[22:23]
	v_fma_f64 v[24:25], v[10:11], v[49:50], v[24:25]
	ds_load_2addr_b64 v[8:11], v31 offset0:96 offset1:112
	s_wait_dscnt 0x0
	v_fma_f64 v[45:46], v[8:9], v[47:48], v[14:15]
	v_fma_f64 v[47:48], v[10:11], v[47:48], v[12:13]
	v_fma_f64 v[49:50], v[8:9], v[51:52], v[22:23]
	v_fma_f64 v[51:52], v[10:11], v[51:52], v[24:25]
	ds_load_b128 v[8:11], v32 offset:32
	ds_load_2addr_b64 v[12:15], v31 offset0:128 offset1:144
	ds_load_b128 v[22:25], v32 offset:1056
	ds_load_b128 v[37:40], v32 offset:48
	;; [unrolled: 1-line block ×3, first 2 shown]
	s_wait_dscnt 0x3
	v_fma_f64 v[45:46], v[12:13], v[8:9], v[45:46]
	v_fma_f64 v[8:9], v[14:15], v[8:9], v[47:48]
	s_wait_dscnt 0x2
	v_fma_f64 v[47:48], v[12:13], v[22:23], v[49:50]
	v_fma_f64 v[22:23], v[14:15], v[22:23], v[51:52]
	ds_load_2addr_b64 v[12:15], v31 offset0:160 offset1:176
	s_wait_dscnt 0x0
	v_fma_f64 v[45:46], v[12:13], v[10:11], v[45:46]
	v_fma_f64 v[49:50], v[14:15], v[10:11], v[8:9]
	;; [unrolled: 1-line block ×4, first 2 shown]
	ds_load_2addr_b64 v[8:11], v31 offset0:192 offset1:208
	ds_load_2addr_b64 v[22:25], v31 offset0:224 offset1:240
	s_wait_loadcnt_dscnt 0x0
	s_barrier_signal -1
	s_barrier_wait -1
	global_inv scope:SCOPE_SE
	v_fma_f64 v[45:46], v[8:9], v[37:38], v[45:46]
	v_fma_f64 v[37:38], v[10:11], v[37:38], v[49:50]
	;; [unrolled: 1-line block ×4, first 2 shown]
	s_delay_alu instid0(VALU_DEP_4) | instskip(NEXT) | instid1(VALU_DEP_4)
	v_fma_f64 v[14:15], v[22:23], v[39:40], v[45:46]
	v_fma_f64 v[12:13], v[24:25], v[39:40], v[37:38]
	s_delay_alu instid0(VALU_DEP_4) | instskip(NEXT) | instid1(VALU_DEP_4)
	v_fma_f64 v[10:11], v[22:23], v[43:44], v[8:9]
	v_fma_f64 v[8:9], v[24:25], v[43:44], v[41:42]
	s_wait_alu 0xfffe
	s_cbranch_vccz .LBB228_12
.LBB228_7:                              ;   Parent Loop BB228_4 Depth=1
                                        ; =>  This Inner Loop Header: Depth=2
	s_wait_alu 0xfffe
	v_add_co_u32 v22, s29, v27, s24
	s_wait_alu 0xf1ff
	v_add_co_ci_u32_e64 v23, null, 0, s25, s29
	s_delay_alu instid0(VALU_DEP_1)
	v_cmp_gt_i64_e32 vcc_lo, s[8:9], v[22:23]
	v_mov_b32_e32 v22, 0
	v_mov_b32_e32 v23, 0
	s_and_b32 s30, s0, vcc_lo
	s_wait_alu 0xfffe
	s_and_saveexec_b32 s29, s30
	s_cbranch_execz .LBB228_9
; %bb.8:                                ;   in Loop: Header=BB228_7 Depth=2
	flat_load_b64 v[22:23], v[20:21]
.LBB228_9:                              ;   in Loop: Header=BB228_7 Depth=2
	s_wait_alu 0xfffe
	s_or_b32 exec_lo, exec_lo, s29
	v_add_co_u32 v24, s29, v26, s24
	s_wait_alu 0xf1ff
	v_add_co_ci_u32_e64 v25, null, 0, s25, s29
	s_wait_loadcnt_dscnt 0x0
	ds_store_b64 v29, v[22:23]
	v_cmp_gt_i64_e32 vcc_lo, s[8:9], v[24:25]
	v_mov_b32_e32 v24, 0
	v_mov_b32_e32 v25, 0
	s_and_b32 s30, vcc_lo, s1
	s_wait_alu 0xfffe
	s_and_saveexec_b32 s29, s30
	s_cbranch_execz .LBB228_6
; %bb.10:                               ;   in Loop: Header=BB228_7 Depth=2
	flat_load_b64 v[24:25], v[18:19]
	s_branch .LBB228_6
.LBB228_11:                             ;   in Loop: Header=BB228_4 Depth=1
	v_mov_b32_e32 v14, 0
	v_dual_mov_b32 v10, 0 :: v_dual_mov_b32 v15, 0
	v_dual_mov_b32 v12, 0 :: v_dual_mov_b32 v11, 0
	;; [unrolled: 1-line block ×3, first 2 shown]
	v_mov_b32_e32 v9, 0
.LBB228_12:                             ;   in Loop: Header=BB228_4 Depth=1
	s_wait_loadcnt 0x0
	v_add_co_u32 v18, vcc_lo, v16, s14
	s_wait_alu 0xfffd
	v_add_co_ci_u32_e64 v19, null, s15, v17, vcc_lo
	s_and_not1_b32 vcc_lo, exec_lo, s27
	s_wait_alu 0xfffe
	s_cbranch_vccnz .LBB228_17
; %bb.13:                               ;   in Loop: Header=BB228_4 Depth=1
	s_and_saveexec_b32 s24, s2
	s_cbranch_execz .LBB228_24
; %bb.14:                               ;   in Loop: Header=BB228_4 Depth=1
	v_lshlrev_b64_e32 v[16:17], 3, v[0:1]
	s_delay_alu instid0(VALU_DEP_1) | instskip(SKIP_1) | instid1(VALU_DEP_2)
	v_add_co_u32 v16, vcc_lo, v18, v16
	s_wait_alu 0xfffd
	v_add_co_ci_u32_e64 v17, null, v19, v17, vcc_lo
	s_and_saveexec_b32 s25, s3
	s_cbranch_execnz .LBB228_18
; %bb.15:                               ;   in Loop: Header=BB228_4 Depth=1
	s_wait_alu 0xfffe
	s_or_b32 exec_lo, exec_lo, s25
	s_and_saveexec_b32 s25, s4
	s_cbranch_execnz .LBB228_19
.LBB228_16:                             ;   in Loop: Header=BB228_4 Depth=1
	s_wait_alu 0xfffe
	s_or_b32 exec_lo, exec_lo, s25
	s_delay_alu instid0(SALU_CYCLE_1)
	s_and_b32 exec_lo, exec_lo, s5
	s_cbranch_execnz .LBB228_20
	s_branch .LBB228_24
.LBB228_17:                             ;   in Loop: Header=BB228_4 Depth=1
	s_branch .LBB228_25
.LBB228_18:                             ;   in Loop: Header=BB228_4 Depth=1
	v_mul_f64_e32 v[20:21], s[10:11], v[14:15]
	v_lshlrev_b64_e32 v[22:23], 3, v[2:3]
	s_delay_alu instid0(VALU_DEP_1) | instskip(SKIP_1) | instid1(VALU_DEP_2)
	v_add_co_u32 v22, vcc_lo, v16, v22
	s_wait_alu 0xfffd
	v_add_co_ci_u32_e64 v23, null, v17, v23, vcc_lo
	flat_store_b64 v[22:23], v[20:21]
	s_wait_alu 0xfffe
	s_or_b32 exec_lo, exec_lo, s25
	s_and_saveexec_b32 s25, s4
	s_cbranch_execz .LBB228_16
.LBB228_19:                             ;   in Loop: Header=BB228_4 Depth=1
	v_mul_f64_e32 v[20:21], s[10:11], v[12:13]
	v_lshlrev_b64_e32 v[22:23], 3, v[2:3]
	s_delay_alu instid0(VALU_DEP_1) | instskip(SKIP_1) | instid1(VALU_DEP_2)
	v_add_co_u32 v22, vcc_lo, v16, v22
	s_wait_alu 0xfffd
	v_add_co_ci_u32_e64 v23, null, v17, v23, vcc_lo
	flat_store_b64 v[22:23], v[20:21] offset:128
	s_wait_alu 0xfffe
	s_or_b32 exec_lo, exec_lo, s25
	s_delay_alu instid0(SALU_CYCLE_1)
	s_and_b32 exec_lo, exec_lo, s5
	s_cbranch_execz .LBB228_24
.LBB228_20:                             ;   in Loop: Header=BB228_4 Depth=1
	s_lshl_b64 s[30:31], s[6:7], 3
	v_lshlrev_b64_e32 v[20:21], 3, v[2:3]
	s_wait_alu 0xfffe
	v_add_co_u32 v16, vcc_lo, v16, s30
	s_wait_alu 0xfffd
	v_add_co_ci_u32_e64 v17, null, s31, v17, vcc_lo
	s_delay_alu instid0(VALU_DEP_2) | instskip(SKIP_1) | instid1(VALU_DEP_2)
	v_add_co_u32 v16, vcc_lo, v16, v20
	s_wait_alu 0xfffd
	v_add_co_ci_u32_e64 v17, null, v17, v21, vcc_lo
	s_and_saveexec_b32 s25, s3
	s_cbranch_execz .LBB228_22
; %bb.21:                               ;   in Loop: Header=BB228_4 Depth=1
	v_mul_f64_e32 v[20:21], s[10:11], v[10:11]
	flat_store_b64 v[16:17], v[20:21]
.LBB228_22:                             ;   in Loop: Header=BB228_4 Depth=1
	s_wait_alu 0xfffe
	s_or_b32 exec_lo, exec_lo, s25
	s_delay_alu instid0(SALU_CYCLE_1)
	s_and_b32 exec_lo, exec_lo, s4
	s_cbranch_execz .LBB228_24
; %bb.23:                               ;   in Loop: Header=BB228_4 Depth=1
	v_mul_f64_e32 v[20:21], s[10:11], v[8:9]
	flat_store_b64 v[16:17], v[20:21] offset:128
.LBB228_24:                             ;   in Loop: Header=BB228_4 Depth=1
	s_wait_alu 0xfffe
	s_or_b32 exec_lo, exec_lo, s24
	s_cbranch_execnz .LBB228_3
.LBB228_25:                             ;   in Loop: Header=BB228_4 Depth=1
	s_and_saveexec_b32 s24, s2
	s_cbranch_execz .LBB228_2
; %bb.26:                               ;   in Loop: Header=BB228_4 Depth=1
	v_add_co_u32 v6, vcc_lo, v6, s16
	v_lshlrev_b64_e32 v[20:21], 3, v[0:1]
	s_wait_alu 0xfffd
	v_add_co_ci_u32_e64 v7, null, s17, v7, vcc_lo
	s_delay_alu instid0(VALU_DEP_3) | instskip(SKIP_1) | instid1(VALU_DEP_2)
	v_add_co_u32 v16, vcc_lo, v6, v4
	s_wait_alu 0xfffd
	v_add_co_ci_u32_e64 v17, null, v7, v5, vcc_lo
	v_add_co_u32 v18, vcc_lo, v18, v20
	v_lshlrev_b64_e32 v[6:7], 3, v[2:3]
	s_wait_alu 0xfffd
	v_add_co_ci_u32_e64 v19, null, v19, v21, vcc_lo
	s_and_saveexec_b32 s25, s3
	s_cbranch_execnz .LBB228_29
; %bb.27:                               ;   in Loop: Header=BB228_4 Depth=1
	s_wait_alu 0xfffe
	s_or_b32 exec_lo, exec_lo, s25
	s_and_saveexec_b32 s25, s4
	s_cbranch_execnz .LBB228_30
.LBB228_28:                             ;   in Loop: Header=BB228_4 Depth=1
	s_wait_alu 0xfffe
	s_or_b32 exec_lo, exec_lo, s25
	s_delay_alu instid0(SALU_CYCLE_1)
	s_and_b32 exec_lo, exec_lo, s5
	s_cbranch_execz .LBB228_2
	s_branch .LBB228_31
.LBB228_29:                             ;   in Loop: Header=BB228_4 Depth=1
	v_add_co_u32 v20, vcc_lo, v16, v6
	s_wait_alu 0xfffd
	v_add_co_ci_u32_e64 v21, null, v17, v7, vcc_lo
	flat_load_b64 v[20:21], v[20:21]
	s_wait_loadcnt_dscnt 0x0
	v_mul_f64_e32 v[20:21], s[40:41], v[20:21]
	s_delay_alu instid0(VALU_DEP_1)
	v_fma_f64 v[14:15], s[10:11], v[14:15], v[20:21]
	v_add_co_u32 v20, vcc_lo, v18, v6
	s_wait_alu 0xfffd
	v_add_co_ci_u32_e64 v21, null, v19, v7, vcc_lo
	flat_store_b64 v[20:21], v[14:15]
	s_wait_alu 0xfffe
	s_or_b32 exec_lo, exec_lo, s25
	s_and_saveexec_b32 s25, s4
	s_cbranch_execz .LBB228_28
.LBB228_30:                             ;   in Loop: Header=BB228_4 Depth=1
	v_add_co_u32 v14, vcc_lo, v16, v6
	s_wait_alu 0xfffd
	v_add_co_ci_u32_e64 v15, null, v17, v7, vcc_lo
	flat_load_b64 v[14:15], v[14:15] offset:128
	s_wait_loadcnt_dscnt 0x0
	v_mul_f64_e32 v[14:15], s[40:41], v[14:15]
	s_delay_alu instid0(VALU_DEP_1)
	v_fma_f64 v[12:13], s[10:11], v[12:13], v[14:15]
	v_add_co_u32 v14, vcc_lo, v18, v6
	s_wait_alu 0xfffd
	v_add_co_ci_u32_e64 v15, null, v19, v7, vcc_lo
	flat_store_b64 v[14:15], v[12:13] offset:128
	s_wait_alu 0xfffe
	s_or_b32 exec_lo, exec_lo, s25
	s_delay_alu instid0(SALU_CYCLE_1)
	s_and_b32 exec_lo, exec_lo, s5
	s_cbranch_execz .LBB228_2
.LBB228_31:                             ;   in Loop: Header=BB228_4 Depth=1
	v_add_co_u32 v12, vcc_lo, v16, s22
	s_lshl_b64 s[30:31], s[6:7], 3
	s_wait_alu 0xfffd
	v_add_co_ci_u32_e64 v13, null, s23, v17, vcc_lo
	s_wait_alu 0xfffe
	v_add_co_u32 v14, vcc_lo, v18, s30
	s_wait_alu 0xfffd
	v_add_co_ci_u32_e64 v15, null, s31, v19, vcc_lo
	v_add_co_u32 v12, vcc_lo, v12, v6
	s_wait_alu 0xfffd
	v_add_co_ci_u32_e64 v13, null, v13, v7, vcc_lo
	;; [unrolled: 3-line block ×3, first 2 shown]
	s_and_saveexec_b32 s25, s3
	s_cbranch_execz .LBB228_33
; %bb.32:                               ;   in Loop: Header=BB228_4 Depth=1
	flat_load_b64 v[14:15], v[12:13]
	s_wait_loadcnt_dscnt 0x0
	v_mul_f64_e32 v[14:15], s[40:41], v[14:15]
	s_delay_alu instid0(VALU_DEP_1)
	v_fma_f64 v[10:11], s[10:11], v[10:11], v[14:15]
	flat_store_b64 v[6:7], v[10:11]
.LBB228_33:                             ;   in Loop: Header=BB228_4 Depth=1
	s_wait_alu 0xfffe
	s_or_b32 exec_lo, exec_lo, s25
	s_delay_alu instid0(SALU_CYCLE_1)
	s_and_b32 exec_lo, exec_lo, s4
	s_cbranch_execz .LBB228_2
; %bb.34:                               ;   in Loop: Header=BB228_4 Depth=1
	flat_load_b64 v[10:11], v[12:13] offset:128
	s_wait_loadcnt_dscnt 0x0
	v_mul_f64_e32 v[10:11], s[40:41], v[10:11]
	s_delay_alu instid0(VALU_DEP_1)
	v_fma_f64 v[8:9], s[10:11], v[8:9], v[10:11]
	flat_store_b64 v[6:7], v[8:9] offset:128
	s_branch .LBB228_2
.LBB228_35:
	s_endpgm
	.section	.rodata,"a",@progbits
	.p2align	6, 0x0
	.amdhsa_kernel _ZN12_GLOBAL__N_135rocblas_gemm_batched_general_kernelIdLi16ELi16ELi32ELi32ELi8ELi32ELi8ELi8ELi32ELc67ELc78EKPKdS3_KPdEEvlllT_PT11_llS8_llS6_PT12_llPT13_lli
		.amdhsa_group_segment_fixed_size 4096
		.amdhsa_private_segment_fixed_size 0
		.amdhsa_kernarg_size 140
		.amdhsa_user_sgpr_count 2
		.amdhsa_user_sgpr_dispatch_ptr 0
		.amdhsa_user_sgpr_queue_ptr 0
		.amdhsa_user_sgpr_kernarg_segment_ptr 1
		.amdhsa_user_sgpr_dispatch_id 0
		.amdhsa_user_sgpr_private_segment_size 0
		.amdhsa_wavefront_size32 1
		.amdhsa_uses_dynamic_stack 0
		.amdhsa_enable_private_segment 0
		.amdhsa_system_sgpr_workgroup_id_x 1
		.amdhsa_system_sgpr_workgroup_id_y 1
		.amdhsa_system_sgpr_workgroup_id_z 1
		.amdhsa_system_sgpr_workgroup_info 0
		.amdhsa_system_vgpr_workitem_id 1
		.amdhsa_next_free_vgpr 53
		.amdhsa_next_free_sgpr 52
		.amdhsa_reserve_vcc 1
		.amdhsa_float_round_mode_32 0
		.amdhsa_float_round_mode_16_64 0
		.amdhsa_float_denorm_mode_32 3
		.amdhsa_float_denorm_mode_16_64 3
		.amdhsa_fp16_overflow 0
		.amdhsa_workgroup_processor_mode 1
		.amdhsa_memory_ordered 1
		.amdhsa_forward_progress 1
		.amdhsa_inst_pref_size 20
		.amdhsa_round_robin_scheduling 0
		.amdhsa_exception_fp_ieee_invalid_op 0
		.amdhsa_exception_fp_denorm_src 0
		.amdhsa_exception_fp_ieee_div_zero 0
		.amdhsa_exception_fp_ieee_overflow 0
		.amdhsa_exception_fp_ieee_underflow 0
		.amdhsa_exception_fp_ieee_inexact 0
		.amdhsa_exception_int_div_zero 0
	.end_amdhsa_kernel
	.section	.text._ZN12_GLOBAL__N_135rocblas_gemm_batched_general_kernelIdLi16ELi16ELi32ELi32ELi8ELi32ELi8ELi8ELi32ELc67ELc78EKPKdS3_KPdEEvlllT_PT11_llS8_llS6_PT12_llPT13_lli,"axG",@progbits,_ZN12_GLOBAL__N_135rocblas_gemm_batched_general_kernelIdLi16ELi16ELi32ELi32ELi8ELi32ELi8ELi8ELi32ELc67ELc78EKPKdS3_KPdEEvlllT_PT11_llS8_llS6_PT12_llPT13_lli,comdat
.Lfunc_end228:
	.size	_ZN12_GLOBAL__N_135rocblas_gemm_batched_general_kernelIdLi16ELi16ELi32ELi32ELi8ELi32ELi8ELi8ELi32ELc67ELc78EKPKdS3_KPdEEvlllT_PT11_llS8_llS6_PT12_llPT13_lli, .Lfunc_end228-_ZN12_GLOBAL__N_135rocblas_gemm_batched_general_kernelIdLi16ELi16ELi32ELi32ELi8ELi32ELi8ELi8ELi32ELc67ELc78EKPKdS3_KPdEEvlllT_PT11_llS8_llS6_PT12_llPT13_lli
                                        ; -- End function
	.set _ZN12_GLOBAL__N_135rocblas_gemm_batched_general_kernelIdLi16ELi16ELi32ELi32ELi8ELi32ELi8ELi8ELi32ELc67ELc78EKPKdS3_KPdEEvlllT_PT11_llS8_llS6_PT12_llPT13_lli.num_vgpr, 53
	.set _ZN12_GLOBAL__N_135rocblas_gemm_batched_general_kernelIdLi16ELi16ELi32ELi32ELi8ELi32ELi8ELi8ELi32ELc67ELc78EKPKdS3_KPdEEvlllT_PT11_llS8_llS6_PT12_llPT13_lli.num_agpr, 0
	.set _ZN12_GLOBAL__N_135rocblas_gemm_batched_general_kernelIdLi16ELi16ELi32ELi32ELi8ELi32ELi8ELi8ELi32ELc67ELc78EKPKdS3_KPdEEvlllT_PT11_llS8_llS6_PT12_llPT13_lli.numbered_sgpr, 52
	.set _ZN12_GLOBAL__N_135rocblas_gemm_batched_general_kernelIdLi16ELi16ELi32ELi32ELi8ELi32ELi8ELi8ELi32ELc67ELc78EKPKdS3_KPdEEvlllT_PT11_llS8_llS6_PT12_llPT13_lli.num_named_barrier, 0
	.set _ZN12_GLOBAL__N_135rocblas_gemm_batched_general_kernelIdLi16ELi16ELi32ELi32ELi8ELi32ELi8ELi8ELi32ELc67ELc78EKPKdS3_KPdEEvlllT_PT11_llS8_llS6_PT12_llPT13_lli.private_seg_size, 0
	.set _ZN12_GLOBAL__N_135rocblas_gemm_batched_general_kernelIdLi16ELi16ELi32ELi32ELi8ELi32ELi8ELi8ELi32ELc67ELc78EKPKdS3_KPdEEvlllT_PT11_llS8_llS6_PT12_llPT13_lli.uses_vcc, 1
	.set _ZN12_GLOBAL__N_135rocblas_gemm_batched_general_kernelIdLi16ELi16ELi32ELi32ELi8ELi32ELi8ELi8ELi32ELc67ELc78EKPKdS3_KPdEEvlllT_PT11_llS8_llS6_PT12_llPT13_lli.uses_flat_scratch, 0
	.set _ZN12_GLOBAL__N_135rocblas_gemm_batched_general_kernelIdLi16ELi16ELi32ELi32ELi8ELi32ELi8ELi8ELi32ELc67ELc78EKPKdS3_KPdEEvlllT_PT11_llS8_llS6_PT12_llPT13_lli.has_dyn_sized_stack, 0
	.set _ZN12_GLOBAL__N_135rocblas_gemm_batched_general_kernelIdLi16ELi16ELi32ELi32ELi8ELi32ELi8ELi8ELi32ELc67ELc78EKPKdS3_KPdEEvlllT_PT11_llS8_llS6_PT12_llPT13_lli.has_recursion, 0
	.set _ZN12_GLOBAL__N_135rocblas_gemm_batched_general_kernelIdLi16ELi16ELi32ELi32ELi8ELi32ELi8ELi8ELi32ELc67ELc78EKPKdS3_KPdEEvlllT_PT11_llS8_llS6_PT12_llPT13_lli.has_indirect_call, 0
	.section	.AMDGPU.csdata,"",@progbits
; Kernel info:
; codeLenInByte = 2472
; TotalNumSgprs: 54
; NumVgprs: 53
; ScratchSize: 0
; MemoryBound: 0
; FloatMode: 240
; IeeeMode: 1
; LDSByteSize: 4096 bytes/workgroup (compile time only)
; SGPRBlocks: 0
; VGPRBlocks: 6
; NumSGPRsForWavesPerEU: 54
; NumVGPRsForWavesPerEU: 53
; Occupancy: 16
; WaveLimiterHint : 1
; COMPUTE_PGM_RSRC2:SCRATCH_EN: 0
; COMPUTE_PGM_RSRC2:USER_SGPR: 2
; COMPUTE_PGM_RSRC2:TRAP_HANDLER: 0
; COMPUTE_PGM_RSRC2:TGID_X_EN: 1
; COMPUTE_PGM_RSRC2:TGID_Y_EN: 1
; COMPUTE_PGM_RSRC2:TGID_Z_EN: 1
; COMPUTE_PGM_RSRC2:TIDIG_COMP_CNT: 1
	.section	.text._ZN12_GLOBAL__N_135rocblas_gemm_batched_general_kernelIdLi16ELi16ELi32ELi32ELi8ELi32ELi8ELi8ELi32ELc67ELc84EKPKdS3_KPdEEvlllT_PT11_llS8_llS6_PT12_llPT13_lli,"axG",@progbits,_ZN12_GLOBAL__N_135rocblas_gemm_batched_general_kernelIdLi16ELi16ELi32ELi32ELi8ELi32ELi8ELi8ELi32ELc67ELc84EKPKdS3_KPdEEvlllT_PT11_llS8_llS6_PT12_llPT13_lli,comdat
	.globl	_ZN12_GLOBAL__N_135rocblas_gemm_batched_general_kernelIdLi16ELi16ELi32ELi32ELi8ELi32ELi8ELi8ELi32ELc67ELc84EKPKdS3_KPdEEvlllT_PT11_llS8_llS6_PT12_llPT13_lli ; -- Begin function _ZN12_GLOBAL__N_135rocblas_gemm_batched_general_kernelIdLi16ELi16ELi32ELi32ELi8ELi32ELi8ELi8ELi32ELc67ELc84EKPKdS3_KPdEEvlllT_PT11_llS8_llS6_PT12_llPT13_lli
	.p2align	8
	.type	_ZN12_GLOBAL__N_135rocblas_gemm_batched_general_kernelIdLi16ELi16ELi32ELi32ELi8ELi32ELi8ELi8ELi32ELc67ELc84EKPKdS3_KPdEEvlllT_PT11_llS8_llS6_PT12_llPT13_lli,@function
_ZN12_GLOBAL__N_135rocblas_gemm_batched_general_kernelIdLi16ELi16ELi32ELi32ELi8ELi32ELi8ELi8ELi32ELc67ELc84EKPKdS3_KPdEEvlllT_PT11_llS8_llS6_PT12_llPT13_lli: ; @_ZN12_GLOBAL__N_135rocblas_gemm_batched_general_kernelIdLi16ELi16ELi32ELi32ELi8ELi32ELi8ELi8ELi32ELc67ELc84EKPKdS3_KPdEEvlllT_PT11_llS8_llS6_PT12_llPT13_lli
; %bb.0:
	s_load_b32 s28, s[0:1], 0x88
	s_lshr_b32 s20, ttmp7, 16
	s_wait_kmcnt 0x0
	s_cmp_ge_i32 s20, s28
	s_cbranch_scc1 .LBB229_35
; %bb.1:
	s_clause 0x1
	s_load_b512 s[4:19], s[0:1], 0x0
	s_load_b512 s[36:51], s[0:1], 0x40
	v_bfe_u32 v2, v0, 10, 10
	v_dual_mov_b32 v28, 0 :: v_dual_and_b32 v3, 0x3ff, v0
	s_mov_b32 s2, ttmp9
	s_ashr_i32 s3, ttmp9, 31
	s_and_b32 s30, ttmp7, 0xffff
	s_delay_alu instid0(VALU_DEP_1) | instskip(SKIP_1) | instid1(SALU_CYCLE_1)
	v_lshl_add_u32 v18, v2, 4, v3
	s_lshl_b64 s[24:25], s[2:3], 5
	v_dual_mov_b32 v5, s25 :: v_dual_and_b32 v26, 7, v0
	s_lshl_b32 s2, s30, 5
	s_delay_alu instid0(VALU_DEP_2)
	v_and_b32_e32 v0, 31, v18
	v_lshrrev_b32_e32 v6, 3, v18
	s_load_b64 s[22:23], s[0:1], 0x80
	v_lshl_add_u32 v32, v2, 6, 0x800
	v_lshrrev_b32_e32 v27, 5, v18
	v_or_b32_e32 v4, s24, v0
	v_lshlrev_b32_e32 v31, 3, v3
	s_mov_b32 s21, 0
	s_wait_kmcnt 0x0
	v_mad_co_u64_u32 v[9:10], null, s36, v26, 0
	v_lshlrev_b32_e32 v7, 3, v0
	v_add_co_u32 v0, s0, v6, s2
	s_delay_alu instid0(VALU_DEP_1) | instskip(SKIP_2) | instid1(VALU_DEP_3)
	v_add_co_ci_u32_e64 v1, null, 0, 0, s0
	v_cmp_gt_i64_e64 s0, s[4:5], v[4:5]
	v_add_co_u32 v5, s2, s2, v2
	v_cmp_gt_i64_e64 s1, s[6:7], v[0:1]
	v_add_co_u32 v2, s3, s24, v3
	s_delay_alu instid0(VALU_DEP_3)
	v_mad_co_u64_u32 v[0:1], null, v5, s50, 0
	v_lshl_or_b32 v29, v27, 8, v7
	s_wait_alu 0xf1ff
	v_add_co_ci_u32_e64 v3, null, s25, 0, s3
	v_add_co_u32 v11, vcc_lo, v2, 16
	v_cmp_eq_f64_e64 s29, s[40:41], 0
	v_mad_co_u64_u32 v[13:14], null, v5, s51, v[1:2]
	v_lshlrev_b32_e32 v8, 3, v26
	v_add_co_ci_u32_e64 v12, null, 0, v3, vcc_lo
	v_add_co_u32 v14, vcc_lo, v5, 16
	s_delay_alu instid0(VALU_DEP_3) | instskip(SKIP_3) | instid1(VALU_DEP_4)
	v_lshl_or_b32 v6, v6, 6, v8
	v_mad_co_u64_u32 v[7:8], null, v5, s44, 0
	v_cmp_gt_i64_e64 s3, s[4:5], v[2:3]
	v_cmp_gt_i64_e64 s4, s[4:5], v[11:12]
	v_add_nc_u32_e32 v30, 0x800, v6
	v_add_co_ci_u32_e64 v6, null, 0, 0, s2
	s_lshl_b32 s30, s30, 8
	v_dual_mov_b32 v1, v8 :: v_dual_mov_b32 v8, v10
	v_cmp_gt_i64_e64 s2, s[6:7], v[5:6]
	s_wait_alu 0xfffd
	v_add_co_ci_u32_e64 v15, null, 0, v6, vcc_lo
	s_delay_alu instid0(VALU_DEP_3)
	v_mad_co_u64_u32 v[5:6], null, v5, s45, v[1:2]
	v_mad_co_u64_u32 v[16:17], null, s37, v26, v[8:9]
	v_mul_lo_u32 v6, s15, v4
	v_and_b32_e32 v11, 0x1ff8, v18
	s_mov_b32 s31, s21
	s_lshl_b64 s[34:35], s[38:39], 3
	s_delay_alu instid0(VALU_DEP_4)
	v_mov_b32_e32 v8, v5
	v_mad_co_u64_u32 v[4:5], null, s14, v4, 0
	v_mov_b32_e32 v10, v16
	s_mul_i32 s14, s14, s25
	s_add_nc_u64 s[30:31], s[34:35], s[30:31]
	v_cmp_gt_i64_e64 s5, s[6:7], v[14:15]
	v_mov_b32_e32 v1, v13
	v_lshlrev_b64_e32 v[9:10], 3, v[9:10]
	s_wait_alu 0xfffe
	v_add3_u32 v5, v5, s14, v6
	s_lshl_b64 s[14:15], s[16:17], 3
	s_lshl_b64 s[26:27], s[44:45], 4
	;; [unrolled: 1-line block ×4, first 2 shown]
	v_add_co_u32 v6, vcc_lo, s30, v9
	v_lshlrev_b64_e32 v[4:5], 3, v[4:5]
	s_wait_alu 0xfffd
	v_add_co_ci_u32_e64 v9, null, s31, v10, vcc_lo
	s_delay_alu instid0(VALU_DEP_3) | instskip(SKIP_2) | instid1(VALU_DEP_3)
	v_add_co_u32 v33, vcc_lo, v6, v11
	v_lshlrev_b32_e32 v6, 3, v27
	s_wait_alu 0xfffd
	v_add_co_ci_u32_e64 v34, null, 0, v9, vcc_lo
	s_wait_alu 0xfffe
	v_add_co_u32 v4, vcc_lo, v4, s14
	s_wait_alu 0xfffd
	v_add_co_ci_u32_e64 v5, null, s15, v5, vcc_lo
	v_cmp_gt_i64_e64 s30, s[8:9], 0
	s_delay_alu instid0(VALU_DEP_3) | instskip(SKIP_1) | instid1(VALU_DEP_3)
	v_add_co_u32 v35, vcc_lo, v4, v6
	s_wait_alu 0xfffd
	v_add_co_ci_u32_e64 v36, null, 0, v5, vcc_lo
	v_lshlrev_b64_e32 v[4:5], 3, v[7:8]
	s_lshl_b64 s[14:15], s[36:37], 6
	s_lshl_b64 s[22:23], s[46:47], 3
	;; [unrolled: 1-line block ×3, first 2 shown]
	s_branch .LBB229_4
.LBB229_2:                              ;   in Loop: Header=BB229_4 Depth=1
	s_wait_alu 0xfffe
	s_or_b32 exec_lo, exec_lo, s26
.LBB229_3:                              ;   in Loop: Header=BB229_4 Depth=1
	s_add_co_i32 s20, s20, 0x10000
	s_delay_alu instid0(SALU_CYCLE_1)
	s_cmp_lt_i32 s20, s28
	s_cbranch_scc0 .LBB229_35
.LBB229_4:                              ; =>This Loop Header: Depth=1
                                        ;     Child Loop BB229_7 Depth 2
	s_lshl_b64 s[26:27], s[20:21], 3
	s_and_not1_b32 vcc_lo, exec_lo, s30
	s_wait_alu 0xfffe
	s_add_nc_u64 s[34:35], s[42:43], s[26:27]
	s_add_nc_u64 s[36:37], s[48:49], s[26:27]
	s_clause 0x1
	global_load_b64 v[6:7], v28, s[34:35]
	global_load_b64 v[16:17], v28, s[36:37]
	s_cbranch_vccnz .LBB229_11
; %bb.5:                                ;   in Loop: Header=BB229_4 Depth=1
	s_add_nc_u64 s[34:35], s[18:19], s[26:27]
	s_add_nc_u64 s[26:27], s[12:13], s[26:27]
	s_clause 0x1
	global_load_b64 v[18:19], v28, s[34:35]
	global_load_b64 v[20:21], v28, s[26:27]
	v_mov_b32_e32 v8, 0
	v_dual_mov_b32 v12, 0 :: v_dual_mov_b32 v9, 0
	v_dual_mov_b32 v10, 0 :: v_dual_mov_b32 v13, 0
	;; [unrolled: 1-line block ×3, first 2 shown]
	v_mov_b32_e32 v15, 0
	s_mov_b64 s[26:27], 0
	s_wait_loadcnt 0x1
	v_add_co_u32 v18, vcc_lo, v18, v33
	s_wait_alu 0xfffd
	v_add_co_ci_u32_e64 v19, null, v19, v34, vcc_lo
	s_wait_loadcnt 0x0
	v_add_co_u32 v20, vcc_lo, v20, v35
	s_wait_alu 0xfffd
	v_add_co_ci_u32_e64 v21, null, v21, v36, vcc_lo
	s_branch .LBB229_7
.LBB229_6:                              ;   in Loop: Header=BB229_7 Depth=2
	s_wait_alu 0xfffe
	s_or_b32 exec_lo, exec_lo, s31
	s_wait_loadcnt_dscnt 0x0
	ds_store_b64 v30, v[24:25]
	s_wait_dscnt 0x0
	s_barrier_signal -1
	s_barrier_wait -1
	global_inv scope:SCOPE_SE
	ds_load_b128 v[22:25], v32
	ds_load_2addr_b64 v[37:40], v31 offset1:16
	ds_load_b128 v[41:44], v32 offset:1024
	ds_load_b128 v[45:48], v32 offset:16
	;; [unrolled: 1-line block ×3, first 2 shown]
	s_add_nc_u64 s[26:27], s[26:27], 8
	v_add_co_u32 v18, vcc_lo, v18, s14
	s_wait_alu 0xfffe
	v_cmp_lt_i64_e64 s31, s[26:27], s[8:9]
	s_wait_alu 0xfffd
	v_add_co_ci_u32_e64 v19, null, s15, v19, vcc_lo
	v_add_co_u32 v20, vcc_lo, v20, 64
	s_wait_alu 0xfffd
	v_add_co_ci_u32_e64 v21, null, 0, v21, vcc_lo
	s_and_b32 vcc_lo, exec_lo, s31
	s_wait_dscnt 0x3
	v_fma_f64 v[14:15], v[37:38], v[22:23], v[14:15]
	v_fma_f64 v[12:13], v[39:40], v[22:23], v[12:13]
	s_wait_dscnt 0x2
	v_fma_f64 v[22:23], v[37:38], v[41:42], v[10:11]
	v_fma_f64 v[37:38], v[39:40], v[41:42], v[8:9]
	ds_load_2addr_b64 v[8:11], v31 offset0:32 offset1:48
	s_wait_dscnt 0x0
	v_fma_f64 v[14:15], v[8:9], v[24:25], v[14:15]
	v_fma_f64 v[12:13], v[10:11], v[24:25], v[12:13]
	v_fma_f64 v[22:23], v[8:9], v[43:44], v[22:23]
	v_fma_f64 v[24:25], v[10:11], v[43:44], v[37:38]
	ds_load_2addr_b64 v[8:11], v31 offset0:64 offset1:80
	s_wait_dscnt 0x0
	v_fma_f64 v[14:15], v[8:9], v[45:46], v[14:15]
	v_fma_f64 v[12:13], v[10:11], v[45:46], v[12:13]
	;; [unrolled: 6-line block ×3, first 2 shown]
	v_fma_f64 v[49:50], v[8:9], v[51:52], v[22:23]
	v_fma_f64 v[51:52], v[10:11], v[51:52], v[24:25]
	ds_load_b128 v[8:11], v32 offset:32
	ds_load_2addr_b64 v[12:15], v31 offset0:128 offset1:144
	ds_load_b128 v[22:25], v32 offset:1056
	ds_load_b128 v[37:40], v32 offset:48
	ds_load_b128 v[41:44], v32 offset:1072
	s_wait_dscnt 0x3
	v_fma_f64 v[45:46], v[12:13], v[8:9], v[45:46]
	v_fma_f64 v[8:9], v[14:15], v[8:9], v[47:48]
	s_wait_dscnt 0x2
	v_fma_f64 v[47:48], v[12:13], v[22:23], v[49:50]
	v_fma_f64 v[22:23], v[14:15], v[22:23], v[51:52]
	ds_load_2addr_b64 v[12:15], v31 offset0:160 offset1:176
	s_wait_dscnt 0x0
	v_fma_f64 v[45:46], v[12:13], v[10:11], v[45:46]
	v_fma_f64 v[49:50], v[14:15], v[10:11], v[8:9]
	v_fma_f64 v[12:13], v[12:13], v[24:25], v[47:48]
	v_fma_f64 v[14:15], v[14:15], v[24:25], v[22:23]
	ds_load_2addr_b64 v[8:11], v31 offset0:192 offset1:208
	ds_load_2addr_b64 v[22:25], v31 offset0:224 offset1:240
	s_wait_loadcnt_dscnt 0x0
	s_barrier_signal -1
	s_barrier_wait -1
	global_inv scope:SCOPE_SE
	v_fma_f64 v[45:46], v[8:9], v[37:38], v[45:46]
	v_fma_f64 v[37:38], v[10:11], v[37:38], v[49:50]
	v_fma_f64 v[8:9], v[8:9], v[41:42], v[12:13]
	v_fma_f64 v[41:42], v[10:11], v[41:42], v[14:15]
	s_delay_alu instid0(VALU_DEP_4) | instskip(NEXT) | instid1(VALU_DEP_4)
	v_fma_f64 v[14:15], v[22:23], v[39:40], v[45:46]
	v_fma_f64 v[12:13], v[24:25], v[39:40], v[37:38]
	s_delay_alu instid0(VALU_DEP_4) | instskip(NEXT) | instid1(VALU_DEP_4)
	v_fma_f64 v[10:11], v[22:23], v[43:44], v[8:9]
	v_fma_f64 v[8:9], v[24:25], v[43:44], v[41:42]
	s_wait_alu 0xfffe
	s_cbranch_vccz .LBB229_12
.LBB229_7:                              ;   Parent Loop BB229_4 Depth=1
                                        ; =>  This Inner Loop Header: Depth=2
	s_wait_alu 0xfffe
	v_add_co_u32 v22, s31, v27, s26
	s_wait_alu 0xf1ff
	v_add_co_ci_u32_e64 v23, null, 0, s27, s31
	s_delay_alu instid0(VALU_DEP_1) | instskip(SKIP_3) | instid1(SALU_CYCLE_1)
	v_cmp_gt_i64_e32 vcc_lo, s[8:9], v[22:23]
	v_mov_b32_e32 v22, 0
	v_mov_b32_e32 v23, 0
	s_and_b32 s33, s0, vcc_lo
	s_and_saveexec_b32 s31, s33
	s_cbranch_execz .LBB229_9
; %bb.8:                                ;   in Loop: Header=BB229_7 Depth=2
	flat_load_b64 v[22:23], v[20:21]
.LBB229_9:                              ;   in Loop: Header=BB229_7 Depth=2
	s_wait_alu 0xfffe
	s_or_b32 exec_lo, exec_lo, s31
	v_add_co_u32 v24, s31, v26, s26
	s_wait_alu 0xf1ff
	v_add_co_ci_u32_e64 v25, null, 0, s27, s31
	s_wait_loadcnt_dscnt 0x0
	ds_store_b64 v29, v[22:23]
	v_cmp_gt_i64_e32 vcc_lo, s[8:9], v[24:25]
	v_mov_b32_e32 v24, 0
	v_mov_b32_e32 v25, 0
	s_and_b32 s33, vcc_lo, s1
	s_delay_alu instid0(SALU_CYCLE_1)
	s_and_saveexec_b32 s31, s33
	s_cbranch_execz .LBB229_6
; %bb.10:                               ;   in Loop: Header=BB229_7 Depth=2
	flat_load_b64 v[24:25], v[18:19]
	s_branch .LBB229_6
.LBB229_11:                             ;   in Loop: Header=BB229_4 Depth=1
	v_mov_b32_e32 v14, 0
	v_dual_mov_b32 v10, 0 :: v_dual_mov_b32 v15, 0
	v_dual_mov_b32 v12, 0 :: v_dual_mov_b32 v11, 0
	;; [unrolled: 1-line block ×3, first 2 shown]
	v_mov_b32_e32 v9, 0
.LBB229_12:                             ;   in Loop: Header=BB229_4 Depth=1
	s_wait_loadcnt 0x0
	v_add_co_u32 v18, vcc_lo, v16, s16
	s_wait_alu 0xfffd
	v_add_co_ci_u32_e64 v19, null, s17, v17, vcc_lo
	s_and_not1_b32 vcc_lo, exec_lo, s29
	s_wait_alu 0xfffe
	s_cbranch_vccnz .LBB229_17
; %bb.13:                               ;   in Loop: Header=BB229_4 Depth=1
	s_and_saveexec_b32 s26, s2
	s_cbranch_execz .LBB229_24
; %bb.14:                               ;   in Loop: Header=BB229_4 Depth=1
	v_lshlrev_b64_e32 v[16:17], 3, v[0:1]
	s_delay_alu instid0(VALU_DEP_1) | instskip(SKIP_1) | instid1(VALU_DEP_2)
	v_add_co_u32 v16, vcc_lo, v18, v16
	s_wait_alu 0xfffd
	v_add_co_ci_u32_e64 v17, null, v19, v17, vcc_lo
	s_and_saveexec_b32 s27, s3
	s_cbranch_execnz .LBB229_18
; %bb.15:                               ;   in Loop: Header=BB229_4 Depth=1
	s_wait_alu 0xfffe
	s_or_b32 exec_lo, exec_lo, s27
	s_and_saveexec_b32 s27, s4
	s_cbranch_execnz .LBB229_19
.LBB229_16:                             ;   in Loop: Header=BB229_4 Depth=1
	s_wait_alu 0xfffe
	s_or_b32 exec_lo, exec_lo, s27
	s_delay_alu instid0(SALU_CYCLE_1)
	s_and_b32 exec_lo, exec_lo, s5
	s_cbranch_execnz .LBB229_20
	s_branch .LBB229_24
.LBB229_17:                             ;   in Loop: Header=BB229_4 Depth=1
	s_branch .LBB229_25
.LBB229_18:                             ;   in Loop: Header=BB229_4 Depth=1
	v_mul_f64_e32 v[20:21], s[10:11], v[14:15]
	v_lshlrev_b64_e32 v[22:23], 3, v[2:3]
	s_delay_alu instid0(VALU_DEP_1) | instskip(SKIP_1) | instid1(VALU_DEP_2)
	v_add_co_u32 v22, vcc_lo, v16, v22
	s_wait_alu 0xfffd
	v_add_co_ci_u32_e64 v23, null, v17, v23, vcc_lo
	flat_store_b64 v[22:23], v[20:21]
	s_wait_alu 0xfffe
	s_or_b32 exec_lo, exec_lo, s27
	s_and_saveexec_b32 s27, s4
	s_cbranch_execz .LBB229_16
.LBB229_19:                             ;   in Loop: Header=BB229_4 Depth=1
	v_mul_f64_e32 v[20:21], s[10:11], v[12:13]
	v_lshlrev_b64_e32 v[22:23], 3, v[2:3]
	s_delay_alu instid0(VALU_DEP_1) | instskip(SKIP_1) | instid1(VALU_DEP_2)
	v_add_co_u32 v22, vcc_lo, v16, v22
	s_wait_alu 0xfffd
	v_add_co_ci_u32_e64 v23, null, v17, v23, vcc_lo
	flat_store_b64 v[22:23], v[20:21] offset:128
	s_wait_alu 0xfffe
	s_or_b32 exec_lo, exec_lo, s27
	s_delay_alu instid0(SALU_CYCLE_1)
	s_and_b32 exec_lo, exec_lo, s5
	s_cbranch_execz .LBB229_24
.LBB229_20:                             ;   in Loop: Header=BB229_4 Depth=1
	s_lshl_b64 s[34:35], s[6:7], 3
	v_lshlrev_b64_e32 v[20:21], 3, v[2:3]
	s_wait_alu 0xfffe
	v_add_co_u32 v16, vcc_lo, v16, s34
	s_wait_alu 0xfffd
	v_add_co_ci_u32_e64 v17, null, s35, v17, vcc_lo
	s_delay_alu instid0(VALU_DEP_2) | instskip(SKIP_1) | instid1(VALU_DEP_2)
	v_add_co_u32 v16, vcc_lo, v16, v20
	s_wait_alu 0xfffd
	v_add_co_ci_u32_e64 v17, null, v17, v21, vcc_lo
	s_and_saveexec_b32 s27, s3
	s_cbranch_execz .LBB229_22
; %bb.21:                               ;   in Loop: Header=BB229_4 Depth=1
	v_mul_f64_e32 v[20:21], s[10:11], v[10:11]
	flat_store_b64 v[16:17], v[20:21]
.LBB229_22:                             ;   in Loop: Header=BB229_4 Depth=1
	s_wait_alu 0xfffe
	s_or_b32 exec_lo, exec_lo, s27
	s_delay_alu instid0(SALU_CYCLE_1)
	s_and_b32 exec_lo, exec_lo, s4
	s_cbranch_execz .LBB229_24
; %bb.23:                               ;   in Loop: Header=BB229_4 Depth=1
	v_mul_f64_e32 v[20:21], s[10:11], v[8:9]
	flat_store_b64 v[16:17], v[20:21] offset:128
.LBB229_24:                             ;   in Loop: Header=BB229_4 Depth=1
	s_wait_alu 0xfffe
	s_or_b32 exec_lo, exec_lo, s26
	s_cbranch_execnz .LBB229_3
.LBB229_25:                             ;   in Loop: Header=BB229_4 Depth=1
	s_and_saveexec_b32 s26, s2
	s_cbranch_execz .LBB229_2
; %bb.26:                               ;   in Loop: Header=BB229_4 Depth=1
	v_add_co_u32 v6, vcc_lo, v6, s22
	v_lshlrev_b64_e32 v[20:21], 3, v[0:1]
	s_wait_alu 0xfffd
	v_add_co_ci_u32_e64 v7, null, s23, v7, vcc_lo
	s_delay_alu instid0(VALU_DEP_3) | instskip(SKIP_1) | instid1(VALU_DEP_2)
	v_add_co_u32 v16, vcc_lo, v6, v4
	s_wait_alu 0xfffd
	v_add_co_ci_u32_e64 v17, null, v7, v5, vcc_lo
	v_add_co_u32 v18, vcc_lo, v18, v20
	v_lshlrev_b64_e32 v[6:7], 3, v[2:3]
	s_wait_alu 0xfffd
	v_add_co_ci_u32_e64 v19, null, v19, v21, vcc_lo
	s_and_saveexec_b32 s27, s3
	s_cbranch_execnz .LBB229_29
; %bb.27:                               ;   in Loop: Header=BB229_4 Depth=1
	s_wait_alu 0xfffe
	s_or_b32 exec_lo, exec_lo, s27
	s_and_saveexec_b32 s27, s4
	s_cbranch_execnz .LBB229_30
.LBB229_28:                             ;   in Loop: Header=BB229_4 Depth=1
	s_wait_alu 0xfffe
	s_or_b32 exec_lo, exec_lo, s27
	s_delay_alu instid0(SALU_CYCLE_1)
	s_and_b32 exec_lo, exec_lo, s5
	s_cbranch_execz .LBB229_2
	s_branch .LBB229_31
.LBB229_29:                             ;   in Loop: Header=BB229_4 Depth=1
	v_add_co_u32 v20, vcc_lo, v16, v6
	s_wait_alu 0xfffd
	v_add_co_ci_u32_e64 v21, null, v17, v7, vcc_lo
	flat_load_b64 v[20:21], v[20:21]
	s_wait_loadcnt_dscnt 0x0
	v_mul_f64_e32 v[20:21], s[40:41], v[20:21]
	s_delay_alu instid0(VALU_DEP_1)
	v_fma_f64 v[14:15], s[10:11], v[14:15], v[20:21]
	v_add_co_u32 v20, vcc_lo, v18, v6
	s_wait_alu 0xfffd
	v_add_co_ci_u32_e64 v21, null, v19, v7, vcc_lo
	flat_store_b64 v[20:21], v[14:15]
	s_wait_alu 0xfffe
	s_or_b32 exec_lo, exec_lo, s27
	s_and_saveexec_b32 s27, s4
	s_cbranch_execz .LBB229_28
.LBB229_30:                             ;   in Loop: Header=BB229_4 Depth=1
	v_add_co_u32 v14, vcc_lo, v16, v6
	s_wait_alu 0xfffd
	v_add_co_ci_u32_e64 v15, null, v17, v7, vcc_lo
	flat_load_b64 v[14:15], v[14:15] offset:128
	s_wait_loadcnt_dscnt 0x0
	v_mul_f64_e32 v[14:15], s[40:41], v[14:15]
	s_delay_alu instid0(VALU_DEP_1)
	v_fma_f64 v[12:13], s[10:11], v[12:13], v[14:15]
	v_add_co_u32 v14, vcc_lo, v18, v6
	s_wait_alu 0xfffd
	v_add_co_ci_u32_e64 v15, null, v19, v7, vcc_lo
	flat_store_b64 v[14:15], v[12:13] offset:128
	s_wait_alu 0xfffe
	s_or_b32 exec_lo, exec_lo, s27
	s_delay_alu instid0(SALU_CYCLE_1)
	s_and_b32 exec_lo, exec_lo, s5
	s_cbranch_execz .LBB229_2
.LBB229_31:                             ;   in Loop: Header=BB229_4 Depth=1
	v_add_co_u32 v12, vcc_lo, v16, s24
	s_lshl_b64 s[34:35], s[6:7], 3
	s_wait_alu 0xfffd
	v_add_co_ci_u32_e64 v13, null, s25, v17, vcc_lo
	s_wait_alu 0xfffe
	v_add_co_u32 v14, vcc_lo, v18, s34
	s_wait_alu 0xfffd
	v_add_co_ci_u32_e64 v15, null, s35, v19, vcc_lo
	v_add_co_u32 v12, vcc_lo, v12, v6
	s_wait_alu 0xfffd
	v_add_co_ci_u32_e64 v13, null, v13, v7, vcc_lo
	;; [unrolled: 3-line block ×3, first 2 shown]
	s_and_saveexec_b32 s27, s3
	s_cbranch_execz .LBB229_33
; %bb.32:                               ;   in Loop: Header=BB229_4 Depth=1
	flat_load_b64 v[14:15], v[12:13]
	s_wait_loadcnt_dscnt 0x0
	v_mul_f64_e32 v[14:15], s[40:41], v[14:15]
	s_delay_alu instid0(VALU_DEP_1)
	v_fma_f64 v[10:11], s[10:11], v[10:11], v[14:15]
	flat_store_b64 v[6:7], v[10:11]
.LBB229_33:                             ;   in Loop: Header=BB229_4 Depth=1
	s_wait_alu 0xfffe
	s_or_b32 exec_lo, exec_lo, s27
	s_delay_alu instid0(SALU_CYCLE_1)
	s_and_b32 exec_lo, exec_lo, s4
	s_cbranch_execz .LBB229_2
; %bb.34:                               ;   in Loop: Header=BB229_4 Depth=1
	flat_load_b64 v[10:11], v[12:13] offset:128
	s_wait_loadcnt_dscnt 0x0
	v_mul_f64_e32 v[10:11], s[40:41], v[10:11]
	s_delay_alu instid0(VALU_DEP_1)
	v_fma_f64 v[8:9], s[10:11], v[8:9], v[10:11]
	flat_store_b64 v[6:7], v[8:9] offset:128
	s_branch .LBB229_2
.LBB229_35:
	s_endpgm
	.section	.rodata,"a",@progbits
	.p2align	6, 0x0
	.amdhsa_kernel _ZN12_GLOBAL__N_135rocblas_gemm_batched_general_kernelIdLi16ELi16ELi32ELi32ELi8ELi32ELi8ELi8ELi32ELc67ELc84EKPKdS3_KPdEEvlllT_PT11_llS8_llS6_PT12_llPT13_lli
		.amdhsa_group_segment_fixed_size 4096
		.amdhsa_private_segment_fixed_size 0
		.amdhsa_kernarg_size 140
		.amdhsa_user_sgpr_count 2
		.amdhsa_user_sgpr_dispatch_ptr 0
		.amdhsa_user_sgpr_queue_ptr 0
		.amdhsa_user_sgpr_kernarg_segment_ptr 1
		.amdhsa_user_sgpr_dispatch_id 0
		.amdhsa_user_sgpr_private_segment_size 0
		.amdhsa_wavefront_size32 1
		.amdhsa_uses_dynamic_stack 0
		.amdhsa_enable_private_segment 0
		.amdhsa_system_sgpr_workgroup_id_x 1
		.amdhsa_system_sgpr_workgroup_id_y 1
		.amdhsa_system_sgpr_workgroup_id_z 1
		.amdhsa_system_sgpr_workgroup_info 0
		.amdhsa_system_vgpr_workitem_id 1
		.amdhsa_next_free_vgpr 53
		.amdhsa_next_free_sgpr 52
		.amdhsa_reserve_vcc 1
		.amdhsa_float_round_mode_32 0
		.amdhsa_float_round_mode_16_64 0
		.amdhsa_float_denorm_mode_32 3
		.amdhsa_float_denorm_mode_16_64 3
		.amdhsa_fp16_overflow 0
		.amdhsa_workgroup_processor_mode 1
		.amdhsa_memory_ordered 1
		.amdhsa_forward_progress 1
		.amdhsa_inst_pref_size 20
		.amdhsa_round_robin_scheduling 0
		.amdhsa_exception_fp_ieee_invalid_op 0
		.amdhsa_exception_fp_denorm_src 0
		.amdhsa_exception_fp_ieee_div_zero 0
		.amdhsa_exception_fp_ieee_overflow 0
		.amdhsa_exception_fp_ieee_underflow 0
		.amdhsa_exception_fp_ieee_inexact 0
		.amdhsa_exception_int_div_zero 0
	.end_amdhsa_kernel
	.section	.text._ZN12_GLOBAL__N_135rocblas_gemm_batched_general_kernelIdLi16ELi16ELi32ELi32ELi8ELi32ELi8ELi8ELi32ELc67ELc84EKPKdS3_KPdEEvlllT_PT11_llS8_llS6_PT12_llPT13_lli,"axG",@progbits,_ZN12_GLOBAL__N_135rocblas_gemm_batched_general_kernelIdLi16ELi16ELi32ELi32ELi8ELi32ELi8ELi8ELi32ELc67ELc84EKPKdS3_KPdEEvlllT_PT11_llS8_llS6_PT12_llPT13_lli,comdat
.Lfunc_end229:
	.size	_ZN12_GLOBAL__N_135rocblas_gemm_batched_general_kernelIdLi16ELi16ELi32ELi32ELi8ELi32ELi8ELi8ELi32ELc67ELc84EKPKdS3_KPdEEvlllT_PT11_llS8_llS6_PT12_llPT13_lli, .Lfunc_end229-_ZN12_GLOBAL__N_135rocblas_gemm_batched_general_kernelIdLi16ELi16ELi32ELi32ELi8ELi32ELi8ELi8ELi32ELc67ELc84EKPKdS3_KPdEEvlllT_PT11_llS8_llS6_PT12_llPT13_lli
                                        ; -- End function
	.set _ZN12_GLOBAL__N_135rocblas_gemm_batched_general_kernelIdLi16ELi16ELi32ELi32ELi8ELi32ELi8ELi8ELi32ELc67ELc84EKPKdS3_KPdEEvlllT_PT11_llS8_llS6_PT12_llPT13_lli.num_vgpr, 53
	.set _ZN12_GLOBAL__N_135rocblas_gemm_batched_general_kernelIdLi16ELi16ELi32ELi32ELi8ELi32ELi8ELi8ELi32ELc67ELc84EKPKdS3_KPdEEvlllT_PT11_llS8_llS6_PT12_llPT13_lli.num_agpr, 0
	.set _ZN12_GLOBAL__N_135rocblas_gemm_batched_general_kernelIdLi16ELi16ELi32ELi32ELi8ELi32ELi8ELi8ELi32ELc67ELc84EKPKdS3_KPdEEvlllT_PT11_llS8_llS6_PT12_llPT13_lli.numbered_sgpr, 52
	.set _ZN12_GLOBAL__N_135rocblas_gemm_batched_general_kernelIdLi16ELi16ELi32ELi32ELi8ELi32ELi8ELi8ELi32ELc67ELc84EKPKdS3_KPdEEvlllT_PT11_llS8_llS6_PT12_llPT13_lli.num_named_barrier, 0
	.set _ZN12_GLOBAL__N_135rocblas_gemm_batched_general_kernelIdLi16ELi16ELi32ELi32ELi8ELi32ELi8ELi8ELi32ELc67ELc84EKPKdS3_KPdEEvlllT_PT11_llS8_llS6_PT12_llPT13_lli.private_seg_size, 0
	.set _ZN12_GLOBAL__N_135rocblas_gemm_batched_general_kernelIdLi16ELi16ELi32ELi32ELi8ELi32ELi8ELi8ELi32ELc67ELc84EKPKdS3_KPdEEvlllT_PT11_llS8_llS6_PT12_llPT13_lli.uses_vcc, 1
	.set _ZN12_GLOBAL__N_135rocblas_gemm_batched_general_kernelIdLi16ELi16ELi32ELi32ELi8ELi32ELi8ELi8ELi32ELc67ELc84EKPKdS3_KPdEEvlllT_PT11_llS8_llS6_PT12_llPT13_lli.uses_flat_scratch, 0
	.set _ZN12_GLOBAL__N_135rocblas_gemm_batched_general_kernelIdLi16ELi16ELi32ELi32ELi8ELi32ELi8ELi8ELi32ELc67ELc84EKPKdS3_KPdEEvlllT_PT11_llS8_llS6_PT12_llPT13_lli.has_dyn_sized_stack, 0
	.set _ZN12_GLOBAL__N_135rocblas_gemm_batched_general_kernelIdLi16ELi16ELi32ELi32ELi8ELi32ELi8ELi8ELi32ELc67ELc84EKPKdS3_KPdEEvlllT_PT11_llS8_llS6_PT12_llPT13_lli.has_recursion, 0
	.set _ZN12_GLOBAL__N_135rocblas_gemm_batched_general_kernelIdLi16ELi16ELi32ELi32ELi8ELi32ELi8ELi8ELi32ELc67ELc84EKPKdS3_KPdEEvlllT_PT11_llS8_llS6_PT12_llPT13_lli.has_indirect_call, 0
	.section	.AMDGPU.csdata,"",@progbits
; Kernel info:
; codeLenInByte = 2492
; TotalNumSgprs: 54
; NumVgprs: 53
; ScratchSize: 0
; MemoryBound: 0
; FloatMode: 240
; IeeeMode: 1
; LDSByteSize: 4096 bytes/workgroup (compile time only)
; SGPRBlocks: 0
; VGPRBlocks: 6
; NumSGPRsForWavesPerEU: 54
; NumVGPRsForWavesPerEU: 53
; Occupancy: 16
; WaveLimiterHint : 1
; COMPUTE_PGM_RSRC2:SCRATCH_EN: 0
; COMPUTE_PGM_RSRC2:USER_SGPR: 2
; COMPUTE_PGM_RSRC2:TRAP_HANDLER: 0
; COMPUTE_PGM_RSRC2:TGID_X_EN: 1
; COMPUTE_PGM_RSRC2:TGID_Y_EN: 1
; COMPUTE_PGM_RSRC2:TGID_Z_EN: 1
; COMPUTE_PGM_RSRC2:TIDIG_COMP_CNT: 1
	.section	.text._ZN12_GLOBAL__N_135rocblas_gemm_batched_general_kernelIdLi16ELi16ELi32ELi32ELi8ELi32ELi8ELi8ELi32ELc78ELc67EKPKdS3_KPdEEvlllT_PT11_llS8_llS6_PT12_llPT13_lli,"axG",@progbits,_ZN12_GLOBAL__N_135rocblas_gemm_batched_general_kernelIdLi16ELi16ELi32ELi32ELi8ELi32ELi8ELi8ELi32ELc78ELc67EKPKdS3_KPdEEvlllT_PT11_llS8_llS6_PT12_llPT13_lli,comdat
	.globl	_ZN12_GLOBAL__N_135rocblas_gemm_batched_general_kernelIdLi16ELi16ELi32ELi32ELi8ELi32ELi8ELi8ELi32ELc78ELc67EKPKdS3_KPdEEvlllT_PT11_llS8_llS6_PT12_llPT13_lli ; -- Begin function _ZN12_GLOBAL__N_135rocblas_gemm_batched_general_kernelIdLi16ELi16ELi32ELi32ELi8ELi32ELi8ELi8ELi32ELc78ELc67EKPKdS3_KPdEEvlllT_PT11_llS8_llS6_PT12_llPT13_lli
	.p2align	8
	.type	_ZN12_GLOBAL__N_135rocblas_gemm_batched_general_kernelIdLi16ELi16ELi32ELi32ELi8ELi32ELi8ELi8ELi32ELc78ELc67EKPKdS3_KPdEEvlllT_PT11_llS8_llS6_PT12_llPT13_lli,@function
_ZN12_GLOBAL__N_135rocblas_gemm_batched_general_kernelIdLi16ELi16ELi32ELi32ELi8ELi32ELi8ELi8ELi32ELc78ELc67EKPKdS3_KPdEEvlllT_PT11_llS8_llS6_PT12_llPT13_lli: ; @_ZN12_GLOBAL__N_135rocblas_gemm_batched_general_kernelIdLi16ELi16ELi32ELi32ELi8ELi32ELi8ELi8ELi32ELc78ELc67EKPKdS3_KPdEEvlllT_PT11_llS8_llS6_PT12_llPT13_lli
; %bb.0:
	s_load_b32 s30, s[0:1], 0x88
	s_lshr_b32 s20, ttmp7, 16
	s_wait_kmcnt 0x0
	s_cmp_ge_i32 s20, s30
	s_cbranch_scc1 .LBB230_35
; %bb.1:
	s_mov_b32 s22, ttmp9
	s_ashr_i32 s23, ttmp9, 31
	v_bfe_u32 v4, v0, 10, 10
	s_lshl_b64 s[2:3], s[22:23], 5
	s_delay_alu instid0(SALU_CYCLE_1)
	v_dual_mov_b32 v1, s3 :: v_dual_and_b32 v6, 0x3ff, v0
	s_clause 0x1
	s_load_b512 s[4:19], s[0:1], 0x0
	s_load_b512 s[36:51], s[0:1], 0x40
	s_and_b32 s26, ttmp7, 0xffff
	v_and_b32_e32 v26, 7, v0
	v_lshl_add_u32 v16, v4, 4, v6
	s_lshl_b32 s27, s26, 5
	s_load_b64 s[24:25], s[0:1], 0x80
	v_lshl_add_u32 v32, v4, 6, 0x800
	v_lshlrev_b32_e32 v31, 3, v6
	v_and_b32_e32 v2, 31, v16
	v_lshrrev_b32_e32 v5, 3, v16
	v_lshrrev_b32_e32 v27, 5, v16
	s_mov_b32 s21, 0
	s_lshl_b32 s26, s26, 8
	v_or_b32_e32 v0, s2, v2
	v_dual_mov_b32 v28, 0 :: v_dual_lshlrev_b32 v17, 3, v2
	v_add_co_u32 v2, s0, v5, s27
	s_delay_alu instid0(VALU_DEP_1)
	v_add_co_ci_u32_e64 v3, null, 0, 0, s0
	v_add_co_u32 v4, s27, s27, v4
	s_wait_kmcnt 0x0
	v_cmp_gt_i64_e64 s0, s[4:5], v[0:1]
	v_add_co_u32 v0, s2, s2, v6
	s_wait_alu 0xf1ff
	v_add_co_ci_u32_e64 v1, null, s3, 0, s2
	v_cmp_gt_i64_e64 s1, s[6:7], v[2:3]
	v_mad_co_u64_u32 v[2:3], null, v4, s50, 0
	v_mad_co_u64_u32 v[10:11], null, v4, s44, 0
	v_add_co_u32 v8, vcc_lo, v0, 16
	s_delay_alu instid0(VALU_DEP_1) | instskip(SKIP_2) | instid1(VALU_DEP_3)
	v_add_co_ci_u32_e64 v9, null, 0, v1, vcc_lo
	v_cmp_gt_i64_e64 s3, s[4:5], v[0:1]
	v_add_co_u32 v14, vcc_lo, v4, 16
	v_cmp_gt_i64_e64 s4, s[4:5], v[8:9]
	v_mad_co_u64_u32 v[8:9], null, v4, s51, v[3:4]
	v_mov_b32_e32 v3, v11
	v_lshlrev_b32_e32 v7, 3, v26
	v_cmp_eq_f64_e64 s31, s[40:41], 0
	s_lshl_b64 s[28:29], s[38:39], 3
	s_lshl_b64 s[22:23], s[22:23], 8
	;; [unrolled: 1-line block ×3, first 2 shown]
	v_lshl_or_b32 v5, v5, 6, v7
	v_mad_co_u64_u32 v[6:7], null, s36, v26, 0
	s_add_nc_u64 s[16:17], s[16:17], s[22:23]
	v_cmp_gt_i64_e64 s33, s[8:9], 0
	v_lshl_or_b32 v29, v27, 8, v17
	s_lshl_b64 s[34:35], s[44:45], 4
	s_lshl_b64 s[22:23], s[24:25], 3
	;; [unrolled: 1-line block ×3, first 2 shown]
	v_mad_co_u64_u32 v[11:12], null, s37, v26, v[7:8]
	v_mad_co_u64_u32 v[12:13], null, s14, v27, 0
	v_add_nc_u32_e32 v30, 0x800, v5
	v_add_co_ci_u32_e64 v5, null, 0, 0, s27
	s_mov_b32 s27, s21
	v_mov_b32_e32 v7, v11
	s_wait_alu 0xfffe
	s_add_nc_u64 s[26:27], s[28:29], s[26:27]
	v_cmp_gt_i64_e64 s2, s[6:7], v[4:5]
	s_wait_alu 0xfffd
	v_add_co_ci_u32_e64 v15, null, 0, v5, vcc_lo
	v_mad_co_u64_u32 v[4:5], null, v4, s45, v[3:4]
	v_mov_b32_e32 v5, v13
	v_mov_b32_e32 v3, v8
	s_delay_alu instid0(VALU_DEP_4) | instskip(SKIP_4) | instid1(VALU_DEP_2)
	v_cmp_gt_i64_e64 s5, s[6:7], v[14:15]
	s_lshl_b64 s[6:7], s[50:51], 4
	v_mad_co_u64_u32 v[8:9], null, s15, v27, v[5:6]
	v_mov_b32_e32 v11, v4
	s_lshl_b64 s[14:15], s[14:15], 6
	v_dual_mov_b32 v13, v8 :: v_dual_and_b32 v8, 0x1ff8, v16
	v_lshlrev_b64_e32 v[4:5], 3, v[6:7]
	s_wait_alu 0xfffe
	s_delay_alu instid0(VALU_DEP_1) | instskip(SKIP_1) | instid1(VALU_DEP_2)
	v_add_co_u32 v6, vcc_lo, s26, v4
	s_wait_alu 0xfffd
	v_add_co_ci_u32_e64 v7, null, s27, v5, vcc_lo
	v_lshlrev_b64_e32 v[4:5], 3, v[12:13]
	s_delay_alu instid0(VALU_DEP_3) | instskip(SKIP_1) | instid1(VALU_DEP_3)
	v_add_co_u32 v33, vcc_lo, v6, v8
	s_wait_alu 0xfffd
	v_add_co_ci_u32_e64 v34, null, 0, v7, vcc_lo
	s_lshl_b64 s[26:27], s[34:35], 3
	v_add_co_u32 v4, vcc_lo, s16, v4
	s_wait_alu 0xfffd
	v_add_co_ci_u32_e64 v5, null, s17, v5, vcc_lo
	s_lshl_b64 s[16:17], s[36:37], 6
	v_add_co_u32 v35, vcc_lo, v4, v17
	s_wait_alu 0xfffd
	v_add_co_ci_u32_e64 v36, null, 0, v5, vcc_lo
	v_lshlrev_b64_e32 v[4:5], 3, v[10:11]
	s_branch .LBB230_4
.LBB230_2:                              ;   in Loop: Header=BB230_4 Depth=1
	s_wait_alu 0xfffe
	s_or_b32 exec_lo, exec_lo, s28
.LBB230_3:                              ;   in Loop: Header=BB230_4 Depth=1
	s_add_co_i32 s20, s20, 0x10000
	s_delay_alu instid0(SALU_CYCLE_1)
	s_cmp_lt_i32 s20, s30
	s_cbranch_scc0 .LBB230_35
.LBB230_4:                              ; =>This Loop Header: Depth=1
                                        ;     Child Loop BB230_7 Depth 2
	s_lshl_b64 s[28:29], s[20:21], 3
	s_and_not1_b32 vcc_lo, exec_lo, s33
	s_wait_alu 0xfffe
	s_add_nc_u64 s[34:35], s[42:43], s[28:29]
	s_add_nc_u64 s[36:37], s[48:49], s[28:29]
	s_clause 0x1
	global_load_b64 v[6:7], v28, s[34:35]
	global_load_b64 v[16:17], v28, s[36:37]
	s_cbranch_vccnz .LBB230_11
; %bb.5:                                ;   in Loop: Header=BB230_4 Depth=1
	s_add_nc_u64 s[34:35], s[18:19], s[28:29]
	s_add_nc_u64 s[28:29], s[12:13], s[28:29]
	s_clause 0x1
	global_load_b64 v[18:19], v28, s[34:35]
	global_load_b64 v[20:21], v28, s[28:29]
	v_mov_b32_e32 v8, 0
	v_dual_mov_b32 v12, 0 :: v_dual_mov_b32 v9, 0
	v_dual_mov_b32 v10, 0 :: v_dual_mov_b32 v13, 0
	;; [unrolled: 1-line block ×3, first 2 shown]
	v_mov_b32_e32 v15, 0
	s_mov_b64 s[28:29], 0
	s_wait_loadcnt 0x1
	v_add_co_u32 v18, vcc_lo, v18, v33
	s_wait_alu 0xfffd
	v_add_co_ci_u32_e64 v19, null, v19, v34, vcc_lo
	s_wait_loadcnt 0x0
	v_add_co_u32 v20, vcc_lo, v20, v35
	s_wait_alu 0xfffd
	v_add_co_ci_u32_e64 v21, null, v21, v36, vcc_lo
	s_branch .LBB230_7
.LBB230_6:                              ;   in Loop: Header=BB230_7 Depth=2
	s_wait_alu 0xfffe
	s_or_b32 exec_lo, exec_lo, s34
	s_wait_loadcnt_dscnt 0x0
	ds_store_b64 v30, v[24:25]
	s_wait_dscnt 0x0
	s_barrier_signal -1
	s_barrier_wait -1
	global_inv scope:SCOPE_SE
	ds_load_b128 v[22:25], v32
	ds_load_2addr_b64 v[37:40], v31 offset1:16
	ds_load_b128 v[41:44], v32 offset:1024
	ds_load_b128 v[45:48], v32 offset:16
	ds_load_b128 v[49:52], v32 offset:1040
	s_add_nc_u64 s[28:29], s[28:29], 8
	v_add_co_u32 v18, vcc_lo, v18, s16
	s_wait_alu 0xfffe
	v_cmp_lt_i64_e64 s34, s[28:29], s[8:9]
	s_wait_alu 0xfffd
	v_add_co_ci_u32_e64 v19, null, s17, v19, vcc_lo
	v_add_co_u32 v20, vcc_lo, v20, s14
	s_wait_alu 0xfffd
	v_add_co_ci_u32_e64 v21, null, s15, v21, vcc_lo
	s_and_b32 vcc_lo, exec_lo, s34
	s_wait_dscnt 0x3
	v_fma_f64 v[14:15], v[37:38], v[22:23], v[14:15]
	v_fma_f64 v[12:13], v[39:40], v[22:23], v[12:13]
	s_wait_dscnt 0x2
	v_fma_f64 v[22:23], v[37:38], v[41:42], v[10:11]
	v_fma_f64 v[37:38], v[39:40], v[41:42], v[8:9]
	ds_load_2addr_b64 v[8:11], v31 offset0:32 offset1:48
	s_wait_dscnt 0x0
	v_fma_f64 v[14:15], v[8:9], v[24:25], v[14:15]
	v_fma_f64 v[12:13], v[10:11], v[24:25], v[12:13]
	v_fma_f64 v[22:23], v[8:9], v[43:44], v[22:23]
	v_fma_f64 v[24:25], v[10:11], v[43:44], v[37:38]
	ds_load_2addr_b64 v[8:11], v31 offset0:64 offset1:80
	s_wait_dscnt 0x0
	v_fma_f64 v[14:15], v[8:9], v[45:46], v[14:15]
	v_fma_f64 v[12:13], v[10:11], v[45:46], v[12:13]
	;; [unrolled: 6-line block ×3, first 2 shown]
	v_fma_f64 v[49:50], v[8:9], v[51:52], v[22:23]
	v_fma_f64 v[51:52], v[10:11], v[51:52], v[24:25]
	ds_load_b128 v[8:11], v32 offset:32
	ds_load_2addr_b64 v[12:15], v31 offset0:128 offset1:144
	ds_load_b128 v[22:25], v32 offset:1056
	ds_load_b128 v[37:40], v32 offset:48
	;; [unrolled: 1-line block ×3, first 2 shown]
	s_wait_dscnt 0x3
	v_fma_f64 v[45:46], v[12:13], v[8:9], v[45:46]
	v_fma_f64 v[8:9], v[14:15], v[8:9], v[47:48]
	s_wait_dscnt 0x2
	v_fma_f64 v[47:48], v[12:13], v[22:23], v[49:50]
	v_fma_f64 v[22:23], v[14:15], v[22:23], v[51:52]
	ds_load_2addr_b64 v[12:15], v31 offset0:160 offset1:176
	s_wait_dscnt 0x0
	v_fma_f64 v[45:46], v[12:13], v[10:11], v[45:46]
	v_fma_f64 v[49:50], v[14:15], v[10:11], v[8:9]
	v_fma_f64 v[12:13], v[12:13], v[24:25], v[47:48]
	v_fma_f64 v[14:15], v[14:15], v[24:25], v[22:23]
	ds_load_2addr_b64 v[8:11], v31 offset0:192 offset1:208
	ds_load_2addr_b64 v[22:25], v31 offset0:224 offset1:240
	s_wait_loadcnt_dscnt 0x0
	s_barrier_signal -1
	s_barrier_wait -1
	global_inv scope:SCOPE_SE
	v_fma_f64 v[45:46], v[8:9], v[37:38], v[45:46]
	v_fma_f64 v[37:38], v[10:11], v[37:38], v[49:50]
	;; [unrolled: 1-line block ×4, first 2 shown]
	s_delay_alu instid0(VALU_DEP_4) | instskip(NEXT) | instid1(VALU_DEP_4)
	v_fma_f64 v[14:15], v[22:23], v[39:40], v[45:46]
	v_fma_f64 v[12:13], v[24:25], v[39:40], v[37:38]
	s_delay_alu instid0(VALU_DEP_4) | instskip(NEXT) | instid1(VALU_DEP_4)
	v_fma_f64 v[10:11], v[22:23], v[43:44], v[8:9]
	v_fma_f64 v[8:9], v[24:25], v[43:44], v[41:42]
	s_wait_alu 0xfffe
	s_cbranch_vccz .LBB230_12
.LBB230_7:                              ;   Parent Loop BB230_4 Depth=1
                                        ; =>  This Inner Loop Header: Depth=2
	s_wait_alu 0xfffe
	v_add_co_u32 v22, s34, v27, s28
	s_wait_alu 0xf1ff
	v_add_co_ci_u32_e64 v23, null, 0, s29, s34
	s_delay_alu instid0(VALU_DEP_1)
	v_cmp_gt_i64_e32 vcc_lo, s[8:9], v[22:23]
	v_mov_b32_e32 v22, 0
	v_mov_b32_e32 v23, 0
	s_and_b32 s35, s0, vcc_lo
	s_wait_alu 0xfffe
	s_and_saveexec_b32 s34, s35
	s_cbranch_execz .LBB230_9
; %bb.8:                                ;   in Loop: Header=BB230_7 Depth=2
	flat_load_b64 v[22:23], v[20:21]
.LBB230_9:                              ;   in Loop: Header=BB230_7 Depth=2
	s_wait_alu 0xfffe
	s_or_b32 exec_lo, exec_lo, s34
	v_add_co_u32 v24, s34, v26, s28
	s_wait_alu 0xf1ff
	v_add_co_ci_u32_e64 v25, null, 0, s29, s34
	s_wait_loadcnt_dscnt 0x0
	ds_store_b64 v29, v[22:23]
	v_cmp_gt_i64_e32 vcc_lo, s[8:9], v[24:25]
	v_mov_b32_e32 v24, 0
	v_mov_b32_e32 v25, 0
	s_and_b32 s35, vcc_lo, s1
	s_wait_alu 0xfffe
	s_and_saveexec_b32 s34, s35
	s_cbranch_execz .LBB230_6
; %bb.10:                               ;   in Loop: Header=BB230_7 Depth=2
	flat_load_b64 v[24:25], v[18:19]
	s_branch .LBB230_6
.LBB230_11:                             ;   in Loop: Header=BB230_4 Depth=1
	v_mov_b32_e32 v14, 0
	v_dual_mov_b32 v10, 0 :: v_dual_mov_b32 v15, 0
	v_dual_mov_b32 v12, 0 :: v_dual_mov_b32 v11, 0
	;; [unrolled: 1-line block ×3, first 2 shown]
	v_mov_b32_e32 v9, 0
.LBB230_12:                             ;   in Loop: Header=BB230_4 Depth=1
	s_wait_loadcnt 0x0
	v_add_co_u32 v18, vcc_lo, v16, s22
	s_wait_alu 0xfffd
	v_add_co_ci_u32_e64 v19, null, s23, v17, vcc_lo
	s_and_not1_b32 vcc_lo, exec_lo, s31
	s_wait_alu 0xfffe
	s_cbranch_vccnz .LBB230_17
; %bb.13:                               ;   in Loop: Header=BB230_4 Depth=1
	s_and_saveexec_b32 s28, s2
	s_cbranch_execz .LBB230_24
; %bb.14:                               ;   in Loop: Header=BB230_4 Depth=1
	v_lshlrev_b64_e32 v[16:17], 3, v[2:3]
	s_delay_alu instid0(VALU_DEP_1) | instskip(SKIP_1) | instid1(VALU_DEP_2)
	v_add_co_u32 v16, vcc_lo, v18, v16
	s_wait_alu 0xfffd
	v_add_co_ci_u32_e64 v17, null, v19, v17, vcc_lo
	s_and_saveexec_b32 s29, s3
	s_cbranch_execnz .LBB230_18
; %bb.15:                               ;   in Loop: Header=BB230_4 Depth=1
	s_wait_alu 0xfffe
	s_or_b32 exec_lo, exec_lo, s29
	s_and_saveexec_b32 s29, s4
	s_cbranch_execnz .LBB230_19
.LBB230_16:                             ;   in Loop: Header=BB230_4 Depth=1
	s_wait_alu 0xfffe
	s_or_b32 exec_lo, exec_lo, s29
	s_delay_alu instid0(SALU_CYCLE_1)
	s_and_b32 exec_lo, exec_lo, s5
	s_cbranch_execnz .LBB230_20
	s_branch .LBB230_24
.LBB230_17:                             ;   in Loop: Header=BB230_4 Depth=1
	s_branch .LBB230_25
.LBB230_18:                             ;   in Loop: Header=BB230_4 Depth=1
	v_mul_f64_e32 v[20:21], s[10:11], v[14:15]
	v_lshlrev_b64_e32 v[22:23], 3, v[0:1]
	s_delay_alu instid0(VALU_DEP_1) | instskip(SKIP_1) | instid1(VALU_DEP_2)
	v_add_co_u32 v22, vcc_lo, v16, v22
	s_wait_alu 0xfffd
	v_add_co_ci_u32_e64 v23, null, v17, v23, vcc_lo
	flat_store_b64 v[22:23], v[20:21]
	s_wait_alu 0xfffe
	s_or_b32 exec_lo, exec_lo, s29
	s_and_saveexec_b32 s29, s4
	s_cbranch_execz .LBB230_16
.LBB230_19:                             ;   in Loop: Header=BB230_4 Depth=1
	v_mul_f64_e32 v[20:21], s[10:11], v[12:13]
	v_lshlrev_b64_e32 v[22:23], 3, v[0:1]
	s_delay_alu instid0(VALU_DEP_1) | instskip(SKIP_1) | instid1(VALU_DEP_2)
	v_add_co_u32 v22, vcc_lo, v16, v22
	s_wait_alu 0xfffd
	v_add_co_ci_u32_e64 v23, null, v17, v23, vcc_lo
	flat_store_b64 v[22:23], v[20:21] offset:128
	s_wait_alu 0xfffe
	s_or_b32 exec_lo, exec_lo, s29
	s_delay_alu instid0(SALU_CYCLE_1)
	s_and_b32 exec_lo, exec_lo, s5
	s_cbranch_execz .LBB230_24
.LBB230_20:                             ;   in Loop: Header=BB230_4 Depth=1
	s_lshl_b64 s[34:35], s[6:7], 3
	v_lshlrev_b64_e32 v[20:21], 3, v[0:1]
	s_wait_alu 0xfffe
	v_add_co_u32 v16, vcc_lo, v16, s34
	s_wait_alu 0xfffd
	v_add_co_ci_u32_e64 v17, null, s35, v17, vcc_lo
	s_delay_alu instid0(VALU_DEP_2) | instskip(SKIP_1) | instid1(VALU_DEP_2)
	v_add_co_u32 v16, vcc_lo, v16, v20
	s_wait_alu 0xfffd
	v_add_co_ci_u32_e64 v17, null, v17, v21, vcc_lo
	s_and_saveexec_b32 s29, s3
	s_cbranch_execz .LBB230_22
; %bb.21:                               ;   in Loop: Header=BB230_4 Depth=1
	v_mul_f64_e32 v[20:21], s[10:11], v[10:11]
	flat_store_b64 v[16:17], v[20:21]
.LBB230_22:                             ;   in Loop: Header=BB230_4 Depth=1
	s_wait_alu 0xfffe
	s_or_b32 exec_lo, exec_lo, s29
	s_delay_alu instid0(SALU_CYCLE_1)
	s_and_b32 exec_lo, exec_lo, s4
	s_cbranch_execz .LBB230_24
; %bb.23:                               ;   in Loop: Header=BB230_4 Depth=1
	v_mul_f64_e32 v[20:21], s[10:11], v[8:9]
	flat_store_b64 v[16:17], v[20:21] offset:128
.LBB230_24:                             ;   in Loop: Header=BB230_4 Depth=1
	s_wait_alu 0xfffe
	s_or_b32 exec_lo, exec_lo, s28
	s_cbranch_execnz .LBB230_3
.LBB230_25:                             ;   in Loop: Header=BB230_4 Depth=1
	s_and_saveexec_b32 s28, s2
	s_cbranch_execz .LBB230_2
; %bb.26:                               ;   in Loop: Header=BB230_4 Depth=1
	v_add_co_u32 v6, vcc_lo, v6, s24
	v_lshlrev_b64_e32 v[20:21], 3, v[2:3]
	s_wait_alu 0xfffd
	v_add_co_ci_u32_e64 v7, null, s25, v7, vcc_lo
	s_delay_alu instid0(VALU_DEP_3) | instskip(SKIP_1) | instid1(VALU_DEP_2)
	v_add_co_u32 v16, vcc_lo, v6, v4
	s_wait_alu 0xfffd
	v_add_co_ci_u32_e64 v17, null, v7, v5, vcc_lo
	v_add_co_u32 v18, vcc_lo, v18, v20
	v_lshlrev_b64_e32 v[6:7], 3, v[0:1]
	s_wait_alu 0xfffd
	v_add_co_ci_u32_e64 v19, null, v19, v21, vcc_lo
	s_and_saveexec_b32 s29, s3
	s_cbranch_execnz .LBB230_29
; %bb.27:                               ;   in Loop: Header=BB230_4 Depth=1
	s_wait_alu 0xfffe
	s_or_b32 exec_lo, exec_lo, s29
	s_and_saveexec_b32 s29, s4
	s_cbranch_execnz .LBB230_30
.LBB230_28:                             ;   in Loop: Header=BB230_4 Depth=1
	s_wait_alu 0xfffe
	s_or_b32 exec_lo, exec_lo, s29
	s_delay_alu instid0(SALU_CYCLE_1)
	s_and_b32 exec_lo, exec_lo, s5
	s_cbranch_execz .LBB230_2
	s_branch .LBB230_31
.LBB230_29:                             ;   in Loop: Header=BB230_4 Depth=1
	v_add_co_u32 v20, vcc_lo, v16, v6
	s_wait_alu 0xfffd
	v_add_co_ci_u32_e64 v21, null, v17, v7, vcc_lo
	flat_load_b64 v[20:21], v[20:21]
	s_wait_loadcnt_dscnt 0x0
	v_mul_f64_e32 v[20:21], s[40:41], v[20:21]
	s_delay_alu instid0(VALU_DEP_1)
	v_fma_f64 v[14:15], s[10:11], v[14:15], v[20:21]
	v_add_co_u32 v20, vcc_lo, v18, v6
	s_wait_alu 0xfffd
	v_add_co_ci_u32_e64 v21, null, v19, v7, vcc_lo
	flat_store_b64 v[20:21], v[14:15]
	s_wait_alu 0xfffe
	s_or_b32 exec_lo, exec_lo, s29
	s_and_saveexec_b32 s29, s4
	s_cbranch_execz .LBB230_28
.LBB230_30:                             ;   in Loop: Header=BB230_4 Depth=1
	v_add_co_u32 v14, vcc_lo, v16, v6
	s_wait_alu 0xfffd
	v_add_co_ci_u32_e64 v15, null, v17, v7, vcc_lo
	flat_load_b64 v[14:15], v[14:15] offset:128
	s_wait_loadcnt_dscnt 0x0
	v_mul_f64_e32 v[14:15], s[40:41], v[14:15]
	s_delay_alu instid0(VALU_DEP_1)
	v_fma_f64 v[12:13], s[10:11], v[12:13], v[14:15]
	v_add_co_u32 v14, vcc_lo, v18, v6
	s_wait_alu 0xfffd
	v_add_co_ci_u32_e64 v15, null, v19, v7, vcc_lo
	flat_store_b64 v[14:15], v[12:13] offset:128
	s_wait_alu 0xfffe
	s_or_b32 exec_lo, exec_lo, s29
	s_delay_alu instid0(SALU_CYCLE_1)
	s_and_b32 exec_lo, exec_lo, s5
	s_cbranch_execz .LBB230_2
.LBB230_31:                             ;   in Loop: Header=BB230_4 Depth=1
	v_add_co_u32 v12, vcc_lo, v16, s26
	s_lshl_b64 s[34:35], s[6:7], 3
	s_wait_alu 0xfffd
	v_add_co_ci_u32_e64 v13, null, s27, v17, vcc_lo
	s_wait_alu 0xfffe
	v_add_co_u32 v14, vcc_lo, v18, s34
	s_wait_alu 0xfffd
	v_add_co_ci_u32_e64 v15, null, s35, v19, vcc_lo
	v_add_co_u32 v12, vcc_lo, v12, v6
	s_wait_alu 0xfffd
	v_add_co_ci_u32_e64 v13, null, v13, v7, vcc_lo
	;; [unrolled: 3-line block ×3, first 2 shown]
	s_and_saveexec_b32 s29, s3
	s_cbranch_execz .LBB230_33
; %bb.32:                               ;   in Loop: Header=BB230_4 Depth=1
	flat_load_b64 v[14:15], v[12:13]
	s_wait_loadcnt_dscnt 0x0
	v_mul_f64_e32 v[14:15], s[40:41], v[14:15]
	s_delay_alu instid0(VALU_DEP_1)
	v_fma_f64 v[10:11], s[10:11], v[10:11], v[14:15]
	flat_store_b64 v[6:7], v[10:11]
.LBB230_33:                             ;   in Loop: Header=BB230_4 Depth=1
	s_wait_alu 0xfffe
	s_or_b32 exec_lo, exec_lo, s29
	s_delay_alu instid0(SALU_CYCLE_1)
	s_and_b32 exec_lo, exec_lo, s4
	s_cbranch_execz .LBB230_2
; %bb.34:                               ;   in Loop: Header=BB230_4 Depth=1
	flat_load_b64 v[10:11], v[12:13] offset:128
	s_wait_loadcnt_dscnt 0x0
	v_mul_f64_e32 v[10:11], s[40:41], v[10:11]
	s_delay_alu instid0(VALU_DEP_1)
	v_fma_f64 v[8:9], s[10:11], v[8:9], v[10:11]
	flat_store_b64 v[6:7], v[8:9] offset:128
	s_branch .LBB230_2
.LBB230_35:
	s_endpgm
	.section	.rodata,"a",@progbits
	.p2align	6, 0x0
	.amdhsa_kernel _ZN12_GLOBAL__N_135rocblas_gemm_batched_general_kernelIdLi16ELi16ELi32ELi32ELi8ELi32ELi8ELi8ELi32ELc78ELc67EKPKdS3_KPdEEvlllT_PT11_llS8_llS6_PT12_llPT13_lli
		.amdhsa_group_segment_fixed_size 4096
		.amdhsa_private_segment_fixed_size 0
		.amdhsa_kernarg_size 140
		.amdhsa_user_sgpr_count 2
		.amdhsa_user_sgpr_dispatch_ptr 0
		.amdhsa_user_sgpr_queue_ptr 0
		.amdhsa_user_sgpr_kernarg_segment_ptr 1
		.amdhsa_user_sgpr_dispatch_id 0
		.amdhsa_user_sgpr_private_segment_size 0
		.amdhsa_wavefront_size32 1
		.amdhsa_uses_dynamic_stack 0
		.amdhsa_enable_private_segment 0
		.amdhsa_system_sgpr_workgroup_id_x 1
		.amdhsa_system_sgpr_workgroup_id_y 1
		.amdhsa_system_sgpr_workgroup_id_z 1
		.amdhsa_system_sgpr_workgroup_info 0
		.amdhsa_system_vgpr_workitem_id 1
		.amdhsa_next_free_vgpr 53
		.amdhsa_next_free_sgpr 52
		.amdhsa_reserve_vcc 1
		.amdhsa_float_round_mode_32 0
		.amdhsa_float_round_mode_16_64 0
		.amdhsa_float_denorm_mode_32 3
		.amdhsa_float_denorm_mode_16_64 3
		.amdhsa_fp16_overflow 0
		.amdhsa_workgroup_processor_mode 1
		.amdhsa_memory_ordered 1
		.amdhsa_forward_progress 1
		.amdhsa_inst_pref_size 20
		.amdhsa_round_robin_scheduling 0
		.amdhsa_exception_fp_ieee_invalid_op 0
		.amdhsa_exception_fp_denorm_src 0
		.amdhsa_exception_fp_ieee_div_zero 0
		.amdhsa_exception_fp_ieee_overflow 0
		.amdhsa_exception_fp_ieee_underflow 0
		.amdhsa_exception_fp_ieee_inexact 0
		.amdhsa_exception_int_div_zero 0
	.end_amdhsa_kernel
	.section	.text._ZN12_GLOBAL__N_135rocblas_gemm_batched_general_kernelIdLi16ELi16ELi32ELi32ELi8ELi32ELi8ELi8ELi32ELc78ELc67EKPKdS3_KPdEEvlllT_PT11_llS8_llS6_PT12_llPT13_lli,"axG",@progbits,_ZN12_GLOBAL__N_135rocblas_gemm_batched_general_kernelIdLi16ELi16ELi32ELi32ELi8ELi32ELi8ELi8ELi32ELc78ELc67EKPKdS3_KPdEEvlllT_PT11_llS8_llS6_PT12_llPT13_lli,comdat
.Lfunc_end230:
	.size	_ZN12_GLOBAL__N_135rocblas_gemm_batched_general_kernelIdLi16ELi16ELi32ELi32ELi8ELi32ELi8ELi8ELi32ELc78ELc67EKPKdS3_KPdEEvlllT_PT11_llS8_llS6_PT12_llPT13_lli, .Lfunc_end230-_ZN12_GLOBAL__N_135rocblas_gemm_batched_general_kernelIdLi16ELi16ELi32ELi32ELi8ELi32ELi8ELi8ELi32ELc78ELc67EKPKdS3_KPdEEvlllT_PT11_llS8_llS6_PT12_llPT13_lli
                                        ; -- End function
	.set _ZN12_GLOBAL__N_135rocblas_gemm_batched_general_kernelIdLi16ELi16ELi32ELi32ELi8ELi32ELi8ELi8ELi32ELc78ELc67EKPKdS3_KPdEEvlllT_PT11_llS8_llS6_PT12_llPT13_lli.num_vgpr, 53
	.set _ZN12_GLOBAL__N_135rocblas_gemm_batched_general_kernelIdLi16ELi16ELi32ELi32ELi8ELi32ELi8ELi8ELi32ELc78ELc67EKPKdS3_KPdEEvlllT_PT11_llS8_llS6_PT12_llPT13_lli.num_agpr, 0
	.set _ZN12_GLOBAL__N_135rocblas_gemm_batched_general_kernelIdLi16ELi16ELi32ELi32ELi8ELi32ELi8ELi8ELi32ELc78ELc67EKPKdS3_KPdEEvlllT_PT11_llS8_llS6_PT12_llPT13_lli.numbered_sgpr, 52
	.set _ZN12_GLOBAL__N_135rocblas_gemm_batched_general_kernelIdLi16ELi16ELi32ELi32ELi8ELi32ELi8ELi8ELi32ELc78ELc67EKPKdS3_KPdEEvlllT_PT11_llS8_llS6_PT12_llPT13_lli.num_named_barrier, 0
	.set _ZN12_GLOBAL__N_135rocblas_gemm_batched_general_kernelIdLi16ELi16ELi32ELi32ELi8ELi32ELi8ELi8ELi32ELc78ELc67EKPKdS3_KPdEEvlllT_PT11_llS8_llS6_PT12_llPT13_lli.private_seg_size, 0
	.set _ZN12_GLOBAL__N_135rocblas_gemm_batched_general_kernelIdLi16ELi16ELi32ELi32ELi8ELi32ELi8ELi8ELi32ELc78ELc67EKPKdS3_KPdEEvlllT_PT11_llS8_llS6_PT12_llPT13_lli.uses_vcc, 1
	.set _ZN12_GLOBAL__N_135rocblas_gemm_batched_general_kernelIdLi16ELi16ELi32ELi32ELi8ELi32ELi8ELi8ELi32ELc78ELc67EKPKdS3_KPdEEvlllT_PT11_llS8_llS6_PT12_llPT13_lli.uses_flat_scratch, 0
	.set _ZN12_GLOBAL__N_135rocblas_gemm_batched_general_kernelIdLi16ELi16ELi32ELi32ELi8ELi32ELi8ELi8ELi32ELc78ELc67EKPKdS3_KPdEEvlllT_PT11_llS8_llS6_PT12_llPT13_lli.has_dyn_sized_stack, 0
	.set _ZN12_GLOBAL__N_135rocblas_gemm_batched_general_kernelIdLi16ELi16ELi32ELi32ELi8ELi32ELi8ELi8ELi32ELc78ELc67EKPKdS3_KPdEEvlllT_PT11_llS8_llS6_PT12_llPT13_lli.has_recursion, 0
	.set _ZN12_GLOBAL__N_135rocblas_gemm_batched_general_kernelIdLi16ELi16ELi32ELi32ELi8ELi32ELi8ELi8ELi32ELc78ELc67EKPKdS3_KPdEEvlllT_PT11_llS8_llS6_PT12_llPT13_lli.has_indirect_call, 0
	.section	.AMDGPU.csdata,"",@progbits
; Kernel info:
; codeLenInByte = 2484
; TotalNumSgprs: 54
; NumVgprs: 53
; ScratchSize: 0
; MemoryBound: 0
; FloatMode: 240
; IeeeMode: 1
; LDSByteSize: 4096 bytes/workgroup (compile time only)
; SGPRBlocks: 0
; VGPRBlocks: 6
; NumSGPRsForWavesPerEU: 54
; NumVGPRsForWavesPerEU: 53
; Occupancy: 16
; WaveLimiterHint : 1
; COMPUTE_PGM_RSRC2:SCRATCH_EN: 0
; COMPUTE_PGM_RSRC2:USER_SGPR: 2
; COMPUTE_PGM_RSRC2:TRAP_HANDLER: 0
; COMPUTE_PGM_RSRC2:TGID_X_EN: 1
; COMPUTE_PGM_RSRC2:TGID_Y_EN: 1
; COMPUTE_PGM_RSRC2:TGID_Z_EN: 1
; COMPUTE_PGM_RSRC2:TIDIG_COMP_CNT: 1
	.section	.text._ZN12_GLOBAL__N_135rocblas_gemm_batched_general_kernelIdLi16ELi16ELi32ELi32ELi8ELi32ELi8ELi8ELi32ELc84ELc67EKPKdS3_KPdEEvlllT_PT11_llS8_llS6_PT12_llPT13_lli,"axG",@progbits,_ZN12_GLOBAL__N_135rocblas_gemm_batched_general_kernelIdLi16ELi16ELi32ELi32ELi8ELi32ELi8ELi8ELi32ELc84ELc67EKPKdS3_KPdEEvlllT_PT11_llS8_llS6_PT12_llPT13_lli,comdat
	.globl	_ZN12_GLOBAL__N_135rocblas_gemm_batched_general_kernelIdLi16ELi16ELi32ELi32ELi8ELi32ELi8ELi8ELi32ELc84ELc67EKPKdS3_KPdEEvlllT_PT11_llS8_llS6_PT12_llPT13_lli ; -- Begin function _ZN12_GLOBAL__N_135rocblas_gemm_batched_general_kernelIdLi16ELi16ELi32ELi32ELi8ELi32ELi8ELi8ELi32ELc84ELc67EKPKdS3_KPdEEvlllT_PT11_llS8_llS6_PT12_llPT13_lli
	.p2align	8
	.type	_ZN12_GLOBAL__N_135rocblas_gemm_batched_general_kernelIdLi16ELi16ELi32ELi32ELi8ELi32ELi8ELi8ELi32ELc84ELc67EKPKdS3_KPdEEvlllT_PT11_llS8_llS6_PT12_llPT13_lli,@function
_ZN12_GLOBAL__N_135rocblas_gemm_batched_general_kernelIdLi16ELi16ELi32ELi32ELi8ELi32ELi8ELi8ELi32ELc84ELc67EKPKdS3_KPdEEvlllT_PT11_llS8_llS6_PT12_llPT13_lli: ; @_ZN12_GLOBAL__N_135rocblas_gemm_batched_general_kernelIdLi16ELi16ELi32ELi32ELi8ELi32ELi8ELi8ELi32ELc84ELc67EKPKdS3_KPdEEvlllT_PT11_llS8_llS6_PT12_llPT13_lli
; %bb.0:
	s_load_b32 s28, s[0:1], 0x88
	s_lshr_b32 s20, ttmp7, 16
	s_wait_kmcnt 0x0
	s_cmp_ge_i32 s20, s28
	s_cbranch_scc1 .LBB231_35
; %bb.1:
	s_clause 0x1
	s_load_b512 s[4:19], s[0:1], 0x0
	s_load_b512 s[36:51], s[0:1], 0x40
	v_bfe_u32 v2, v0, 10, 10
	v_dual_mov_b32 v28, 0 :: v_dual_and_b32 v3, 0x3ff, v0
	s_mov_b32 s2, ttmp9
	s_ashr_i32 s3, ttmp9, 31
	s_and_b32 s30, ttmp7, 0xffff
	s_delay_alu instid0(VALU_DEP_1) | instskip(SKIP_1) | instid1(SALU_CYCLE_1)
	v_lshl_add_u32 v18, v2, 4, v3
	s_lshl_b64 s[24:25], s[2:3], 5
	v_dual_mov_b32 v5, s25 :: v_dual_and_b32 v26, 7, v0
	s_lshl_b32 s2, s30, 5
	s_delay_alu instid0(VALU_DEP_2)
	v_and_b32_e32 v0, 31, v18
	v_lshrrev_b32_e32 v6, 3, v18
	s_load_b64 s[22:23], s[0:1], 0x80
	v_lshl_add_u32 v32, v2, 6, 0x800
	v_lshrrev_b32_e32 v27, 5, v18
	v_or_b32_e32 v4, s24, v0
	v_lshlrev_b32_e32 v31, 3, v3
	s_mov_b32 s21, 0
	s_wait_kmcnt 0x0
	v_mad_co_u64_u32 v[9:10], null, s36, v26, 0
	v_lshlrev_b32_e32 v7, 3, v0
	v_add_co_u32 v0, s0, v6, s2
	s_delay_alu instid0(VALU_DEP_1) | instskip(SKIP_2) | instid1(VALU_DEP_3)
	v_add_co_ci_u32_e64 v1, null, 0, 0, s0
	v_cmp_gt_i64_e64 s0, s[4:5], v[4:5]
	v_add_co_u32 v5, s2, s2, v2
	v_cmp_gt_i64_e64 s1, s[6:7], v[0:1]
	v_add_co_u32 v2, s3, s24, v3
	s_delay_alu instid0(VALU_DEP_3)
	v_mad_co_u64_u32 v[0:1], null, v5, s50, 0
	v_lshl_or_b32 v29, v27, 8, v7
	s_wait_alu 0xf1ff
	v_add_co_ci_u32_e64 v3, null, s25, 0, s3
	v_add_co_u32 v11, vcc_lo, v2, 16
	v_cmp_eq_f64_e64 s29, s[40:41], 0
	v_mad_co_u64_u32 v[13:14], null, v5, s51, v[1:2]
	v_lshlrev_b32_e32 v8, 3, v26
	v_add_co_ci_u32_e64 v12, null, 0, v3, vcc_lo
	v_add_co_u32 v14, vcc_lo, v5, 16
	s_delay_alu instid0(VALU_DEP_3) | instskip(SKIP_3) | instid1(VALU_DEP_4)
	v_lshl_or_b32 v6, v6, 6, v8
	v_mad_co_u64_u32 v[7:8], null, v5, s44, 0
	v_cmp_gt_i64_e64 s3, s[4:5], v[2:3]
	v_cmp_gt_i64_e64 s4, s[4:5], v[11:12]
	v_add_nc_u32_e32 v30, 0x800, v6
	v_add_co_ci_u32_e64 v6, null, 0, 0, s2
	s_lshl_b32 s30, s30, 8
	v_dual_mov_b32 v1, v8 :: v_dual_mov_b32 v8, v10
	v_cmp_gt_i64_e64 s2, s[6:7], v[5:6]
	s_wait_alu 0xfffd
	v_add_co_ci_u32_e64 v15, null, 0, v6, vcc_lo
	s_delay_alu instid0(VALU_DEP_3)
	v_mad_co_u64_u32 v[5:6], null, v5, s45, v[1:2]
	v_mad_co_u64_u32 v[16:17], null, s37, v26, v[8:9]
	v_mul_lo_u32 v6, s15, v4
	v_and_b32_e32 v11, 0x1ff8, v18
	s_mov_b32 s31, s21
	s_lshl_b64 s[34:35], s[38:39], 3
	s_delay_alu instid0(VALU_DEP_4)
	v_mov_b32_e32 v8, v5
	v_mad_co_u64_u32 v[4:5], null, s14, v4, 0
	v_mov_b32_e32 v10, v16
	s_mul_i32 s14, s14, s25
	s_add_nc_u64 s[30:31], s[34:35], s[30:31]
	v_cmp_gt_i64_e64 s5, s[6:7], v[14:15]
	v_mov_b32_e32 v1, v13
	v_lshlrev_b64_e32 v[9:10], 3, v[9:10]
	s_wait_alu 0xfffe
	v_add3_u32 v5, v5, s14, v6
	s_lshl_b64 s[14:15], s[16:17], 3
	s_lshl_b64 s[26:27], s[44:45], 4
	;; [unrolled: 1-line block ×4, first 2 shown]
	v_add_co_u32 v6, vcc_lo, s30, v9
	v_lshlrev_b64_e32 v[4:5], 3, v[4:5]
	s_wait_alu 0xfffd
	v_add_co_ci_u32_e64 v9, null, s31, v10, vcc_lo
	s_delay_alu instid0(VALU_DEP_3) | instskip(SKIP_2) | instid1(VALU_DEP_3)
	v_add_co_u32 v33, vcc_lo, v6, v11
	v_lshlrev_b32_e32 v6, 3, v27
	s_wait_alu 0xfffd
	v_add_co_ci_u32_e64 v34, null, 0, v9, vcc_lo
	s_wait_alu 0xfffe
	v_add_co_u32 v4, vcc_lo, v4, s14
	s_wait_alu 0xfffd
	v_add_co_ci_u32_e64 v5, null, s15, v5, vcc_lo
	v_cmp_gt_i64_e64 s30, s[8:9], 0
	s_delay_alu instid0(VALU_DEP_3) | instskip(SKIP_1) | instid1(VALU_DEP_3)
	v_add_co_u32 v35, vcc_lo, v4, v6
	s_wait_alu 0xfffd
	v_add_co_ci_u32_e64 v36, null, 0, v5, vcc_lo
	v_lshlrev_b64_e32 v[4:5], 3, v[7:8]
	s_lshl_b64 s[14:15], s[36:37], 6
	s_lshl_b64 s[22:23], s[46:47], 3
	;; [unrolled: 1-line block ×3, first 2 shown]
	s_branch .LBB231_4
.LBB231_2:                              ;   in Loop: Header=BB231_4 Depth=1
	s_wait_alu 0xfffe
	s_or_b32 exec_lo, exec_lo, s26
.LBB231_3:                              ;   in Loop: Header=BB231_4 Depth=1
	s_add_co_i32 s20, s20, 0x10000
	s_delay_alu instid0(SALU_CYCLE_1)
	s_cmp_lt_i32 s20, s28
	s_cbranch_scc0 .LBB231_35
.LBB231_4:                              ; =>This Loop Header: Depth=1
                                        ;     Child Loop BB231_7 Depth 2
	s_lshl_b64 s[26:27], s[20:21], 3
	s_and_not1_b32 vcc_lo, exec_lo, s30
	s_wait_alu 0xfffe
	s_add_nc_u64 s[34:35], s[42:43], s[26:27]
	s_add_nc_u64 s[36:37], s[48:49], s[26:27]
	s_clause 0x1
	global_load_b64 v[6:7], v28, s[34:35]
	global_load_b64 v[16:17], v28, s[36:37]
	s_cbranch_vccnz .LBB231_11
; %bb.5:                                ;   in Loop: Header=BB231_4 Depth=1
	s_add_nc_u64 s[34:35], s[18:19], s[26:27]
	s_add_nc_u64 s[26:27], s[12:13], s[26:27]
	s_clause 0x1
	global_load_b64 v[18:19], v28, s[34:35]
	global_load_b64 v[20:21], v28, s[26:27]
	v_mov_b32_e32 v8, 0
	v_dual_mov_b32 v12, 0 :: v_dual_mov_b32 v9, 0
	v_dual_mov_b32 v10, 0 :: v_dual_mov_b32 v13, 0
	;; [unrolled: 1-line block ×3, first 2 shown]
	v_mov_b32_e32 v15, 0
	s_mov_b64 s[26:27], 0
	s_wait_loadcnt 0x1
	v_add_co_u32 v18, vcc_lo, v18, v33
	s_wait_alu 0xfffd
	v_add_co_ci_u32_e64 v19, null, v19, v34, vcc_lo
	s_wait_loadcnt 0x0
	v_add_co_u32 v20, vcc_lo, v20, v35
	s_wait_alu 0xfffd
	v_add_co_ci_u32_e64 v21, null, v21, v36, vcc_lo
	s_branch .LBB231_7
.LBB231_6:                              ;   in Loop: Header=BB231_7 Depth=2
	s_wait_alu 0xfffe
	s_or_b32 exec_lo, exec_lo, s31
	s_wait_loadcnt_dscnt 0x0
	ds_store_b64 v30, v[24:25]
	s_wait_dscnt 0x0
	s_barrier_signal -1
	s_barrier_wait -1
	global_inv scope:SCOPE_SE
	ds_load_b128 v[22:25], v32
	ds_load_2addr_b64 v[37:40], v31 offset1:16
	ds_load_b128 v[41:44], v32 offset:1024
	ds_load_b128 v[45:48], v32 offset:16
	;; [unrolled: 1-line block ×3, first 2 shown]
	s_add_nc_u64 s[26:27], s[26:27], 8
	v_add_co_u32 v18, vcc_lo, v18, s14
	s_wait_alu 0xfffe
	v_cmp_lt_i64_e64 s31, s[26:27], s[8:9]
	s_wait_alu 0xfffd
	v_add_co_ci_u32_e64 v19, null, s15, v19, vcc_lo
	v_add_co_u32 v20, vcc_lo, v20, 64
	s_wait_alu 0xfffd
	v_add_co_ci_u32_e64 v21, null, 0, v21, vcc_lo
	s_and_b32 vcc_lo, exec_lo, s31
	s_wait_dscnt 0x3
	v_fma_f64 v[14:15], v[37:38], v[22:23], v[14:15]
	v_fma_f64 v[12:13], v[39:40], v[22:23], v[12:13]
	s_wait_dscnt 0x2
	v_fma_f64 v[22:23], v[37:38], v[41:42], v[10:11]
	v_fma_f64 v[37:38], v[39:40], v[41:42], v[8:9]
	ds_load_2addr_b64 v[8:11], v31 offset0:32 offset1:48
	s_wait_dscnt 0x0
	v_fma_f64 v[14:15], v[8:9], v[24:25], v[14:15]
	v_fma_f64 v[12:13], v[10:11], v[24:25], v[12:13]
	v_fma_f64 v[22:23], v[8:9], v[43:44], v[22:23]
	v_fma_f64 v[24:25], v[10:11], v[43:44], v[37:38]
	ds_load_2addr_b64 v[8:11], v31 offset0:64 offset1:80
	s_wait_dscnt 0x0
	v_fma_f64 v[14:15], v[8:9], v[45:46], v[14:15]
	v_fma_f64 v[12:13], v[10:11], v[45:46], v[12:13]
	;; [unrolled: 6-line block ×3, first 2 shown]
	v_fma_f64 v[49:50], v[8:9], v[51:52], v[22:23]
	v_fma_f64 v[51:52], v[10:11], v[51:52], v[24:25]
	ds_load_b128 v[8:11], v32 offset:32
	ds_load_2addr_b64 v[12:15], v31 offset0:128 offset1:144
	ds_load_b128 v[22:25], v32 offset:1056
	ds_load_b128 v[37:40], v32 offset:48
	;; [unrolled: 1-line block ×3, first 2 shown]
	s_wait_dscnt 0x3
	v_fma_f64 v[45:46], v[12:13], v[8:9], v[45:46]
	v_fma_f64 v[8:9], v[14:15], v[8:9], v[47:48]
	s_wait_dscnt 0x2
	v_fma_f64 v[47:48], v[12:13], v[22:23], v[49:50]
	v_fma_f64 v[22:23], v[14:15], v[22:23], v[51:52]
	ds_load_2addr_b64 v[12:15], v31 offset0:160 offset1:176
	s_wait_dscnt 0x0
	v_fma_f64 v[45:46], v[12:13], v[10:11], v[45:46]
	v_fma_f64 v[49:50], v[14:15], v[10:11], v[8:9]
	;; [unrolled: 1-line block ×4, first 2 shown]
	ds_load_2addr_b64 v[8:11], v31 offset0:192 offset1:208
	ds_load_2addr_b64 v[22:25], v31 offset0:224 offset1:240
	s_wait_loadcnt_dscnt 0x0
	s_barrier_signal -1
	s_barrier_wait -1
	global_inv scope:SCOPE_SE
	v_fma_f64 v[45:46], v[8:9], v[37:38], v[45:46]
	v_fma_f64 v[37:38], v[10:11], v[37:38], v[49:50]
	;; [unrolled: 1-line block ×4, first 2 shown]
	s_delay_alu instid0(VALU_DEP_4) | instskip(NEXT) | instid1(VALU_DEP_4)
	v_fma_f64 v[14:15], v[22:23], v[39:40], v[45:46]
	v_fma_f64 v[12:13], v[24:25], v[39:40], v[37:38]
	s_delay_alu instid0(VALU_DEP_4) | instskip(NEXT) | instid1(VALU_DEP_4)
	v_fma_f64 v[10:11], v[22:23], v[43:44], v[8:9]
	v_fma_f64 v[8:9], v[24:25], v[43:44], v[41:42]
	s_wait_alu 0xfffe
	s_cbranch_vccz .LBB231_12
.LBB231_7:                              ;   Parent Loop BB231_4 Depth=1
                                        ; =>  This Inner Loop Header: Depth=2
	s_wait_alu 0xfffe
	v_add_co_u32 v22, s31, v27, s26
	s_wait_alu 0xf1ff
	v_add_co_ci_u32_e64 v23, null, 0, s27, s31
	s_delay_alu instid0(VALU_DEP_1) | instskip(SKIP_3) | instid1(SALU_CYCLE_1)
	v_cmp_gt_i64_e32 vcc_lo, s[8:9], v[22:23]
	v_mov_b32_e32 v22, 0
	v_mov_b32_e32 v23, 0
	s_and_b32 s33, s0, vcc_lo
	s_and_saveexec_b32 s31, s33
	s_cbranch_execz .LBB231_9
; %bb.8:                                ;   in Loop: Header=BB231_7 Depth=2
	flat_load_b64 v[22:23], v[20:21]
.LBB231_9:                              ;   in Loop: Header=BB231_7 Depth=2
	s_wait_alu 0xfffe
	s_or_b32 exec_lo, exec_lo, s31
	v_add_co_u32 v24, s31, v26, s26
	s_wait_alu 0xf1ff
	v_add_co_ci_u32_e64 v25, null, 0, s27, s31
	s_wait_loadcnt_dscnt 0x0
	ds_store_b64 v29, v[22:23]
	v_cmp_gt_i64_e32 vcc_lo, s[8:9], v[24:25]
	v_mov_b32_e32 v24, 0
	v_mov_b32_e32 v25, 0
	s_and_b32 s33, vcc_lo, s1
	s_delay_alu instid0(SALU_CYCLE_1)
	s_and_saveexec_b32 s31, s33
	s_cbranch_execz .LBB231_6
; %bb.10:                               ;   in Loop: Header=BB231_7 Depth=2
	flat_load_b64 v[24:25], v[18:19]
	s_branch .LBB231_6
.LBB231_11:                             ;   in Loop: Header=BB231_4 Depth=1
	v_mov_b32_e32 v14, 0
	v_dual_mov_b32 v10, 0 :: v_dual_mov_b32 v15, 0
	v_dual_mov_b32 v12, 0 :: v_dual_mov_b32 v11, 0
	;; [unrolled: 1-line block ×3, first 2 shown]
	v_mov_b32_e32 v9, 0
.LBB231_12:                             ;   in Loop: Header=BB231_4 Depth=1
	s_wait_loadcnt 0x0
	v_add_co_u32 v18, vcc_lo, v16, s16
	s_wait_alu 0xfffd
	v_add_co_ci_u32_e64 v19, null, s17, v17, vcc_lo
	s_and_not1_b32 vcc_lo, exec_lo, s29
	s_wait_alu 0xfffe
	s_cbranch_vccnz .LBB231_17
; %bb.13:                               ;   in Loop: Header=BB231_4 Depth=1
	s_and_saveexec_b32 s26, s2
	s_cbranch_execz .LBB231_24
; %bb.14:                               ;   in Loop: Header=BB231_4 Depth=1
	v_lshlrev_b64_e32 v[16:17], 3, v[0:1]
	s_delay_alu instid0(VALU_DEP_1) | instskip(SKIP_1) | instid1(VALU_DEP_2)
	v_add_co_u32 v16, vcc_lo, v18, v16
	s_wait_alu 0xfffd
	v_add_co_ci_u32_e64 v17, null, v19, v17, vcc_lo
	s_and_saveexec_b32 s27, s3
	s_cbranch_execnz .LBB231_18
; %bb.15:                               ;   in Loop: Header=BB231_4 Depth=1
	s_wait_alu 0xfffe
	s_or_b32 exec_lo, exec_lo, s27
	s_and_saveexec_b32 s27, s4
	s_cbranch_execnz .LBB231_19
.LBB231_16:                             ;   in Loop: Header=BB231_4 Depth=1
	s_wait_alu 0xfffe
	s_or_b32 exec_lo, exec_lo, s27
	s_delay_alu instid0(SALU_CYCLE_1)
	s_and_b32 exec_lo, exec_lo, s5
	s_cbranch_execnz .LBB231_20
	s_branch .LBB231_24
.LBB231_17:                             ;   in Loop: Header=BB231_4 Depth=1
	s_branch .LBB231_25
.LBB231_18:                             ;   in Loop: Header=BB231_4 Depth=1
	v_mul_f64_e32 v[20:21], s[10:11], v[14:15]
	v_lshlrev_b64_e32 v[22:23], 3, v[2:3]
	s_delay_alu instid0(VALU_DEP_1) | instskip(SKIP_1) | instid1(VALU_DEP_2)
	v_add_co_u32 v22, vcc_lo, v16, v22
	s_wait_alu 0xfffd
	v_add_co_ci_u32_e64 v23, null, v17, v23, vcc_lo
	flat_store_b64 v[22:23], v[20:21]
	s_wait_alu 0xfffe
	s_or_b32 exec_lo, exec_lo, s27
	s_and_saveexec_b32 s27, s4
	s_cbranch_execz .LBB231_16
.LBB231_19:                             ;   in Loop: Header=BB231_4 Depth=1
	v_mul_f64_e32 v[20:21], s[10:11], v[12:13]
	v_lshlrev_b64_e32 v[22:23], 3, v[2:3]
	s_delay_alu instid0(VALU_DEP_1) | instskip(SKIP_1) | instid1(VALU_DEP_2)
	v_add_co_u32 v22, vcc_lo, v16, v22
	s_wait_alu 0xfffd
	v_add_co_ci_u32_e64 v23, null, v17, v23, vcc_lo
	flat_store_b64 v[22:23], v[20:21] offset:128
	s_wait_alu 0xfffe
	s_or_b32 exec_lo, exec_lo, s27
	s_delay_alu instid0(SALU_CYCLE_1)
	s_and_b32 exec_lo, exec_lo, s5
	s_cbranch_execz .LBB231_24
.LBB231_20:                             ;   in Loop: Header=BB231_4 Depth=1
	s_lshl_b64 s[34:35], s[6:7], 3
	v_lshlrev_b64_e32 v[20:21], 3, v[2:3]
	s_wait_alu 0xfffe
	v_add_co_u32 v16, vcc_lo, v16, s34
	s_wait_alu 0xfffd
	v_add_co_ci_u32_e64 v17, null, s35, v17, vcc_lo
	s_delay_alu instid0(VALU_DEP_2) | instskip(SKIP_1) | instid1(VALU_DEP_2)
	v_add_co_u32 v16, vcc_lo, v16, v20
	s_wait_alu 0xfffd
	v_add_co_ci_u32_e64 v17, null, v17, v21, vcc_lo
	s_and_saveexec_b32 s27, s3
	s_cbranch_execz .LBB231_22
; %bb.21:                               ;   in Loop: Header=BB231_4 Depth=1
	v_mul_f64_e32 v[20:21], s[10:11], v[10:11]
	flat_store_b64 v[16:17], v[20:21]
.LBB231_22:                             ;   in Loop: Header=BB231_4 Depth=1
	s_wait_alu 0xfffe
	s_or_b32 exec_lo, exec_lo, s27
	s_delay_alu instid0(SALU_CYCLE_1)
	s_and_b32 exec_lo, exec_lo, s4
	s_cbranch_execz .LBB231_24
; %bb.23:                               ;   in Loop: Header=BB231_4 Depth=1
	v_mul_f64_e32 v[20:21], s[10:11], v[8:9]
	flat_store_b64 v[16:17], v[20:21] offset:128
.LBB231_24:                             ;   in Loop: Header=BB231_4 Depth=1
	s_wait_alu 0xfffe
	s_or_b32 exec_lo, exec_lo, s26
	s_cbranch_execnz .LBB231_3
.LBB231_25:                             ;   in Loop: Header=BB231_4 Depth=1
	s_and_saveexec_b32 s26, s2
	s_cbranch_execz .LBB231_2
; %bb.26:                               ;   in Loop: Header=BB231_4 Depth=1
	v_add_co_u32 v6, vcc_lo, v6, s22
	v_lshlrev_b64_e32 v[20:21], 3, v[0:1]
	s_wait_alu 0xfffd
	v_add_co_ci_u32_e64 v7, null, s23, v7, vcc_lo
	s_delay_alu instid0(VALU_DEP_3) | instskip(SKIP_1) | instid1(VALU_DEP_2)
	v_add_co_u32 v16, vcc_lo, v6, v4
	s_wait_alu 0xfffd
	v_add_co_ci_u32_e64 v17, null, v7, v5, vcc_lo
	v_add_co_u32 v18, vcc_lo, v18, v20
	v_lshlrev_b64_e32 v[6:7], 3, v[2:3]
	s_wait_alu 0xfffd
	v_add_co_ci_u32_e64 v19, null, v19, v21, vcc_lo
	s_and_saveexec_b32 s27, s3
	s_cbranch_execnz .LBB231_29
; %bb.27:                               ;   in Loop: Header=BB231_4 Depth=1
	s_wait_alu 0xfffe
	s_or_b32 exec_lo, exec_lo, s27
	s_and_saveexec_b32 s27, s4
	s_cbranch_execnz .LBB231_30
.LBB231_28:                             ;   in Loop: Header=BB231_4 Depth=1
	s_wait_alu 0xfffe
	s_or_b32 exec_lo, exec_lo, s27
	s_delay_alu instid0(SALU_CYCLE_1)
	s_and_b32 exec_lo, exec_lo, s5
	s_cbranch_execz .LBB231_2
	s_branch .LBB231_31
.LBB231_29:                             ;   in Loop: Header=BB231_4 Depth=1
	v_add_co_u32 v20, vcc_lo, v16, v6
	s_wait_alu 0xfffd
	v_add_co_ci_u32_e64 v21, null, v17, v7, vcc_lo
	flat_load_b64 v[20:21], v[20:21]
	s_wait_loadcnt_dscnt 0x0
	v_mul_f64_e32 v[20:21], s[40:41], v[20:21]
	s_delay_alu instid0(VALU_DEP_1)
	v_fma_f64 v[14:15], s[10:11], v[14:15], v[20:21]
	v_add_co_u32 v20, vcc_lo, v18, v6
	s_wait_alu 0xfffd
	v_add_co_ci_u32_e64 v21, null, v19, v7, vcc_lo
	flat_store_b64 v[20:21], v[14:15]
	s_wait_alu 0xfffe
	s_or_b32 exec_lo, exec_lo, s27
	s_and_saveexec_b32 s27, s4
	s_cbranch_execz .LBB231_28
.LBB231_30:                             ;   in Loop: Header=BB231_4 Depth=1
	v_add_co_u32 v14, vcc_lo, v16, v6
	s_wait_alu 0xfffd
	v_add_co_ci_u32_e64 v15, null, v17, v7, vcc_lo
	flat_load_b64 v[14:15], v[14:15] offset:128
	s_wait_loadcnt_dscnt 0x0
	v_mul_f64_e32 v[14:15], s[40:41], v[14:15]
	s_delay_alu instid0(VALU_DEP_1)
	v_fma_f64 v[12:13], s[10:11], v[12:13], v[14:15]
	v_add_co_u32 v14, vcc_lo, v18, v6
	s_wait_alu 0xfffd
	v_add_co_ci_u32_e64 v15, null, v19, v7, vcc_lo
	flat_store_b64 v[14:15], v[12:13] offset:128
	s_wait_alu 0xfffe
	s_or_b32 exec_lo, exec_lo, s27
	s_delay_alu instid0(SALU_CYCLE_1)
	s_and_b32 exec_lo, exec_lo, s5
	s_cbranch_execz .LBB231_2
.LBB231_31:                             ;   in Loop: Header=BB231_4 Depth=1
	v_add_co_u32 v12, vcc_lo, v16, s24
	s_lshl_b64 s[34:35], s[6:7], 3
	s_wait_alu 0xfffd
	v_add_co_ci_u32_e64 v13, null, s25, v17, vcc_lo
	s_wait_alu 0xfffe
	v_add_co_u32 v14, vcc_lo, v18, s34
	s_wait_alu 0xfffd
	v_add_co_ci_u32_e64 v15, null, s35, v19, vcc_lo
	v_add_co_u32 v12, vcc_lo, v12, v6
	s_wait_alu 0xfffd
	v_add_co_ci_u32_e64 v13, null, v13, v7, vcc_lo
	;; [unrolled: 3-line block ×3, first 2 shown]
	s_and_saveexec_b32 s27, s3
	s_cbranch_execz .LBB231_33
; %bb.32:                               ;   in Loop: Header=BB231_4 Depth=1
	flat_load_b64 v[14:15], v[12:13]
	s_wait_loadcnt_dscnt 0x0
	v_mul_f64_e32 v[14:15], s[40:41], v[14:15]
	s_delay_alu instid0(VALU_DEP_1)
	v_fma_f64 v[10:11], s[10:11], v[10:11], v[14:15]
	flat_store_b64 v[6:7], v[10:11]
.LBB231_33:                             ;   in Loop: Header=BB231_4 Depth=1
	s_wait_alu 0xfffe
	s_or_b32 exec_lo, exec_lo, s27
	s_delay_alu instid0(SALU_CYCLE_1)
	s_and_b32 exec_lo, exec_lo, s4
	s_cbranch_execz .LBB231_2
; %bb.34:                               ;   in Loop: Header=BB231_4 Depth=1
	flat_load_b64 v[10:11], v[12:13] offset:128
	s_wait_loadcnt_dscnt 0x0
	v_mul_f64_e32 v[10:11], s[40:41], v[10:11]
	s_delay_alu instid0(VALU_DEP_1)
	v_fma_f64 v[8:9], s[10:11], v[8:9], v[10:11]
	flat_store_b64 v[6:7], v[8:9] offset:128
	s_branch .LBB231_2
.LBB231_35:
	s_endpgm
	.section	.rodata,"a",@progbits
	.p2align	6, 0x0
	.amdhsa_kernel _ZN12_GLOBAL__N_135rocblas_gemm_batched_general_kernelIdLi16ELi16ELi32ELi32ELi8ELi32ELi8ELi8ELi32ELc84ELc67EKPKdS3_KPdEEvlllT_PT11_llS8_llS6_PT12_llPT13_lli
		.amdhsa_group_segment_fixed_size 4096
		.amdhsa_private_segment_fixed_size 0
		.amdhsa_kernarg_size 140
		.amdhsa_user_sgpr_count 2
		.amdhsa_user_sgpr_dispatch_ptr 0
		.amdhsa_user_sgpr_queue_ptr 0
		.amdhsa_user_sgpr_kernarg_segment_ptr 1
		.amdhsa_user_sgpr_dispatch_id 0
		.amdhsa_user_sgpr_private_segment_size 0
		.amdhsa_wavefront_size32 1
		.amdhsa_uses_dynamic_stack 0
		.amdhsa_enable_private_segment 0
		.amdhsa_system_sgpr_workgroup_id_x 1
		.amdhsa_system_sgpr_workgroup_id_y 1
		.amdhsa_system_sgpr_workgroup_id_z 1
		.amdhsa_system_sgpr_workgroup_info 0
		.amdhsa_system_vgpr_workitem_id 1
		.amdhsa_next_free_vgpr 53
		.amdhsa_next_free_sgpr 52
		.amdhsa_reserve_vcc 1
		.amdhsa_float_round_mode_32 0
		.amdhsa_float_round_mode_16_64 0
		.amdhsa_float_denorm_mode_32 3
		.amdhsa_float_denorm_mode_16_64 3
		.amdhsa_fp16_overflow 0
		.amdhsa_workgroup_processor_mode 1
		.amdhsa_memory_ordered 1
		.amdhsa_forward_progress 1
		.amdhsa_inst_pref_size 20
		.amdhsa_round_robin_scheduling 0
		.amdhsa_exception_fp_ieee_invalid_op 0
		.amdhsa_exception_fp_denorm_src 0
		.amdhsa_exception_fp_ieee_div_zero 0
		.amdhsa_exception_fp_ieee_overflow 0
		.amdhsa_exception_fp_ieee_underflow 0
		.amdhsa_exception_fp_ieee_inexact 0
		.amdhsa_exception_int_div_zero 0
	.end_amdhsa_kernel
	.section	.text._ZN12_GLOBAL__N_135rocblas_gemm_batched_general_kernelIdLi16ELi16ELi32ELi32ELi8ELi32ELi8ELi8ELi32ELc84ELc67EKPKdS3_KPdEEvlllT_PT11_llS8_llS6_PT12_llPT13_lli,"axG",@progbits,_ZN12_GLOBAL__N_135rocblas_gemm_batched_general_kernelIdLi16ELi16ELi32ELi32ELi8ELi32ELi8ELi8ELi32ELc84ELc67EKPKdS3_KPdEEvlllT_PT11_llS8_llS6_PT12_llPT13_lli,comdat
.Lfunc_end231:
	.size	_ZN12_GLOBAL__N_135rocblas_gemm_batched_general_kernelIdLi16ELi16ELi32ELi32ELi8ELi32ELi8ELi8ELi32ELc84ELc67EKPKdS3_KPdEEvlllT_PT11_llS8_llS6_PT12_llPT13_lli, .Lfunc_end231-_ZN12_GLOBAL__N_135rocblas_gemm_batched_general_kernelIdLi16ELi16ELi32ELi32ELi8ELi32ELi8ELi8ELi32ELc84ELc67EKPKdS3_KPdEEvlllT_PT11_llS8_llS6_PT12_llPT13_lli
                                        ; -- End function
	.set _ZN12_GLOBAL__N_135rocblas_gemm_batched_general_kernelIdLi16ELi16ELi32ELi32ELi8ELi32ELi8ELi8ELi32ELc84ELc67EKPKdS3_KPdEEvlllT_PT11_llS8_llS6_PT12_llPT13_lli.num_vgpr, 53
	.set _ZN12_GLOBAL__N_135rocblas_gemm_batched_general_kernelIdLi16ELi16ELi32ELi32ELi8ELi32ELi8ELi8ELi32ELc84ELc67EKPKdS3_KPdEEvlllT_PT11_llS8_llS6_PT12_llPT13_lli.num_agpr, 0
	.set _ZN12_GLOBAL__N_135rocblas_gemm_batched_general_kernelIdLi16ELi16ELi32ELi32ELi8ELi32ELi8ELi8ELi32ELc84ELc67EKPKdS3_KPdEEvlllT_PT11_llS8_llS6_PT12_llPT13_lli.numbered_sgpr, 52
	.set _ZN12_GLOBAL__N_135rocblas_gemm_batched_general_kernelIdLi16ELi16ELi32ELi32ELi8ELi32ELi8ELi8ELi32ELc84ELc67EKPKdS3_KPdEEvlllT_PT11_llS8_llS6_PT12_llPT13_lli.num_named_barrier, 0
	.set _ZN12_GLOBAL__N_135rocblas_gemm_batched_general_kernelIdLi16ELi16ELi32ELi32ELi8ELi32ELi8ELi8ELi32ELc84ELc67EKPKdS3_KPdEEvlllT_PT11_llS8_llS6_PT12_llPT13_lli.private_seg_size, 0
	.set _ZN12_GLOBAL__N_135rocblas_gemm_batched_general_kernelIdLi16ELi16ELi32ELi32ELi8ELi32ELi8ELi8ELi32ELc84ELc67EKPKdS3_KPdEEvlllT_PT11_llS8_llS6_PT12_llPT13_lli.uses_vcc, 1
	.set _ZN12_GLOBAL__N_135rocblas_gemm_batched_general_kernelIdLi16ELi16ELi32ELi32ELi8ELi32ELi8ELi8ELi32ELc84ELc67EKPKdS3_KPdEEvlllT_PT11_llS8_llS6_PT12_llPT13_lli.uses_flat_scratch, 0
	.set _ZN12_GLOBAL__N_135rocblas_gemm_batched_general_kernelIdLi16ELi16ELi32ELi32ELi8ELi32ELi8ELi8ELi32ELc84ELc67EKPKdS3_KPdEEvlllT_PT11_llS8_llS6_PT12_llPT13_lli.has_dyn_sized_stack, 0
	.set _ZN12_GLOBAL__N_135rocblas_gemm_batched_general_kernelIdLi16ELi16ELi32ELi32ELi8ELi32ELi8ELi8ELi32ELc84ELc67EKPKdS3_KPdEEvlllT_PT11_llS8_llS6_PT12_llPT13_lli.has_recursion, 0
	.set _ZN12_GLOBAL__N_135rocblas_gemm_batched_general_kernelIdLi16ELi16ELi32ELi32ELi8ELi32ELi8ELi8ELi32ELc84ELc67EKPKdS3_KPdEEvlllT_PT11_llS8_llS6_PT12_llPT13_lli.has_indirect_call, 0
	.section	.AMDGPU.csdata,"",@progbits
; Kernel info:
; codeLenInByte = 2492
; TotalNumSgprs: 54
; NumVgprs: 53
; ScratchSize: 0
; MemoryBound: 0
; FloatMode: 240
; IeeeMode: 1
; LDSByteSize: 4096 bytes/workgroup (compile time only)
; SGPRBlocks: 0
; VGPRBlocks: 6
; NumSGPRsForWavesPerEU: 54
; NumVGPRsForWavesPerEU: 53
; Occupancy: 16
; WaveLimiterHint : 1
; COMPUTE_PGM_RSRC2:SCRATCH_EN: 0
; COMPUTE_PGM_RSRC2:USER_SGPR: 2
; COMPUTE_PGM_RSRC2:TRAP_HANDLER: 0
; COMPUTE_PGM_RSRC2:TGID_X_EN: 1
; COMPUTE_PGM_RSRC2:TGID_Y_EN: 1
; COMPUTE_PGM_RSRC2:TGID_Z_EN: 1
; COMPUTE_PGM_RSRC2:TIDIG_COMP_CNT: 1
	.section	.text._ZN12_GLOBAL__N_125rocblas_gemm_scale_kernelILi32ELi32E19rocblas_complex_numIfEPKPS2_EEviiT1_T2_llli,"axG",@progbits,_ZN12_GLOBAL__N_125rocblas_gemm_scale_kernelILi32ELi32E19rocblas_complex_numIfEPKPS2_EEviiT1_T2_llli,comdat
	.globl	_ZN12_GLOBAL__N_125rocblas_gemm_scale_kernelILi32ELi32E19rocblas_complex_numIfEPKPS2_EEviiT1_T2_llli ; -- Begin function _ZN12_GLOBAL__N_125rocblas_gemm_scale_kernelILi32ELi32E19rocblas_complex_numIfEPKPS2_EEviiT1_T2_llli
	.p2align	8
	.type	_ZN12_GLOBAL__N_125rocblas_gemm_scale_kernelILi32ELi32E19rocblas_complex_numIfEPKPS2_EEviiT1_T2_llli,@function
_ZN12_GLOBAL__N_125rocblas_gemm_scale_kernelILi32ELi32E19rocblas_complex_numIfEPKPS2_EEviiT1_T2_llli: ; @_ZN12_GLOBAL__N_125rocblas_gemm_scale_kernelILi32ELi32E19rocblas_complex_numIfEPKPS2_EEviiT1_T2_llli
; %bb.0:
	s_load_b32 s10, s[0:1], 0x30
	s_lshr_b32 s8, ttmp7, 16
	s_wait_kmcnt 0x0
	s_cmp_ge_u32 s8, s10
	s_cbranch_scc1 .LBB232_7
; %bb.1:
	s_load_b64 s[12:13], s[0:1], 0x20
	v_bfe_u32 v1, v0, 10, 10
	s_and_b32 s2, ttmp7, 0xffff
	s_mov_b32 s9, 0
	v_and_b32_e32 v0, 0x3ff, v0
	s_delay_alu instid0(VALU_DEP_2) | instskip(SKIP_1) | instid1(VALU_DEP_2)
	v_lshl_add_u32 v6, s2, 5, v1
	s_load_b256 s[0:7], s[0:1], 0x0
	v_lshl_add_u32 v0, ttmp9, 5, v0
	s_wait_kmcnt 0x0
	s_delay_alu instid0(VALU_DEP_2) | instskip(NEXT) | instid1(VALU_DEP_2)
	v_mad_co_u64_u32 v[4:5], null, s12, v6, 0
	v_cmp_gt_u32_e32 vcc_lo, s0, v0
	s_delay_alu instid0(VALU_DEP_2)
	v_mov_b32_e32 v1, v5
	v_cmp_gt_u32_e64 s0, s1, v6
	s_or_b32 s1, s2, s3
	s_wait_alu 0xfffe
	s_bitset0_b32 s1, 31
	v_mad_co_u64_u32 v[2:3], null, s13, v6, v[1:2]
	v_mov_b32_e32 v1, 0
	s_and_b32 s11, vcc_lo, s0
	s_wait_alu 0xfffe
	s_cmp_lg_u32 s1, 0
	s_cselect_b32 s12, -1, 0
	s_lshl_b64 s[0:1], s[6:7], 3
	s_delay_alu instid0(VALU_DEP_2) | instskip(SKIP_1) | instid1(VALU_DEP_2)
	v_mov_b32_e32 v5, v2
	v_lshlrev_b64_e32 v[2:3], 3, v[0:1]
	v_lshlrev_b64_e32 v[4:5], 3, v[4:5]
	s_branch .LBB232_4
.LBB232_2:                              ;   in Loop: Header=BB232_4 Depth=1
	v_add_co_u32 v0, vcc_lo, v0, v4
	s_wait_alu 0xfffd
	v_add_co_ci_u32_e64 v9, null, v8, v5, vcc_lo
	s_delay_alu instid0(VALU_DEP_2) | instskip(SKIP_1) | instid1(VALU_DEP_2)
	v_add_co_u32 v8, vcc_lo, v0, v2
	s_wait_alu 0xfffd
	v_add_co_ci_u32_e64 v9, null, v9, v3, vcc_lo
	flat_store_b64 v[8:9], v[6:7]
.LBB232_3:                              ;   in Loop: Header=BB232_4 Depth=1
	s_or_b32 exec_lo, exec_lo, s6
	s_add_co_i32 s8, s8, 0x10000
	s_delay_alu instid0(SALU_CYCLE_1)
	s_cmp_lt_u32 s8, s10
	s_cbranch_scc0 .LBB232_7
.LBB232_4:                              ; =>This Inner Loop Header: Depth=1
	s_and_saveexec_b32 s6, s11
	s_cbranch_execz .LBB232_3
; %bb.5:                                ;   in Loop: Header=BB232_4 Depth=1
	s_lshl_b64 s[14:15], s[8:9], 3
	v_dual_mov_b32 v7, 0 :: v_dual_mov_b32 v6, 0
	s_add_nc_u64 s[14:15], s[4:5], s[14:15]
	global_load_b64 v[8:9], v1, s[14:15]
	s_wait_loadcnt 0x0
	s_wait_alu 0xfffe
	v_add_co_u32 v0, vcc_lo, v8, s0
	s_wait_alu 0xfffd
	v_add_co_ci_u32_e64 v8, null, s1, v9, vcc_lo
	s_and_not1_b32 vcc_lo, exec_lo, s12
	s_wait_alu 0xfffe
	s_cbranch_vccnz .LBB232_2
; %bb.6:                                ;   in Loop: Header=BB232_4 Depth=1
	v_add_co_u32 v6, vcc_lo, v0, v4
	s_wait_alu 0xfffd
	v_add_co_ci_u32_e64 v7, null, v8, v5, vcc_lo
	s_delay_alu instid0(VALU_DEP_2) | instskip(SKIP_1) | instid1(VALU_DEP_2)
	v_add_co_u32 v6, vcc_lo, v6, v2
	s_wait_alu 0xfffd
	v_add_co_ci_u32_e64 v7, null, v7, v3, vcc_lo
	flat_load_b64 v[9:10], v[6:7]
	s_wait_loadcnt_dscnt 0x0
	v_mul_f32_e32 v7, s2, v10
	s_delay_alu instid0(VALU_DEP_1) | instskip(NEXT) | instid1(VALU_DEP_1)
	v_dual_mul_f32 v6, s3, v10 :: v_dual_fmac_f32 v7, s3, v9
	v_fma_f32 v6, v9, s2, -v6
	s_branch .LBB232_2
.LBB232_7:
	s_endpgm
	.section	.rodata,"a",@progbits
	.p2align	6, 0x0
	.amdhsa_kernel _ZN12_GLOBAL__N_125rocblas_gemm_scale_kernelILi32ELi32E19rocblas_complex_numIfEPKPS2_EEviiT1_T2_llli
		.amdhsa_group_segment_fixed_size 0
		.amdhsa_private_segment_fixed_size 0
		.amdhsa_kernarg_size 52
		.amdhsa_user_sgpr_count 2
		.amdhsa_user_sgpr_dispatch_ptr 0
		.amdhsa_user_sgpr_queue_ptr 0
		.amdhsa_user_sgpr_kernarg_segment_ptr 1
		.amdhsa_user_sgpr_dispatch_id 0
		.amdhsa_user_sgpr_private_segment_size 0
		.amdhsa_wavefront_size32 1
		.amdhsa_uses_dynamic_stack 0
		.amdhsa_enable_private_segment 0
		.amdhsa_system_sgpr_workgroup_id_x 1
		.amdhsa_system_sgpr_workgroup_id_y 1
		.amdhsa_system_sgpr_workgroup_id_z 1
		.amdhsa_system_sgpr_workgroup_info 0
		.amdhsa_system_vgpr_workitem_id 1
		.amdhsa_next_free_vgpr 11
		.amdhsa_next_free_sgpr 16
		.amdhsa_reserve_vcc 1
		.amdhsa_float_round_mode_32 0
		.amdhsa_float_round_mode_16_64 0
		.amdhsa_float_denorm_mode_32 3
		.amdhsa_float_denorm_mode_16_64 3
		.amdhsa_fp16_overflow 0
		.amdhsa_workgroup_processor_mode 1
		.amdhsa_memory_ordered 1
		.amdhsa_forward_progress 1
		.amdhsa_inst_pref_size 4
		.amdhsa_round_robin_scheduling 0
		.amdhsa_exception_fp_ieee_invalid_op 0
		.amdhsa_exception_fp_denorm_src 0
		.amdhsa_exception_fp_ieee_div_zero 0
		.amdhsa_exception_fp_ieee_overflow 0
		.amdhsa_exception_fp_ieee_underflow 0
		.amdhsa_exception_fp_ieee_inexact 0
		.amdhsa_exception_int_div_zero 0
	.end_amdhsa_kernel
	.section	.text._ZN12_GLOBAL__N_125rocblas_gemm_scale_kernelILi32ELi32E19rocblas_complex_numIfEPKPS2_EEviiT1_T2_llli,"axG",@progbits,_ZN12_GLOBAL__N_125rocblas_gemm_scale_kernelILi32ELi32E19rocblas_complex_numIfEPKPS2_EEviiT1_T2_llli,comdat
.Lfunc_end232:
	.size	_ZN12_GLOBAL__N_125rocblas_gemm_scale_kernelILi32ELi32E19rocblas_complex_numIfEPKPS2_EEviiT1_T2_llli, .Lfunc_end232-_ZN12_GLOBAL__N_125rocblas_gemm_scale_kernelILi32ELi32E19rocblas_complex_numIfEPKPS2_EEviiT1_T2_llli
                                        ; -- End function
	.set _ZN12_GLOBAL__N_125rocblas_gemm_scale_kernelILi32ELi32E19rocblas_complex_numIfEPKPS2_EEviiT1_T2_llli.num_vgpr, 11
	.set _ZN12_GLOBAL__N_125rocblas_gemm_scale_kernelILi32ELi32E19rocblas_complex_numIfEPKPS2_EEviiT1_T2_llli.num_agpr, 0
	.set _ZN12_GLOBAL__N_125rocblas_gemm_scale_kernelILi32ELi32E19rocblas_complex_numIfEPKPS2_EEviiT1_T2_llli.numbered_sgpr, 16
	.set _ZN12_GLOBAL__N_125rocblas_gemm_scale_kernelILi32ELi32E19rocblas_complex_numIfEPKPS2_EEviiT1_T2_llli.num_named_barrier, 0
	.set _ZN12_GLOBAL__N_125rocblas_gemm_scale_kernelILi32ELi32E19rocblas_complex_numIfEPKPS2_EEviiT1_T2_llli.private_seg_size, 0
	.set _ZN12_GLOBAL__N_125rocblas_gemm_scale_kernelILi32ELi32E19rocblas_complex_numIfEPKPS2_EEviiT1_T2_llli.uses_vcc, 1
	.set _ZN12_GLOBAL__N_125rocblas_gemm_scale_kernelILi32ELi32E19rocblas_complex_numIfEPKPS2_EEviiT1_T2_llli.uses_flat_scratch, 0
	.set _ZN12_GLOBAL__N_125rocblas_gemm_scale_kernelILi32ELi32E19rocblas_complex_numIfEPKPS2_EEviiT1_T2_llli.has_dyn_sized_stack, 0
	.set _ZN12_GLOBAL__N_125rocblas_gemm_scale_kernelILi32ELi32E19rocblas_complex_numIfEPKPS2_EEviiT1_T2_llli.has_recursion, 0
	.set _ZN12_GLOBAL__N_125rocblas_gemm_scale_kernelILi32ELi32E19rocblas_complex_numIfEPKPS2_EEviiT1_T2_llli.has_indirect_call, 0
	.section	.AMDGPU.csdata,"",@progbits
; Kernel info:
; codeLenInByte = 436
; TotalNumSgprs: 18
; NumVgprs: 11
; ScratchSize: 0
; MemoryBound: 0
; FloatMode: 240
; IeeeMode: 1
; LDSByteSize: 0 bytes/workgroup (compile time only)
; SGPRBlocks: 0
; VGPRBlocks: 1
; NumSGPRsForWavesPerEU: 18
; NumVGPRsForWavesPerEU: 11
; Occupancy: 16
; WaveLimiterHint : 1
; COMPUTE_PGM_RSRC2:SCRATCH_EN: 0
; COMPUTE_PGM_RSRC2:USER_SGPR: 2
; COMPUTE_PGM_RSRC2:TRAP_HANDLER: 0
; COMPUTE_PGM_RSRC2:TGID_X_EN: 1
; COMPUTE_PGM_RSRC2:TGID_Y_EN: 1
; COMPUTE_PGM_RSRC2:TGID_Z_EN: 1
; COMPUTE_PGM_RSRC2:TIDIG_COMP_CNT: 1
	.section	.text._ZN12_GLOBAL__N_120gemm_ex_scale_kernelILi32ELi32E19rocblas_complex_numIfEPKPKS2_PKPS2_EEviiT1_T2_lllT3_llli,"axG",@progbits,_ZN12_GLOBAL__N_120gemm_ex_scale_kernelILi32ELi32E19rocblas_complex_numIfEPKPKS2_PKPS2_EEviiT1_T2_lllT3_llli,comdat
	.globl	_ZN12_GLOBAL__N_120gemm_ex_scale_kernelILi32ELi32E19rocblas_complex_numIfEPKPKS2_PKPS2_EEviiT1_T2_lllT3_llli ; -- Begin function _ZN12_GLOBAL__N_120gemm_ex_scale_kernelILi32ELi32E19rocblas_complex_numIfEPKPKS2_PKPS2_EEviiT1_T2_lllT3_llli
	.p2align	8
	.type	_ZN12_GLOBAL__N_120gemm_ex_scale_kernelILi32ELi32E19rocblas_complex_numIfEPKPKS2_PKPS2_EEviiT1_T2_lllT3_llli,@function
_ZN12_GLOBAL__N_120gemm_ex_scale_kernelILi32ELi32E19rocblas_complex_numIfEPKPKS2_PKPS2_EEviiT1_T2_lllT3_llli: ; @_ZN12_GLOBAL__N_120gemm_ex_scale_kernelILi32ELi32E19rocblas_complex_numIfEPKPKS2_PKPS2_EEviiT1_T2_lllT3_llli
; %bb.0:
	s_load_b32 s16, s[0:1], 0x50
	s_lshr_b32 s2, ttmp7, 16
	s_wait_kmcnt 0x0
	s_cmp_ge_u32 s2, s16
	s_cbranch_scc1 .LBB233_9
; %bb.1:
	s_clause 0x2
	s_load_b256 s[4:11], s[0:1], 0x0
	s_load_b64 s[18:19], s[0:1], 0x20
	s_load_b64 s[20:21], s[0:1], 0x40
	v_bfe_u32 v1, v0, 10, 10
	v_and_b32_e32 v0, 0x3ff, v0
	s_wait_kmcnt 0x0
	s_cmp_neq_f32 s6, 0
	s_cselect_b32 s3, -1, 0
	s_cmp_neq_f32 s7, 0
	s_cselect_b32 s17, -1, 0
	s_and_b32 s12, ttmp7, 0xffff
	s_or_b32 s17, s3, s17
	v_lshl_add_u32 v10, s12, 5, v1
	s_load_b128 s[12:15], s[0:1], 0x30
	v_mov_b32_e32 v1, 0
	v_lshl_add_u32 v0, ttmp9, 5, v0
	s_or_b32 s0, s6, s7
	v_mad_co_u64_u32 v[4:5], null, s18, v10, 0
	v_mad_co_u64_u32 v[6:7], null, s20, v10, 0
	s_delay_alu instid0(VALU_DEP_3)
	v_cmp_gt_u32_e32 vcc_lo, s4, v0
	s_wait_alu 0xfffe
	s_and_b32 s1, s0, 0x7fffffff
	v_cmp_gt_u32_e64 s0, s5, v10
	s_mov_b32 s3, 0
	v_dual_mov_b32 v2, v5 :: v_dual_mov_b32 v3, v7
	s_and_b32 s18, vcc_lo, s0
	s_wait_alu 0xfffe
	s_cmp_lg_u32 s1, 0
	s_delay_alu instid0(VALU_DEP_1)
	v_mad_co_u64_u32 v[7:8], null, s19, v10, v[2:3]
	v_mad_co_u64_u32 v[8:9], null, s21, v10, v[3:4]
	v_lshlrev_b64_e32 v[2:3], 3, v[0:1]
	s_cselect_b32 s19, -1, 0
	s_lshl_b64 s[0:1], s[10:11], 3
	s_wait_kmcnt 0x0
	s_lshl_b64 s[4:5], s[14:15], 3
	s_delay_alu instid0(VALU_DEP_3) | instskip(NEXT) | instid1(VALU_DEP_3)
	v_mov_b32_e32 v5, v7
	v_mov_b32_e32 v7, v8
	s_delay_alu instid0(VALU_DEP_2) | instskip(NEXT) | instid1(VALU_DEP_2)
	v_lshlrev_b64_e32 v[4:5], 3, v[4:5]
	v_lshlrev_b64_e32 v[6:7], 3, v[6:7]
	s_branch .LBB233_4
.LBB233_2:                              ;   in Loop: Header=BB233_4 Depth=1
	s_wait_loadcnt 0x0
	v_add_co_u32 v0, vcc_lo, v10, s4
	s_wait_alu 0xfffd
	v_add_co_ci_u32_e64 v8, null, s5, v11, vcc_lo
	s_delay_alu instid0(VALU_DEP_2) | instskip(SKIP_1) | instid1(VALU_DEP_2)
	v_add_co_u32 v0, vcc_lo, v0, v6
	s_wait_alu 0xfffd
	v_add_co_ci_u32_e64 v9, null, v8, v7, vcc_lo
	s_delay_alu instid0(VALU_DEP_2) | instskip(SKIP_1) | instid1(VALU_DEP_2)
	v_add_co_u32 v8, vcc_lo, v0, v2
	s_wait_alu 0xfffd
	v_add_co_ci_u32_e64 v9, null, v9, v3, vcc_lo
	flat_store_b64 v[8:9], v[12:13]
.LBB233_3:                              ;   in Loop: Header=BB233_4 Depth=1
	s_or_b32 exec_lo, exec_lo, s10
	s_add_co_i32 s2, s2, 0x10000
	s_delay_alu instid0(SALU_CYCLE_1)
	s_cmp_lt_u32 s2, s16
	s_cbranch_scc0 .LBB233_9
.LBB233_4:                              ; =>This Inner Loop Header: Depth=1
	v_mov_b32_e32 v8, 0
	v_mov_b32_e32 v9, 0
	s_and_not1_b32 vcc_lo, exec_lo, s17
	s_wait_alu 0xfffe
	s_cbranch_vccz .LBB233_6
; %bb.5:                                ;   in Loop: Header=BB233_4 Depth=1
	s_and_saveexec_b32 s10, s18
	s_cbranch_execz .LBB233_3
	s_branch .LBB233_7
.LBB233_6:                              ;   in Loop: Header=BB233_4 Depth=1
	s_lshl_b64 s[10:11], s[2:3], 3
	s_delay_alu instid0(SALU_CYCLE_1)
	s_add_nc_u64 s[10:11], s[8:9], s[10:11]
	global_load_b64 v[8:9], v1, s[10:11]
	s_wait_loadcnt 0x0
	v_add_co_u32 v8, vcc_lo, v8, s0
	s_wait_alu 0xfffd
	v_add_co_ci_u32_e64 v9, null, s1, v9, vcc_lo
	s_and_saveexec_b32 s10, s18
	s_cbranch_execz .LBB233_3
.LBB233_7:                              ;   in Loop: Header=BB233_4 Depth=1
	s_lshl_b64 s[14:15], s[2:3], 3
	v_dual_mov_b32 v13, 0 :: v_dual_mov_b32 v12, 0
	s_add_nc_u64 s[14:15], s[12:13], s[14:15]
	s_and_not1_b32 vcc_lo, exec_lo, s19
	global_load_b64 v[10:11], v1, s[14:15]
	s_wait_alu 0xfffe
	s_cbranch_vccnz .LBB233_2
; %bb.8:                                ;   in Loop: Header=BB233_4 Depth=1
	v_add_co_u32 v0, vcc_lo, v8, v4
	s_wait_alu 0xfffd
	v_add_co_ci_u32_e64 v9, null, v9, v5, vcc_lo
	s_delay_alu instid0(VALU_DEP_2) | instskip(SKIP_1) | instid1(VALU_DEP_2)
	v_add_co_u32 v8, vcc_lo, v0, v2
	s_wait_alu 0xfffd
	v_add_co_ci_u32_e64 v9, null, v9, v3, vcc_lo
	flat_load_b64 v[8:9], v[8:9]
	s_wait_loadcnt_dscnt 0x0
	v_mul_f32_e32 v13, s6, v9
	s_delay_alu instid0(VALU_DEP_1) | instskip(NEXT) | instid1(VALU_DEP_1)
	v_dual_mul_f32 v0, s7, v9 :: v_dual_fmac_f32 v13, s7, v8
	v_fma_f32 v12, v8, s6, -v0
	s_branch .LBB233_2
.LBB233_9:
	s_endpgm
	.section	.rodata,"a",@progbits
	.p2align	6, 0x0
	.amdhsa_kernel _ZN12_GLOBAL__N_120gemm_ex_scale_kernelILi32ELi32E19rocblas_complex_numIfEPKPKS2_PKPS2_EEviiT1_T2_lllT3_llli
		.amdhsa_group_segment_fixed_size 0
		.amdhsa_private_segment_fixed_size 0
		.amdhsa_kernarg_size 84
		.amdhsa_user_sgpr_count 2
		.amdhsa_user_sgpr_dispatch_ptr 0
		.amdhsa_user_sgpr_queue_ptr 0
		.amdhsa_user_sgpr_kernarg_segment_ptr 1
		.amdhsa_user_sgpr_dispatch_id 0
		.amdhsa_user_sgpr_private_segment_size 0
		.amdhsa_wavefront_size32 1
		.amdhsa_uses_dynamic_stack 0
		.amdhsa_enable_private_segment 0
		.amdhsa_system_sgpr_workgroup_id_x 1
		.amdhsa_system_sgpr_workgroup_id_y 1
		.amdhsa_system_sgpr_workgroup_id_z 1
		.amdhsa_system_sgpr_workgroup_info 0
		.amdhsa_system_vgpr_workitem_id 1
		.amdhsa_next_free_vgpr 14
		.amdhsa_next_free_sgpr 22
		.amdhsa_reserve_vcc 1
		.amdhsa_float_round_mode_32 0
		.amdhsa_float_round_mode_16_64 0
		.amdhsa_float_denorm_mode_32 3
		.amdhsa_float_denorm_mode_16_64 3
		.amdhsa_fp16_overflow 0
		.amdhsa_workgroup_processor_mode 1
		.amdhsa_memory_ordered 1
		.amdhsa_forward_progress 1
		.amdhsa_inst_pref_size 5
		.amdhsa_round_robin_scheduling 0
		.amdhsa_exception_fp_ieee_invalid_op 0
		.amdhsa_exception_fp_denorm_src 0
		.amdhsa_exception_fp_ieee_div_zero 0
		.amdhsa_exception_fp_ieee_overflow 0
		.amdhsa_exception_fp_ieee_underflow 0
		.amdhsa_exception_fp_ieee_inexact 0
		.amdhsa_exception_int_div_zero 0
	.end_amdhsa_kernel
	.section	.text._ZN12_GLOBAL__N_120gemm_ex_scale_kernelILi32ELi32E19rocblas_complex_numIfEPKPKS2_PKPS2_EEviiT1_T2_lllT3_llli,"axG",@progbits,_ZN12_GLOBAL__N_120gemm_ex_scale_kernelILi32ELi32E19rocblas_complex_numIfEPKPKS2_PKPS2_EEviiT1_T2_lllT3_llli,comdat
.Lfunc_end233:
	.size	_ZN12_GLOBAL__N_120gemm_ex_scale_kernelILi32ELi32E19rocblas_complex_numIfEPKPKS2_PKPS2_EEviiT1_T2_lllT3_llli, .Lfunc_end233-_ZN12_GLOBAL__N_120gemm_ex_scale_kernelILi32ELi32E19rocblas_complex_numIfEPKPKS2_PKPS2_EEviiT1_T2_lllT3_llli
                                        ; -- End function
	.set _ZN12_GLOBAL__N_120gemm_ex_scale_kernelILi32ELi32E19rocblas_complex_numIfEPKPKS2_PKPS2_EEviiT1_T2_lllT3_llli.num_vgpr, 14
	.set _ZN12_GLOBAL__N_120gemm_ex_scale_kernelILi32ELi32E19rocblas_complex_numIfEPKPKS2_PKPS2_EEviiT1_T2_lllT3_llli.num_agpr, 0
	.set _ZN12_GLOBAL__N_120gemm_ex_scale_kernelILi32ELi32E19rocblas_complex_numIfEPKPKS2_PKPS2_EEviiT1_T2_lllT3_llli.numbered_sgpr, 22
	.set _ZN12_GLOBAL__N_120gemm_ex_scale_kernelILi32ELi32E19rocblas_complex_numIfEPKPKS2_PKPS2_EEviiT1_T2_lllT3_llli.num_named_barrier, 0
	.set _ZN12_GLOBAL__N_120gemm_ex_scale_kernelILi32ELi32E19rocblas_complex_numIfEPKPKS2_PKPS2_EEviiT1_T2_lllT3_llli.private_seg_size, 0
	.set _ZN12_GLOBAL__N_120gemm_ex_scale_kernelILi32ELi32E19rocblas_complex_numIfEPKPKS2_PKPS2_EEviiT1_T2_lllT3_llli.uses_vcc, 1
	.set _ZN12_GLOBAL__N_120gemm_ex_scale_kernelILi32ELi32E19rocblas_complex_numIfEPKPKS2_PKPS2_EEviiT1_T2_lllT3_llli.uses_flat_scratch, 0
	.set _ZN12_GLOBAL__N_120gemm_ex_scale_kernelILi32ELi32E19rocblas_complex_numIfEPKPKS2_PKPS2_EEviiT1_T2_lllT3_llli.has_dyn_sized_stack, 0
	.set _ZN12_GLOBAL__N_120gemm_ex_scale_kernelILi32ELi32E19rocblas_complex_numIfEPKPKS2_PKPS2_EEviiT1_T2_lllT3_llli.has_recursion, 0
	.set _ZN12_GLOBAL__N_120gemm_ex_scale_kernelILi32ELi32E19rocblas_complex_numIfEPKPKS2_PKPS2_EEviiT1_T2_lllT3_llli.has_indirect_call, 0
	.section	.AMDGPU.csdata,"",@progbits
; Kernel info:
; codeLenInByte = 596
; TotalNumSgprs: 24
; NumVgprs: 14
; ScratchSize: 0
; MemoryBound: 0
; FloatMode: 240
; IeeeMode: 1
; LDSByteSize: 0 bytes/workgroup (compile time only)
; SGPRBlocks: 0
; VGPRBlocks: 1
; NumSGPRsForWavesPerEU: 24
; NumVGPRsForWavesPerEU: 14
; Occupancy: 16
; WaveLimiterHint : 1
; COMPUTE_PGM_RSRC2:SCRATCH_EN: 0
; COMPUTE_PGM_RSRC2:USER_SGPR: 2
; COMPUTE_PGM_RSRC2:TRAP_HANDLER: 0
; COMPUTE_PGM_RSRC2:TGID_X_EN: 1
; COMPUTE_PGM_RSRC2:TGID_Y_EN: 1
; COMPUTE_PGM_RSRC2:TGID_Z_EN: 1
; COMPUTE_PGM_RSRC2:TIDIG_COMP_CNT: 1
	.section	.text._ZN12_GLOBAL__N_127rocblas_gemm_batched_kernelI19rocblas_complex_numIfELi16ELi16ELi64ELi64ELi4ELi64ELi4ELi4ELi64ELc78ELc78EKPKS2_S5_KPS2_EEvlllT_PT11_llSA_llS8_PT12_llPT13_lli,"axG",@progbits,_ZN12_GLOBAL__N_127rocblas_gemm_batched_kernelI19rocblas_complex_numIfELi16ELi16ELi64ELi64ELi4ELi64ELi4ELi4ELi64ELc78ELc78EKPKS2_S5_KPS2_EEvlllT_PT11_llSA_llS8_PT12_llPT13_lli,comdat
	.globl	_ZN12_GLOBAL__N_127rocblas_gemm_batched_kernelI19rocblas_complex_numIfELi16ELi16ELi64ELi64ELi4ELi64ELi4ELi4ELi64ELc78ELc78EKPKS2_S5_KPS2_EEvlllT_PT11_llSA_llS8_PT12_llPT13_lli ; -- Begin function _ZN12_GLOBAL__N_127rocblas_gemm_batched_kernelI19rocblas_complex_numIfELi16ELi16ELi64ELi64ELi4ELi64ELi4ELi4ELi64ELc78ELc78EKPKS2_S5_KPS2_EEvlllT_PT11_llSA_llS8_PT12_llPT13_lli
	.p2align	8
	.type	_ZN12_GLOBAL__N_127rocblas_gemm_batched_kernelI19rocblas_complex_numIfELi16ELi16ELi64ELi64ELi4ELi64ELi4ELi4ELi64ELc78ELc78EKPKS2_S5_KPS2_EEvlllT_PT11_llSA_llS8_PT12_llPT13_lli,@function
_ZN12_GLOBAL__N_127rocblas_gemm_batched_kernelI19rocblas_complex_numIfELi16ELi16ELi64ELi64ELi4ELi64ELi4ELi4ELi64ELc78ELc78EKPKS2_S5_KPS2_EEvlllT_PT11_llSA_llS8_PT12_llPT13_lli: ; @_ZN12_GLOBAL__N_127rocblas_gemm_batched_kernelI19rocblas_complex_numIfELi16ELi16ELi64ELi64ELi4ELi64ELi4ELi4ELi64ELc78ELc78EKPKS2_S5_KPS2_EEvlllT_PT11_llSA_llS8_PT12_llPT13_lli
; %bb.0:
	s_load_b32 s33, s[0:1], 0x88
	s_lshr_b32 s2, ttmp7, 16
	s_wait_kmcnt 0x0
	s_cmp_ge_i32 s2, s33
	s_cbranch_scc1 .LBB234_10
; %bb.1:
	s_load_b256 s[12:19], s[0:1], 0x58
	v_bfe_u32 v1, v0, 10, 10
	s_clause 0x4
	s_load_b128 s[20:23], s[0:1], 0x10
	s_load_b256 s[4:11], s[0:1], 0x20
	s_load_b128 s[28:31], s[0:1], 0x40
	s_load_b64 s[34:35], s[0:1], 0x50
	s_load_b128 s[24:27], s[0:1], 0x78
	s_lshl_b32 s0, ttmp7, 6
	s_mov_b32 s36, ttmp9
	s_and_b32 s3, s0, 0x3fffc0
	s_ashr_i32 s37, ttmp9, 31
	v_add_nc_u32_e32 v11, s3, v1
	s_lshl_b64 s[0:1], s[36:37], 6
	v_lshl_add_u32 v20, v1, 5, 0x800
	s_wait_kmcnt 0x0
	s_delay_alu instid0(VALU_DEP_2) | instskip(SKIP_1) | instid1(VALU_DEP_1)
	v_mad_co_u64_u32 v[4:5], null, v11, s14, 0
	v_and_b32_e32 v14, 0x3ff, v0
	v_lshl_add_u32 v2, v1, 4, v14
	s_delay_alu instid0(VALU_DEP_1) | instskip(SKIP_2) | instid1(VALU_DEP_2)
	v_dual_mov_b32 v16, 0 :: v_dual_and_b32 v13, 63, v2
	v_lshrrev_b32_e32 v3, 2, v2
	v_lshrrev_b32_e32 v10, 6, v2
	v_add_nc_u32_e32 v12, s3, v3
	s_or_b32 s3, s34, s35
	s_wait_alu 0xfffe
	s_bitset0_b32 s3, 31
	s_delay_alu instid0(VALU_DEP_1)
	v_mad_co_u64_u32 v[6:7], null, s28, v12, 0
	v_lshlrev_b32_e32 v0, 3, v0
	s_wait_alu 0xfffe
	s_cmp_eq_u32 s3, 0
	s_mov_b32 s3, 0
	s_cselect_b32 s28, -1, 0
	s_lshl_b64 s[36:37], s[14:15], 4
	v_and_b32_e32 v15, 24, v0
	v_lshlrev_b32_e32 v0, 3, v13
	s_delay_alu instid0(VALU_DEP_2) | instskip(NEXT) | instid1(VALU_DEP_2)
	v_lshl_or_b32 v2, v3, 5, v15
	v_lshl_or_b32 v17, v10, 9, v0
	v_mad_co_u64_u32 v[0:1], null, v11, s24, 0
	s_delay_alu instid0(VALU_DEP_3) | instskip(SKIP_1) | instid1(VALU_DEP_1)
	v_add_nc_u32_e32 v18, 0x800, v2
	v_mad_co_u64_u32 v[2:3], null, s6, v10, s[0:1]
	v_mad_co_u64_u32 v[8:9], null, v11, s25, v[1:2]
	v_mov_b32_e32 v1, v5
	v_mov_b32_e32 v5, v7
	s_delay_alu instid0(VALU_DEP_4) | instskip(SKIP_1) | instid1(VALU_DEP_4)
	v_mad_co_u64_u32 v[9:10], null, s7, v10, v[3:4]
	v_lshlrev_b32_e32 v19, 3, v14
	v_mad_co_u64_u32 v[10:11], null, v11, s15, v[1:2]
	s_delay_alu instid0(VALU_DEP_4) | instskip(SKIP_1) | instid1(VALU_DEP_1)
	v_mad_co_u64_u32 v[11:12], null, s29, v12, v[5:6]
	v_add_co_u32 v12, vcc_lo, v2, v13
	v_add_co_ci_u32_e64 v13, null, 0, v9, vcc_lo
	v_mov_b32_e32 v1, v8
	v_add_co_u32 v2, s0, s0, v14
	v_mov_b32_e32 v7, v11
	s_delay_alu instid0(VALU_DEP_4)
	v_lshlrev_b64_e32 v[8:9], 3, v[12:13]
	s_wait_alu 0xf1ff
	v_add_co_ci_u32_e64 v3, null, s1, 0, s0
	s_lshl_b64 s[0:1], s[8:9], 3
	v_lshlrev_b64_e32 v[6:7], 3, v[6:7]
	v_mov_b32_e32 v5, v10
	s_wait_alu 0xfffe
	v_add_co_u32 v21, vcc_lo, s0, v8
	s_wait_alu 0xfffd
	v_add_co_ci_u32_e64 v22, null, s1, v9, vcc_lo
	s_lshl_b64 s[0:1], s[30:31], 3
	v_lshlrev_b64_e32 v[4:5], 3, v[4:5]
	s_wait_alu 0xfffe
	v_add_co_u32 v6, vcc_lo, v6, s0
	v_cmp_gt_i64_e64 s0, s[20:21], 0
	s_wait_alu 0xfffd
	v_add_co_ci_u32_e64 v7, null, s1, v7, vcc_lo
	s_delay_alu instid0(VALU_DEP_3)
	v_add_co_u32 v23, vcc_lo, v6, v15
	s_lshl_b64 s[24:25], s[24:25], 4
	v_cndmask_b32_e64 v8, 0, 1, s0
	s_wait_alu 0xfffd
	v_add_co_ci_u32_e64 v24, null, 0, v7, vcc_lo
	s_lshl_b64 s[6:7], s[6:7], 5
	s_lshl_b64 s[8:9], s[26:27], 3
	v_cmp_ne_u32_e64 s0, 1, v8
	s_lshl_b64 s[14:15], s[16:17], 3
	s_lshl_b64 s[16:17], s[36:37], 3
	s_wait_alu 0xfffe
	s_lshl_b64 s[24:25], s[24:25], 3
	s_branch .LBB234_3
.LBB234_2:                              ;   in Loop: Header=BB234_3 Depth=1
	s_add_co_i32 s2, s2, 0x10000
	flat_store_b32 v[8:9], v12 offset:4
	s_wait_alu 0xfffe
	s_cmp_lt_i32 s2, s33
	s_cbranch_scc0 .LBB234_10
.LBB234_3:                              ; =>This Loop Header: Depth=1
                                        ;     Child Loop BB234_5 Depth 2
	s_lshl_b64 s[26:27], s[2:3], 3
	v_dual_mov_b32 v56, 0 :: v_dual_mov_b32 v55, 0
	s_wait_alu 0xfffe
	s_add_nc_u64 s[30:31], s[12:13], s[26:27]
	s_add_nc_u64 s[36:37], s[18:19], s[26:27]
	s_clause 0x1
	global_load_b64 v[6:7], v16, s[30:31]
	global_load_b64 v[8:9], v16, s[36:37]
	v_dual_mov_b32 v53, 0 :: v_dual_mov_b32 v54, 0
	v_dual_mov_b32 v51, 0 :: v_dual_mov_b32 v52, 0
	;; [unrolled: 1-line block ×15, first 2 shown]
	s_and_b32 vcc_lo, exec_lo, s0
	s_wait_alu 0xfffe
	s_cbranch_vccnz .LBB234_6
; %bb.4:                                ;   in Loop: Header=BB234_3 Depth=1
	s_add_nc_u64 s[30:31], s[4:5], s[26:27]
	s_add_nc_u64 s[26:27], s[10:11], s[26:27]
	s_clause 0x1
	global_load_b64 v[10:11], v16, s[30:31]
	global_load_b64 v[12:13], v16, s[26:27]
	v_dual_mov_b32 v26, 0 :: v_dual_mov_b32 v25, 0
	v_dual_mov_b32 v28, 0 :: v_dual_mov_b32 v27, 0
	;; [unrolled: 1-line block ×16, first 2 shown]
	s_mov_b64 s[26:27], 0
	s_wait_loadcnt 0x1
	v_add_co_u32 v10, vcc_lo, v10, v21
	s_wait_alu 0xfffd
	v_add_co_ci_u32_e64 v11, null, v11, v22, vcc_lo
	s_wait_loadcnt 0x0
	v_add_co_u32 v12, vcc_lo, v12, v23
	s_wait_alu 0xfffd
	v_add_co_ci_u32_e64 v13, null, v13, v24, vcc_lo
.LBB234_5:                              ;   Parent Loop BB234_3 Depth=1
                                        ; =>  This Inner Loop Header: Depth=2
	flat_load_b64 v[14:15], v[10:11]
	s_wait_alu 0xfffe
	s_add_nc_u64 s[26:27], s[26:27], 4
	v_add_co_u32 v10, vcc_lo, v10, s6
	s_wait_alu 0xfffe
	v_cmp_lt_i64_e64 s1, s[26:27], s[20:21]
	s_wait_alu 0xfffd
	v_add_co_ci_u32_e64 v11, null, s7, v11, vcc_lo
	s_and_b32 vcc_lo, exec_lo, s1
	s_wait_loadcnt_dscnt 0x0
	ds_store_b64 v17, v[14:15]
	flat_load_b64 v[14:15], v[12:13]
	v_add_co_u32 v12, s1, v12, 32
	s_wait_alu 0xf1ff
	v_add_co_ci_u32_e64 v13, null, 0, v13, s1
	s_wait_loadcnt_dscnt 0x0
	ds_store_b64 v18, v[14:15]
	s_wait_dscnt 0x0
	s_barrier_signal -1
	s_barrier_wait -1
	global_inv scope:SCOPE_SE
	ds_load_2addr_b64 v[57:60], v19 offset1:16
	ds_load_b128 v[61:64], v20
	ds_load_b128 v[65:68], v20 offset:16
	ds_load_b128 v[69:72], v20 offset:512
	;; [unrolled: 1-line block ×7, first 2 shown]
	ds_load_2addr_b64 v[93:96], v19 offset0:32 offset1:48
	ds_load_2addr_b64 v[97:100], v19 offset0:64 offset1:80
	;; [unrolled: 1-line block ×7, first 2 shown]
	s_wait_loadcnt_dscnt 0x0
	s_barrier_signal -1
	s_barrier_wait -1
	global_inv scope:SCOPE_SE
	v_mul_f32_e32 v15, v61, v58
	v_dual_mul_f32 v122, v61, v60 :: v_dual_mul_f32 v123, v70, v58
	v_mul_f32_e32 v14, v62, v58
	v_dual_mul_f32 v121, v62, v60 :: v_dual_mul_f32 v124, v69, v58
	v_dual_mul_f32 v125, v70, v60 :: v_dual_mul_f32 v128, v77, v58
	;; [unrolled: 1-line block ×5, first 2 shown]
	v_mul_f32_e32 v129, v78, v60
	v_dual_mul_f32 v130, v77, v60 :: v_dual_mul_f32 v131, v86, v58
	v_mul_f32_e32 v58, v85, v58
	v_mul_f32_e32 v132, v86, v60
	v_dual_mul_f32 v60, v85, v60 :: v_dual_mul_f32 v133, v62, v94
	v_dual_mul_f32 v138, v69, v94 :: v_dual_mul_f32 v139, v70, v96
	v_dual_mul_f32 v140, v69, v96 :: v_dual_mul_f32 v141, v78, v94
	v_dual_mul_f32 v142, v77, v94 :: v_dual_mul_f32 v143, v78, v96
	v_dual_mul_f32 v144, v77, v96 :: v_dual_mul_f32 v145, v86, v94
	v_dual_mul_f32 v94, v85, v94 :: v_dual_mul_f32 v153, v64, v104
	v_dual_mul_f32 v146, v86, v96 :: v_dual_mul_f32 v147, v64, v98
	v_dual_mul_f32 v96, v85, v96 :: v_dual_mul_f32 v151, v64, v102
	v_dual_mul_f32 v148, v63, v98 :: v_dual_mul_f32 v157, v72, v100
	v_mul_f32_e32 v149, v64, v100
	v_dual_mul_f32 v150, v63, v100 :: v_dual_mul_f32 v155, v72, v98
	v_dual_mul_f32 v152, v63, v102 :: v_dual_mul_f32 v161, v72, v104
	;; [unrolled: 1-line block ×11, first 2 shown]
	v_dual_mul_f32 v176, v65, v106 :: v_dual_fmac_f32 v15, v62, v57
	v_fmac_f32_e32 v122, v62, v59
	v_fma_f32 v123, v69, v57, -v123
	v_dual_fmac_f32 v134, v62, v93 :: v_dual_mul_f32 v197, v84, v116
	v_fmac_f32_e32 v136, v62, v95
	v_fma_f32 v62, v69, v93, -v137
	v_dual_mul_f32 v166, v79, v100 :: v_dual_mul_f32 v171, v88, v98
	v_dual_mul_f32 v98, v87, v98 :: v_dual_mul_f32 v185, v82, v108
	;; [unrolled: 1-line block ×8, first 2 shown]
	v_mul_f32_e32 v182, v73, v108
	v_mul_f32_e32 v186, v81, v108
	;; [unrolled: 1-line block ×6, first 2 shown]
	v_fma_f32 v14, v61, v57, -v14
	v_fma_f32 v121, v61, v59, -v121
	v_fmac_f32_e32 v124, v70, v57
	v_fma_f32 v125, v69, v59, -v125
	v_fmac_f32_e32 v126, v70, v59
	;; [unrolled: 2-line block ×6, first 2 shown]
	v_mul_f32_e32 v59, v74, v110
	v_mul_f32_e32 v132, v73, v110
	v_fma_f32 v133, v61, v93, -v133
	v_fma_f32 v61, v61, v95, -v135
	v_dual_fmac_f32 v138, v70, v93 :: v_dual_mul_f32 v199, v84, v120
	v_fma_f32 v69, v69, v95, -v139
	v_fmac_f32_e32 v140, v70, v95
	v_fma_f32 v70, v77, v93, -v141
	v_fma_f32 v77, v77, v95, -v143
	v_mul_f32_e32 v135, v81, v112
	v_fma_f32 v137, v63, v97, -v147
	v_fmac_f32_e32 v148, v64, v97
	v_fma_f32 v139, v63, v99, -v149
	v_fma_f32 v141, v63, v101, -v151
	v_fmac_f32_e32 v152, v64, v101
	v_fma_f32 v63, v63, v103, -v153
	v_dual_fmac_f32 v154, v64, v103 :: v_dual_add_f32 v53, v53, v121
	v_dual_fmac_f32 v156, v72, v97 :: v_dual_add_f32 v15, v55, v15
	v_fma_f32 v147, v71, v101, -v159
	v_dual_fmac_f32 v160, v72, v101 :: v_dual_add_f32 v47, v47, v123
	v_dual_mul_f32 v149, v67, v114 :: v_dual_fmac_f32 v144, v78, v95
	v_dual_mul_f32 v153, v67, v116 :: v_dual_fmac_f32 v142, v78, v93
	v_fma_f32 v78, v85, v93, -v145
	v_fma_f32 v85, v85, v95, -v146
	;; [unrolled: 1-line block ×6, first 2 shown]
	v_dual_fmac_f32 v164, v80, v97 :: v_dual_add_f32 v43, v43, v62
	v_fma_f32 v157, v79, v99, -v165
	v_fma_f32 v159, v79, v101, -v167
	v_dual_fmac_f32 v168, v80, v101 :: v_dual_add_f32 v39, v39, v127
	v_fma_f32 v79, v79, v103, -v169
	v_dual_mul_f32 v161, v67, v118 :: v_dual_fmac_f32 v96, v86, v95
	v_dual_mul_f32 v165, v67, v120 :: v_dual_fmac_f32 v94, v86, v93
	v_mul_f32_e32 v86, v82, v110
	v_dual_mul_f32 v93, v81, v110 :: v_dual_fmac_f32 v150, v64, v99
	v_mul_f32_e32 v169, v75, v114
	v_mul_f32_e32 v64, v90, v110
	v_fma_f32 v173, v87, v101, -v173
	v_dual_fmac_f32 v102, v88, v101 :: v_dual_add_f32 v31, v31, v131
	v_mul_f32_e32 v101, v75, v118
	v_mul_f32_e32 v110, v89, v110
	v_dual_mul_f32 v184, v81, v106 :: v_dual_mul_f32 v95, v82, v112
	v_dual_mul_f32 v106, v89, v106 :: v_dual_mul_f32 v143, v90, v112
	;; [unrolled: 1-line block ×3, first 2 shown]
	v_dual_fmac_f32 v158, v72, v99 :: v_dual_add_f32 v51, v51, v133
	v_dual_fmac_f32 v162, v72, v103 :: v_dual_add_f32 v49, v49, v61
	v_dual_mul_f32 v72, v68, v114 :: v_dual_add_f32 v45, v45, v125
	v_mul_f32_e32 v151, v68, v116
	v_dual_fmac_f32 v166, v80, v99 :: v_dual_add_f32 v41, v41, v69
	v_dual_fmac_f32 v170, v80, v103 :: v_dual_add_f32 v37, v37, v129
	v_dual_mul_f32 v80, v68, v118 :: v_dual_add_f32 v33, v33, v77
	v_fma_f32 v167, v87, v97, -v171
	v_dual_fmac_f32 v98, v88, v97 :: v_dual_add_f32 v35, v35, v70
	v_fma_f32 v97, v87, v99, -v172
	v_dual_fmac_f32 v100, v88, v99 :: v_dual_add_f32 v29, v29, v57
	v_dual_mul_f32 v99, v76, v114 :: v_dual_mul_f32 v172, v75, v116
	v_add_f32_e32 v25, v25, v85
	v_fma_f32 v87, v87, v103, -v174
	v_dual_fmac_f32 v104, v88, v103 :: v_dual_add_f32 v27, v27, v78
	v_dual_mul_f32 v103, v76, v120 :: v_dual_fmac_f32 v176, v66, v105
	v_add_f32_e32 v43, v43, v147
	v_dual_fmac_f32 v178, v66, v107 :: v_dual_add_f32 v51, v51, v141
	v_fma_f32 v179, v73, v105, -v179
	v_fma_f32 v181, v73, v107, -v181
	v_dual_fmac_f32 v182, v74, v107 :: v_dual_add_f32 v47, v47, v145
	v_fma_f32 v189, v65, v109, -v189
	v_dual_fmac_f32 v190, v66, v109 :: v_dual_add_f32 v31, v31, v167
	v_dual_fmac_f32 v192, v66, v111 :: v_dual_add_f32 v27, v27, v173
	v_fma_f32 v59, v73, v109, -v59
	v_fma_f32 v66, v73, v111, -v193
	;; [unrolled: 1-line block ×3, first 2 shown]
	v_fmac_f32_e32 v93, v82, v109
	v_dual_fmac_f32 v135, v82, v111 :: v_dual_mul_f32 v88, v76, v118
	v_dual_add_f32 v15, v15, v148 :: v_dual_fmac_f32 v132, v74, v109
	v_fmac_f32_e32 v169, v76, v113
	v_fma_f32 v64, v89, v109, -v64
	v_fmac_f32_e32 v101, v76, v117
	v_dual_fmac_f32 v110, v90, v109 :: v_dual_add_f32 v47, v47, v179
	v_dual_mul_f32 v109, v91, v118 :: v_dual_mul_f32 v112, v89, v112
	v_mul_f32_e32 v163, v68, v120
	v_mul_f32_e32 v171, v76, v116
	v_dual_mul_f32 v174, v75, v120 :: v_dual_add_f32 v53, v53, v139
	v_dual_mul_f32 v196, v83, v114 :: v_dual_add_f32 v49, v49, v63
	;; [unrolled: 1-line block ×3, first 2 shown]
	v_fma_f32 v175, v65, v105, -v175
	v_fma_f32 v177, v65, v107, -v177
	v_dual_fmac_f32 v180, v74, v105 :: v_dual_add_f32 v41, v41, v71
	v_fma_f32 v183, v81, v105, -v183
	v_dual_fmac_f32 v184, v82, v105 :: v_dual_add_f32 v39, v39, v155
	;; [unrolled: 2-line block ×5, first 2 shown]
	v_mul_f32_e32 v107, v84, v118
	v_dual_mul_f32 v188, v83, v118 :: v_dual_add_f32 v33, v33, v79
	v_dual_mul_f32 v200, v83, v120 :: v_dual_add_f32 v25, v25, v87
	v_fma_f32 v65, v65, v111, -v191
	v_dual_fmac_f32 v194, v74, v111 :: v_dual_add_f32 v53, v53, v177
	v_fma_f32 v74, v81, v111, -v95
	v_fma_f32 v81, v89, v111, -v143
	s_delay_alu instid0(VALU_DEP_4)
	v_dual_mul_f32 v82, v92, v114 :: v_dual_add_f32 v49, v49, v65
	v_mul_f32_e32 v89, v92, v116
	v_fmac_f32_e32 v149, v68, v113
	v_fmac_f32_e32 v153, v68, v115
	;; [unrolled: 1-line block ×4, first 2 shown]
	v_dual_mul_f32 v68, v92, v118 :: v_dual_add_f32 v43, v43, v59
	v_dual_fmac_f32 v109, v92, v117 :: v_dual_fmac_f32 v112, v90, v111
	v_add_f32_e32 v51, v51, v189
	v_dual_mul_f32 v90, v91, v116 :: v_dual_add_f32 v41, v41, v66
	v_dual_mul_f32 v111, v92, v120 :: v_dual_mul_f32 v86, v91, v114
	v_add_f32_e32 v45, v45, v181
	v_fma_f32 v72, v67, v113, -v72
	v_fma_f32 v95, v67, v115, -v151
	;; [unrolled: 1-line block ×4, first 2 shown]
	v_dual_mul_f32 v114, v91, v120 :: v_dual_add_f32 v37, v37, v185
	v_fma_f32 v99, v75, v113, -v99
	v_fma_f32 v116, v75, v115, -v171
	v_dual_fmac_f32 v172, v76, v115 :: v_dual_add_f32 v35, v35, v73
	v_fma_f32 v88, v75, v117, -v88
	v_fma_f32 v75, v75, v119, -v103
	v_dual_fmac_f32 v174, v76, v119 :: v_dual_add_f32 v33, v33, v74
	v_fma_f32 v76, v83, v113, -v195
	v_dual_fmac_f32 v196, v84, v113 :: v_dual_add_f32 v39, v39, v183
	;; [unrolled: 2-line block ×5, first 2 shown]
	v_fma_f32 v82, v91, v113, -v82
	v_fma_f32 v84, v91, v115, -v89
	v_dual_fmac_f32 v90, v92, v115 :: v_dual_add_f32 v25, v25, v81
	v_fma_f32 v68, v91, v117, -v68
	v_fma_f32 v89, v91, v119, -v111
	v_dual_add_f32 v14, v56, v14 :: v_dual_add_f32 v51, v51, v80
	v_dual_add_f32 v54, v54, v122 :: v_dual_add_f32 v49, v49, v67
	;; [unrolled: 1-line block ×14, first 2 shown]
	v_add_f32_e32 v28, v28, v94
	v_add_f32_e32 v26, v26, v96
	;; [unrolled: 1-line block ×18, first 2 shown]
	v_dual_fmac_f32 v86, v92, v113 :: v_dual_add_f32 v53, v53, v95
	v_dual_add_f32 v14, v14, v175 :: v_dual_add_f32 v15, v15, v176
	v_fmac_f32_e32 v114, v92, v119
	v_add_f32_e32 v54, v54, v178
	v_add_f32_e32 v52, v52, v190
	;; [unrolled: 1-line block ×15, first 2 shown]
	v_dual_add_f32 v56, v14, v72 :: v_dual_add_f32 v55, v15, v149
	v_add_f32_e32 v54, v54, v153
	v_add_f32_e32 v52, v52, v161
	;; [unrolled: 1-line block ×15, first 2 shown]
	s_wait_alu 0xfffe
	s_cbranch_vccnz .LBB234_5
.LBB234_6:                              ;   in Loop: Header=BB234_3 Depth=1
	s_wait_loadcnt 0x0
	v_add_co_u32 v10, vcc_lo, v8, s8
	s_wait_alu 0xfffd
	v_add_co_ci_u32_e64 v11, null, s9, v9, vcc_lo
	s_and_not1_b32 vcc_lo, exec_lo, s28
	s_mov_b32 s1, -1
                                        ; implicit-def: $vgpr12
                                        ; implicit-def: $vgpr8_vgpr9
	s_wait_alu 0xfffe
	s_cbranch_vccz .LBB234_8
; %bb.7:                                ;   in Loop: Header=BB234_3 Depth=1
	s_and_not1_b32 vcc_lo, exec_lo, s1
	s_wait_alu 0xfffe
	s_cbranch_vccnz .LBB234_2
	s_branch .LBB234_9
.LBB234_8:                              ;   in Loop: Header=BB234_3 Depth=1
	v_lshlrev_b64_e32 v[8:9], 3, v[0:1]
	v_lshlrev_b64_e32 v[14:15], 3, v[2:3]
	v_dual_mul_f32 v13, s22, v55 :: v_dual_mul_f32 v58, s22, v54
	v_dual_mul_f32 v12, s23, v55 :: v_dual_mul_f32 v57, s23, v54
	v_mul_f32_e32 v60, s22, v52
	v_add_co_u32 v63, vcc_lo, v10, v8
	s_wait_alu 0xfffd
	v_add_co_ci_u32_e64 v64, null, v11, v9, vcc_lo
	v_dual_mul_f32 v59, s23, v52 :: v_dual_mul_f32 v62, s22, v50
	s_delay_alu instid0(VALU_DEP_3)
	v_add_co_u32 v8, vcc_lo, v63, v14
	v_dual_mul_f32 v61, s23, v50 :: v_dual_fmac_f32 v58, s23, v53
	v_fmac_f32_e32 v13, s23, v56
	v_fma_f32 v12, v56, s22, -v12
	s_wait_alu 0xfffd
	v_add_co_ci_u32_e64 v9, null, v64, v15, vcc_lo
	v_add_co_u32 v63, vcc_lo, v63, s24
	v_fma_f32 v57, v53, s22, -v57
	v_fma_f32 v59, v51, s22, -v59
	v_fmac_f32_e32 v60, s23, v51
	s_wait_alu 0xfffd
	v_add_co_ci_u32_e64 v65, null, s25, v64, vcc_lo
	v_fma_f32 v61, v49, s22, -v61
	v_fmac_f32_e32 v62, s23, v49
	s_clause 0x3
	flat_store_b64 v[8:9], v[12:13]
	flat_store_b64 v[8:9], v[57:58] offset:128
	flat_store_b64 v[8:9], v[59:60] offset:256
	;; [unrolled: 1-line block ×3, first 2 shown]
	v_dual_mul_f32 v8, s23, v48 :: v_dual_mul_f32 v57, s23, v46
	v_mul_f32_e32 v9, s22, v48
	v_add_co_u32 v12, vcc_lo, v63, v14
	v_dual_mul_f32 v58, s22, v46 :: v_dual_mul_f32 v59, s23, v44
	v_dual_mul_f32 v60, s22, v44 :: v_dual_mul_f32 v61, s23, v42
	s_wait_alu 0xfffd
	v_add_co_ci_u32_e64 v13, null, v65, v15, vcc_lo
	v_add_co_u32 v73, vcc_lo, v63, s24
	v_dual_mul_f32 v62, s22, v42 :: v_dual_mul_f32 v69, s23, v36
	v_mul_f32_e32 v66, s23, v40
	v_mul_f32_e32 v64, s22, v40
	s_wait_alu 0xfffd
	v_add_co_ci_u32_e64 v74, null, s25, v65, vcc_lo
	v_fma_f32 v8, v47, s22, -v8
	v_dual_fmac_f32 v9, s23, v47 :: v_dual_fmac_f32 v58, s23, v45
	v_dual_mul_f32 v67, s23, v38 :: v_dual_fmac_f32 v60, s23, v43
	v_mul_f32_e32 v71, s23, v34
	v_mul_f32_e32 v68, s22, v38
	;; [unrolled: 1-line block ×4, first 2 shown]
	v_fma_f32 v57, v45, s22, -v57
	v_fma_f32 v59, v43, s22, -v59
	v_add_co_u32 v65, vcc_lo, v73, v14
	v_fma_f32 v61, v41, s22, -v61
	v_fmac_f32_e32 v62, s23, v41
	v_fma_f32 v63, v39, s22, -v66
	v_fmac_f32_e32 v64, s23, v39
	s_wait_alu 0xfffd
	v_add_co_ci_u32_e64 v66, null, v74, v15, vcc_lo
	v_fma_f32 v67, v37, s22, -v67
	v_fmac_f32_e32 v68, s23, v37
	v_fma_f32 v69, v35, s22, -v69
	v_fmac_f32_e32 v70, s23, v35
	;; [unrolled: 2-line block ×3, first 2 shown]
	s_clause 0x7
	flat_store_b64 v[12:13], v[8:9]
	flat_store_b64 v[12:13], v[57:58] offset:128
	flat_store_b64 v[12:13], v[59:60] offset:256
	;; [unrolled: 1-line block ×3, first 2 shown]
	flat_store_b64 v[65:66], v[63:64]
	flat_store_b64 v[65:66], v[67:68] offset:128
	flat_store_b64 v[65:66], v[69:70] offset:256
	;; [unrolled: 1-line block ×3, first 2 shown]
	v_mul_f32_e32 v8, s23, v32
	v_add_co_u32 v9, vcc_lo, v73, s24
	s_wait_alu 0xfffd
	v_add_co_ci_u32_e64 v12, null, s25, v74, vcc_lo
	s_delay_alu instid0(VALU_DEP_3)
	v_fma_f32 v57, v31, s22, -v8
	v_mul_f32_e32 v8, s23, v30
	v_add_co_u32 v13, vcc_lo, v9, v14
	v_mul_f32_e32 v58, s22, v32
	s_wait_alu 0xfffd
	v_add_co_ci_u32_e64 v14, null, v12, v15, vcc_lo
	v_fma_f32 v59, v29, s22, -v8
	v_dual_mul_f32 v8, s23, v28 :: v_dual_mul_f32 v9, s23, v26
	v_mul_f32_e32 v12, s22, v26
	v_mul_f32_e32 v60, s22, v30
	;; [unrolled: 1-line block ×3, first 2 shown]
	s_delay_alu instid0(VALU_DEP_4)
	v_fma_f32 v61, v27, s22, -v8
	v_add_co_u32 v8, vcc_lo, 0x180, v13
	v_fmac_f32_e32 v58, s23, v31
	v_fma_f32 v15, v25, s22, -v9
	v_fmac_f32_e32 v12, s23, v25
	s_wait_alu 0xfffd
	v_add_co_ci_u32_e64 v9, null, 0, v14, vcc_lo
	v_fmac_f32_e32 v60, s23, v29
	v_fmac_f32_e32 v62, s23, v27
	s_clause 0x3
	flat_store_b64 v[13:14], v[57:58]
	flat_store_b64 v[13:14], v[59:60] offset:128
	flat_store_b64 v[13:14], v[61:62] offset:256
	flat_store_b32 v[13:14], v15 offset:384
	s_cbranch_execnz .LBB234_2
.LBB234_9:                              ;   in Loop: Header=BB234_3 Depth=1
	v_add_co_u32 v8, vcc_lo, v6, s14
	s_wait_alu 0xfffd
	v_add_co_ci_u32_e64 v9, null, s15, v7, vcc_lo
	v_lshlrev_b64_e32 v[6:7], 3, v[2:3]
	s_delay_alu instid0(VALU_DEP_3) | instskip(SKIP_1) | instid1(VALU_DEP_3)
	v_add_co_u32 v57, vcc_lo, v8, v4
	s_wait_alu 0xfffd
	v_add_co_ci_u32_e64 v58, null, v9, v5, vcc_lo
	v_lshlrev_b64_e32 v[14:15], 3, v[0:1]
	s_delay_alu instid0(VALU_DEP_3) | instskip(SKIP_1) | instid1(VALU_DEP_3)
	v_add_co_u32 v8, vcc_lo, v57, v6
	s_wait_alu 0xfffd
	v_add_co_ci_u32_e64 v9, null, v58, v7, vcc_lo
	s_delay_alu instid0(VALU_DEP_3)
	v_add_co_u32 v14, vcc_lo, v10, v14
	flat_load_b64 v[12:13], v[8:9]
	v_mul_f32_e32 v59, s23, v55
	s_wait_alu 0xfffd
	v_add_co_ci_u32_e64 v15, null, v11, v15, vcc_lo
	v_add_co_u32 v10, vcc_lo, v14, v6
	s_delay_alu instid0(VALU_DEP_3) | instskip(SKIP_4) | instid1(VALU_DEP_2)
	v_fma_f32 v59, v56, s22, -v59
	v_mul_f32_e32 v55, s22, v55
	s_wait_alu 0xfffd
	v_add_co_ci_u32_e64 v11, null, v15, v7, vcc_lo
	s_wait_loadcnt_dscnt 0x0
	v_dual_fmac_f32 v55, s23, v56 :: v_dual_mul_f32 v56, s35, v13
	v_mul_f32_e32 v13, s34, v13
	s_delay_alu instid0(VALU_DEP_2) | instskip(NEXT) | instid1(VALU_DEP_2)
	v_fma_f32 v56, v12, s34, -v56
	v_fmac_f32_e32 v13, s35, v12
	s_delay_alu instid0(VALU_DEP_2) | instskip(NEXT) | instid1(VALU_DEP_2)
	v_add_f32_e32 v12, v59, v56
	v_add_f32_e32 v13, v55, v13
	flat_store_b64 v[10:11], v[12:13]
	flat_load_b64 v[12:13], v[8:9] offset:128
	v_mul_f32_e32 v55, s23, v54
	v_mul_f32_e32 v54, s22, v54
	s_delay_alu instid0(VALU_DEP_1) | instskip(SKIP_4) | instid1(VALU_DEP_3)
	v_fmac_f32_e32 v54, s23, v53
	s_wait_loadcnt_dscnt 0x0
	v_mul_f32_e32 v56, s35, v13
	v_mul_f32_e32 v13, s34, v13
	v_fma_f32 v55, v53, s22, -v55
	v_fma_f32 v53, v12, s34, -v56
	s_delay_alu instid0(VALU_DEP_1) | instskip(NEXT) | instid1(VALU_DEP_1)
	v_dual_fmac_f32 v13, s35, v12 :: v_dual_add_f32 v12, v55, v53
	v_add_f32_e32 v13, v54, v13
	flat_store_b64 v[10:11], v[12:13] offset:128
	flat_load_b64 v[12:13], v[8:9] offset:256
	v_mul_f32_e32 v53, s23, v52
	v_mul_f32_e32 v52, s22, v52
	s_delay_alu instid0(VALU_DEP_1) | instskip(SKIP_4) | instid1(VALU_DEP_3)
	v_fmac_f32_e32 v52, s23, v51
	s_wait_loadcnt_dscnt 0x0
	v_mul_f32_e32 v54, s35, v13
	v_mul_f32_e32 v13, s34, v13
	v_fma_f32 v53, v51, s22, -v53
	v_fma_f32 v51, v12, s34, -v54
	s_delay_alu instid0(VALU_DEP_1) | instskip(NEXT) | instid1(VALU_DEP_1)
	v_dual_fmac_f32 v13, s35, v12 :: v_dual_add_f32 v12, v53, v51
	v_add_f32_e32 v13, v52, v13
	flat_store_b64 v[10:11], v[12:13] offset:256
	flat_load_b64 v[8:9], v[8:9] offset:384
	v_mul_f32_e32 v12, s23, v50
	s_delay_alu instid0(VALU_DEP_1) | instskip(SKIP_1) | instid1(VALU_DEP_1)
	v_fma_f32 v12, v49, s22, -v12
	v_mul_f32_e32 v13, s22, v50
	v_fmac_f32_e32 v13, s23, v49
	s_wait_loadcnt_dscnt 0x0
	v_mul_f32_e32 v50, s35, v9
	v_mul_f32_e32 v9, s34, v9
	s_delay_alu instid0(VALU_DEP_2) | instskip(SKIP_1) | instid1(VALU_DEP_3)
	v_fma_f32 v49, v8, s34, -v50
	v_add_co_u32 v50, vcc_lo, v57, s16
	v_fmac_f32_e32 v9, s35, v8
	s_wait_alu 0xfffd
	v_add_co_ci_u32_e64 v51, null, s17, v58, vcc_lo
	v_add_f32_e32 v8, v12, v49
	v_add_co_u32 v12, vcc_lo, v50, v6
	v_add_f32_e32 v9, v13, v9
	s_wait_alu 0xfffd
	v_add_co_ci_u32_e64 v13, null, v51, v7, vcc_lo
	v_add_co_u32 v14, vcc_lo, v14, s24
	flat_store_b64 v[10:11], v[8:9] offset:384
	flat_load_b64 v[8:9], v[12:13]
	v_mul_f32_e32 v10, s23, v48
	v_mul_f32_e32 v11, s22, v48
	s_wait_alu 0xfffd
	v_add_co_ci_u32_e64 v15, null, s25, v15, vcc_lo
	s_delay_alu instid0(VALU_DEP_3) | instskip(SKIP_2) | instid1(VALU_DEP_1)
	v_fma_f32 v10, v47, s22, -v10
	s_wait_loadcnt_dscnt 0x0
	v_dual_mul_f32 v48, s34, v9 :: v_dual_fmac_f32 v11, s23, v47
	v_dual_mul_f32 v47, s35, v9 :: v_dual_fmac_f32 v48, s35, v8
	s_delay_alu instid0(VALU_DEP_1) | instskip(SKIP_3) | instid1(VALU_DEP_3)
	v_fma_f32 v47, v8, s34, -v47
	v_add_co_u32 v8, vcc_lo, v14, v6
	s_wait_alu 0xfffd
	v_add_co_ci_u32_e64 v9, null, v15, v7, vcc_lo
	v_dual_add_f32 v10, v10, v47 :: v_dual_mul_f32 v47, s23, v46
	v_mul_f32_e32 v46, s22, v46
	s_delay_alu instid0(VALU_DEP_2) | instskip(NEXT) | instid1(VALU_DEP_2)
	v_fma_f32 v47, v45, s22, -v47
	v_dual_fmac_f32 v46, s23, v45 :: v_dual_add_f32 v11, v11, v48
	flat_store_b64 v[8:9], v[10:11]
	flat_load_b64 v[10:11], v[12:13] offset:128
	s_wait_loadcnt_dscnt 0x0
	v_mul_f32_e32 v48, s35, v11
	s_delay_alu instid0(VALU_DEP_1) | instskip(SKIP_1) | instid1(VALU_DEP_1)
	v_fma_f32 v45, v10, s34, -v48
	v_mul_f32_e32 v11, s34, v11
	v_dual_fmac_f32 v11, s35, v10 :: v_dual_add_f32 v10, v47, v45
	v_mul_f32_e32 v45, s23, v44
	s_delay_alu instid0(VALU_DEP_2) | instskip(NEXT) | instid1(VALU_DEP_2)
	v_dual_mul_f32 v44, s22, v44 :: v_dual_add_f32 v11, v46, v11
	v_fma_f32 v45, v43, s22, -v45
	s_delay_alu instid0(VALU_DEP_2)
	v_fmac_f32_e32 v44, s23, v43
	flat_store_b64 v[8:9], v[10:11] offset:128
	flat_load_b64 v[10:11], v[12:13] offset:256
	s_wait_loadcnt_dscnt 0x0
	v_mul_f32_e32 v46, s35, v11
	v_mul_f32_e32 v11, s34, v11
	s_delay_alu instid0(VALU_DEP_2) | instskip(NEXT) | instid1(VALU_DEP_1)
	v_fma_f32 v43, v10, s34, -v46
	v_dual_fmac_f32 v11, s35, v10 :: v_dual_add_f32 v10, v45, v43
	s_delay_alu instid0(VALU_DEP_1) | instskip(SKIP_4) | instid1(VALU_DEP_2)
	v_add_f32_e32 v11, v44, v11
	flat_store_b64 v[8:9], v[10:11] offset:256
	flat_load_b64 v[10:11], v[12:13] offset:384
	v_mul_f32_e32 v12, s23, v42
	v_mul_f32_e32 v13, s22, v42
	v_fma_f32 v12, v41, s22, -v12
	s_wait_loadcnt_dscnt 0x0
	s_delay_alu instid0(VALU_DEP_2) | instskip(SKIP_1) | instid1(VALU_DEP_2)
	v_dual_fmac_f32 v13, s23, v41 :: v_dual_mul_f32 v42, s35, v11
	v_mul_f32_e32 v11, s34, v11
	v_fma_f32 v41, v10, s34, -v42
	v_add_co_u32 v42, vcc_lo, v50, s16
	s_delay_alu instid0(VALU_DEP_3)
	v_fmac_f32_e32 v11, s35, v10
	s_wait_alu 0xfffd
	v_add_co_ci_u32_e64 v43, null, s17, v51, vcc_lo
	v_add_f32_e32 v10, v12, v41
	v_add_co_u32 v12, vcc_lo, v42, v6
	v_add_f32_e32 v11, v13, v11
	s_wait_alu 0xfffd
	v_add_co_ci_u32_e64 v13, null, v43, v7, vcc_lo
	v_add_co_u32 v14, vcc_lo, v14, s24
	flat_store_b64 v[8:9], v[10:11] offset:384
	flat_load_b64 v[8:9], v[12:13]
	v_mul_f32_e32 v10, s23, v40
	v_mul_f32_e32 v11, s22, v40
	s_wait_alu 0xfffd
	v_add_co_ci_u32_e64 v15, null, s25, v15, vcc_lo
	s_delay_alu instid0(VALU_DEP_3) | instskip(NEXT) | instid1(VALU_DEP_3)
	v_fma_f32 v10, v39, s22, -v10
	v_fmac_f32_e32 v11, s23, v39
	s_wait_loadcnt_dscnt 0x0
	v_mul_f32_e32 v39, s35, v9
	v_mul_f32_e32 v40, s34, v9
	s_delay_alu instid0(VALU_DEP_2) | instskip(NEXT) | instid1(VALU_DEP_2)
	v_fma_f32 v39, v8, s34, -v39
	v_fmac_f32_e32 v40, s35, v8
	v_add_co_u32 v8, vcc_lo, v14, v6
	s_wait_alu 0xfffd
	v_add_co_ci_u32_e64 v9, null, v15, v7, vcc_lo
	s_delay_alu instid0(VALU_DEP_3)
	v_dual_add_f32 v10, v10, v39 :: v_dual_add_f32 v11, v11, v40
	v_mul_f32_e32 v39, s23, v38
	v_mul_f32_e32 v38, s22, v38
	flat_store_b64 v[8:9], v[10:11]
	flat_load_b64 v[10:11], v[12:13] offset:128
	v_fma_f32 v39, v37, s22, -v39
	v_fmac_f32_e32 v38, s23, v37
	s_wait_loadcnt_dscnt 0x0
	v_mul_f32_e32 v40, s35, v11
	v_mul_f32_e32 v11, s34, v11
	s_delay_alu instid0(VALU_DEP_2) | instskip(NEXT) | instid1(VALU_DEP_1)
	v_fma_f32 v37, v10, s34, -v40
	v_dual_fmac_f32 v11, s35, v10 :: v_dual_add_f32 v10, v39, v37
	s_delay_alu instid0(VALU_DEP_1)
	v_add_f32_e32 v11, v38, v11
	v_mul_f32_e32 v37, s23, v36
	v_mul_f32_e32 v36, s22, v36
	flat_store_b64 v[8:9], v[10:11] offset:128
	flat_load_b64 v[10:11], v[12:13] offset:256
	v_fma_f32 v37, v35, s22, -v37
	v_fmac_f32_e32 v36, s23, v35
	s_wait_loadcnt_dscnt 0x0
	v_mul_f32_e32 v38, s35, v11
	v_mul_f32_e32 v11, s34, v11
	s_delay_alu instid0(VALU_DEP_2) | instskip(NEXT) | instid1(VALU_DEP_1)
	v_fma_f32 v35, v10, s34, -v38
	v_dual_fmac_f32 v11, s35, v10 :: v_dual_add_f32 v10, v37, v35
	s_delay_alu instid0(VALU_DEP_1) | instskip(SKIP_4) | instid1(VALU_DEP_2)
	v_add_f32_e32 v11, v36, v11
	flat_store_b64 v[8:9], v[10:11] offset:256
	flat_load_b64 v[10:11], v[12:13] offset:384
	v_mul_f32_e32 v12, s23, v34
	v_mul_f32_e32 v13, s22, v34
	v_fma_f32 v12, v33, s22, -v12
	s_wait_loadcnt_dscnt 0x0
	s_delay_alu instid0(VALU_DEP_2) | instskip(SKIP_1) | instid1(VALU_DEP_2)
	v_dual_fmac_f32 v13, s23, v33 :: v_dual_mul_f32 v34, s35, v11
	v_mul_f32_e32 v11, s34, v11
	v_fma_f32 v33, v10, s34, -v34
	v_add_co_u32 v34, vcc_lo, v42, s16
	s_delay_alu instid0(VALU_DEP_3)
	v_fmac_f32_e32 v11, s35, v10
	s_wait_alu 0xfffd
	v_add_co_ci_u32_e64 v35, null, s17, v43, vcc_lo
	v_add_f32_e32 v10, v12, v33
	v_add_co_u32 v12, vcc_lo, v34, v6
	v_add_f32_e32 v11, v13, v11
	s_wait_alu 0xfffd
	v_add_co_ci_u32_e64 v13, null, v35, v7, vcc_lo
	v_add_co_u32 v14, vcc_lo, v14, s24
	flat_store_b64 v[8:9], v[10:11] offset:384
	flat_load_b64 v[8:9], v[12:13]
	v_mul_f32_e32 v10, s23, v32
	v_mul_f32_e32 v11, s22, v32
	s_wait_alu 0xfffd
	v_add_co_ci_u32_e64 v15, null, s25, v15, vcc_lo
	v_add_co_u32 v6, vcc_lo, v14, v6
	v_fma_f32 v10, v31, s22, -v10
	v_fmac_f32_e32 v11, s23, v31
	s_wait_alu 0xfffd
	v_add_co_ci_u32_e64 v7, null, v15, v7, vcc_lo
	s_wait_loadcnt_dscnt 0x0
	v_mul_f32_e32 v31, s35, v9
	v_mul_f32_e32 v9, s34, v9
	s_delay_alu instid0(VALU_DEP_2) | instskip(NEXT) | instid1(VALU_DEP_1)
	v_fma_f32 v31, v8, s34, -v31
	v_dual_fmac_f32 v9, s35, v8 :: v_dual_add_f32 v8, v10, v31
	s_delay_alu instid0(VALU_DEP_1)
	v_dual_add_f32 v9, v11, v9 :: v_dual_mul_f32 v10, s23, v30
	v_mul_f32_e32 v11, s22, v30
	flat_store_b64 v[6:7], v[8:9]
	flat_load_b64 v[8:9], v[12:13] offset:128
	v_fma_f32 v10, v29, s22, -v10
	v_fmac_f32_e32 v11, s23, v29
	s_wait_loadcnt_dscnt 0x0
	v_mul_f32_e32 v14, s35, v9
	v_mul_f32_e32 v9, s34, v9
	s_delay_alu instid0(VALU_DEP_2) | instskip(NEXT) | instid1(VALU_DEP_1)
	v_fma_f32 v14, v8, s34, -v14
	v_dual_fmac_f32 v9, s35, v8 :: v_dual_add_f32 v8, v10, v14
	s_delay_alu instid0(VALU_DEP_1)
	v_dual_add_f32 v9, v11, v9 :: v_dual_mul_f32 v10, s23, v28
	v_mul_f32_e32 v11, s22, v28
	flat_store_b64 v[6:7], v[8:9] offset:128
	flat_load_b64 v[8:9], v[12:13] offset:256
	v_fma_f32 v10, v27, s22, -v10
	s_wait_loadcnt_dscnt 0x0
	v_dual_fmac_f32 v11, s23, v27 :: v_dual_mul_f32 v14, s35, v9
	v_mul_f32_e32 v9, s34, v9
	s_delay_alu instid0(VALU_DEP_2) | instskip(NEXT) | instid1(VALU_DEP_1)
	v_fma_f32 v14, v8, s34, -v14
	v_dual_fmac_f32 v9, s35, v8 :: v_dual_add_f32 v8, v10, v14
	s_delay_alu instid0(VALU_DEP_1)
	v_dual_add_f32 v9, v11, v9 :: v_dual_mul_f32 v10, s23, v26
	v_mul_f32_e32 v11, s22, v26
	flat_store_b64 v[6:7], v[8:9] offset:256
	flat_load_b64 v[8:9], v[12:13] offset:384
	v_fma_f32 v10, v25, s22, -v10
	v_fmac_f32_e32 v11, s23, v25
	s_wait_loadcnt_dscnt 0x0
	v_mul_f32_e32 v12, s35, v9
	v_mul_f32_e32 v9, s34, v9
	s_delay_alu instid0(VALU_DEP_2) | instskip(NEXT) | instid1(VALU_DEP_2)
	v_fma_f32 v12, v8, s34, -v12
	v_fmac_f32_e32 v9, s35, v8
	v_add_co_u32 v8, vcc_lo, 0x180, v6
	s_delay_alu instid0(VALU_DEP_3) | instskip(NEXT) | instid1(VALU_DEP_3)
	v_add_f32_e32 v10, v10, v12
	v_add_f32_e32 v12, v11, v9
	s_wait_alu 0xfffd
	v_add_co_ci_u32_e64 v9, null, 0, v7, vcc_lo
	flat_store_b32 v[6:7], v10 offset:384
	s_branch .LBB234_2
.LBB234_10:
	s_nop 0
	s_sendmsg sendmsg(MSG_DEALLOC_VGPRS)
	s_endpgm
	.section	.rodata,"a",@progbits
	.p2align	6, 0x0
	.amdhsa_kernel _ZN12_GLOBAL__N_127rocblas_gemm_batched_kernelI19rocblas_complex_numIfELi16ELi16ELi64ELi64ELi4ELi64ELi4ELi4ELi64ELc78ELc78EKPKS2_S5_KPS2_EEvlllT_PT11_llSA_llS8_PT12_llPT13_lli
		.amdhsa_group_segment_fixed_size 4096
		.amdhsa_private_segment_fixed_size 0
		.amdhsa_kernarg_size 140
		.amdhsa_user_sgpr_count 2
		.amdhsa_user_sgpr_dispatch_ptr 0
		.amdhsa_user_sgpr_queue_ptr 0
		.amdhsa_user_sgpr_kernarg_segment_ptr 1
		.amdhsa_user_sgpr_dispatch_id 0
		.amdhsa_user_sgpr_private_segment_size 0
		.amdhsa_wavefront_size32 1
		.amdhsa_uses_dynamic_stack 0
		.amdhsa_enable_private_segment 0
		.amdhsa_system_sgpr_workgroup_id_x 1
		.amdhsa_system_sgpr_workgroup_id_y 1
		.amdhsa_system_sgpr_workgroup_id_z 1
		.amdhsa_system_sgpr_workgroup_info 0
		.amdhsa_system_vgpr_workitem_id 1
		.amdhsa_next_free_vgpr 201
		.amdhsa_next_free_sgpr 38
		.amdhsa_reserve_vcc 1
		.amdhsa_float_round_mode_32 0
		.amdhsa_float_round_mode_16_64 0
		.amdhsa_float_denorm_mode_32 3
		.amdhsa_float_denorm_mode_16_64 3
		.amdhsa_fp16_overflow 0
		.amdhsa_workgroup_processor_mode 1
		.amdhsa_memory_ordered 1
		.amdhsa_forward_progress 1
		.amdhsa_inst_pref_size 44
		.amdhsa_round_robin_scheduling 0
		.amdhsa_exception_fp_ieee_invalid_op 0
		.amdhsa_exception_fp_denorm_src 0
		.amdhsa_exception_fp_ieee_div_zero 0
		.amdhsa_exception_fp_ieee_overflow 0
		.amdhsa_exception_fp_ieee_underflow 0
		.amdhsa_exception_fp_ieee_inexact 0
		.amdhsa_exception_int_div_zero 0
	.end_amdhsa_kernel
	.section	.text._ZN12_GLOBAL__N_127rocblas_gemm_batched_kernelI19rocblas_complex_numIfELi16ELi16ELi64ELi64ELi4ELi64ELi4ELi4ELi64ELc78ELc78EKPKS2_S5_KPS2_EEvlllT_PT11_llSA_llS8_PT12_llPT13_lli,"axG",@progbits,_ZN12_GLOBAL__N_127rocblas_gemm_batched_kernelI19rocblas_complex_numIfELi16ELi16ELi64ELi64ELi4ELi64ELi4ELi4ELi64ELc78ELc78EKPKS2_S5_KPS2_EEvlllT_PT11_llSA_llS8_PT12_llPT13_lli,comdat
.Lfunc_end234:
	.size	_ZN12_GLOBAL__N_127rocblas_gemm_batched_kernelI19rocblas_complex_numIfELi16ELi16ELi64ELi64ELi4ELi64ELi4ELi4ELi64ELc78ELc78EKPKS2_S5_KPS2_EEvlllT_PT11_llSA_llS8_PT12_llPT13_lli, .Lfunc_end234-_ZN12_GLOBAL__N_127rocblas_gemm_batched_kernelI19rocblas_complex_numIfELi16ELi16ELi64ELi64ELi4ELi64ELi4ELi4ELi64ELc78ELc78EKPKS2_S5_KPS2_EEvlllT_PT11_llSA_llS8_PT12_llPT13_lli
                                        ; -- End function
	.set _ZN12_GLOBAL__N_127rocblas_gemm_batched_kernelI19rocblas_complex_numIfELi16ELi16ELi64ELi64ELi4ELi64ELi4ELi4ELi64ELc78ELc78EKPKS2_S5_KPS2_EEvlllT_PT11_llSA_llS8_PT12_llPT13_lli.num_vgpr, 201
	.set _ZN12_GLOBAL__N_127rocblas_gemm_batched_kernelI19rocblas_complex_numIfELi16ELi16ELi64ELi64ELi4ELi64ELi4ELi4ELi64ELc78ELc78EKPKS2_S5_KPS2_EEvlllT_PT11_llSA_llS8_PT12_llPT13_lli.num_agpr, 0
	.set _ZN12_GLOBAL__N_127rocblas_gemm_batched_kernelI19rocblas_complex_numIfELi16ELi16ELi64ELi64ELi4ELi64ELi4ELi4ELi64ELc78ELc78EKPKS2_S5_KPS2_EEvlllT_PT11_llSA_llS8_PT12_llPT13_lli.numbered_sgpr, 38
	.set _ZN12_GLOBAL__N_127rocblas_gemm_batched_kernelI19rocblas_complex_numIfELi16ELi16ELi64ELi64ELi4ELi64ELi4ELi4ELi64ELc78ELc78EKPKS2_S5_KPS2_EEvlllT_PT11_llSA_llS8_PT12_llPT13_lli.num_named_barrier, 0
	.set _ZN12_GLOBAL__N_127rocblas_gemm_batched_kernelI19rocblas_complex_numIfELi16ELi16ELi64ELi64ELi4ELi64ELi4ELi4ELi64ELc78ELc78EKPKS2_S5_KPS2_EEvlllT_PT11_llSA_llS8_PT12_llPT13_lli.private_seg_size, 0
	.set _ZN12_GLOBAL__N_127rocblas_gemm_batched_kernelI19rocblas_complex_numIfELi16ELi16ELi64ELi64ELi4ELi64ELi4ELi4ELi64ELc78ELc78EKPKS2_S5_KPS2_EEvlllT_PT11_llSA_llS8_PT12_llPT13_lli.uses_vcc, 1
	.set _ZN12_GLOBAL__N_127rocblas_gemm_batched_kernelI19rocblas_complex_numIfELi16ELi16ELi64ELi64ELi4ELi64ELi4ELi4ELi64ELc78ELc78EKPKS2_S5_KPS2_EEvlllT_PT11_llSA_llS8_PT12_llPT13_lli.uses_flat_scratch, 1
	.set _ZN12_GLOBAL__N_127rocblas_gemm_batched_kernelI19rocblas_complex_numIfELi16ELi16ELi64ELi64ELi4ELi64ELi4ELi4ELi64ELc78ELc78EKPKS2_S5_KPS2_EEvlllT_PT11_llSA_llS8_PT12_llPT13_lli.has_dyn_sized_stack, 0
	.set _ZN12_GLOBAL__N_127rocblas_gemm_batched_kernelI19rocblas_complex_numIfELi16ELi16ELi64ELi64ELi4ELi64ELi4ELi4ELi64ELc78ELc78EKPKS2_S5_KPS2_EEvlllT_PT11_llSA_llS8_PT12_llPT13_lli.has_recursion, 0
	.set _ZN12_GLOBAL__N_127rocblas_gemm_batched_kernelI19rocblas_complex_numIfELi16ELi16ELi64ELi64ELi4ELi64ELi4ELi4ELi64ELc78ELc78EKPKS2_S5_KPS2_EEvlllT_PT11_llSA_llS8_PT12_llPT13_lli.has_indirect_call, 0
	.section	.AMDGPU.csdata,"",@progbits
; Kernel info:
; codeLenInByte = 5608
; TotalNumSgprs: 40
; NumVgprs: 201
; ScratchSize: 0
; MemoryBound: 0
; FloatMode: 240
; IeeeMode: 1
; LDSByteSize: 4096 bytes/workgroup (compile time only)
; SGPRBlocks: 0
; VGPRBlocks: 25
; NumSGPRsForWavesPerEU: 40
; NumVGPRsForWavesPerEU: 201
; Occupancy: 7
; WaveLimiterHint : 1
; COMPUTE_PGM_RSRC2:SCRATCH_EN: 0
; COMPUTE_PGM_RSRC2:USER_SGPR: 2
; COMPUTE_PGM_RSRC2:TRAP_HANDLER: 0
; COMPUTE_PGM_RSRC2:TGID_X_EN: 1
; COMPUTE_PGM_RSRC2:TGID_Y_EN: 1
; COMPUTE_PGM_RSRC2:TGID_Z_EN: 1
; COMPUTE_PGM_RSRC2:TIDIG_COMP_CNT: 1
	.section	.text._ZN12_GLOBAL__N_127rocblas_gemm_batched_kernelI19rocblas_complex_numIfELi16ELi16ELi64ELi64ELi4ELi64ELi4ELi4ELi64ELc84ELc78EKPKS2_S5_KPS2_EEvlllT_PT11_llSA_llS8_PT12_llPT13_lli,"axG",@progbits,_ZN12_GLOBAL__N_127rocblas_gemm_batched_kernelI19rocblas_complex_numIfELi16ELi16ELi64ELi64ELi4ELi64ELi4ELi4ELi64ELc84ELc78EKPKS2_S5_KPS2_EEvlllT_PT11_llSA_llS8_PT12_llPT13_lli,comdat
	.globl	_ZN12_GLOBAL__N_127rocblas_gemm_batched_kernelI19rocblas_complex_numIfELi16ELi16ELi64ELi64ELi4ELi64ELi4ELi4ELi64ELc84ELc78EKPKS2_S5_KPS2_EEvlllT_PT11_llSA_llS8_PT12_llPT13_lli ; -- Begin function _ZN12_GLOBAL__N_127rocblas_gemm_batched_kernelI19rocblas_complex_numIfELi16ELi16ELi64ELi64ELi4ELi64ELi4ELi4ELi64ELc84ELc78EKPKS2_S5_KPS2_EEvlllT_PT11_llSA_llS8_PT12_llPT13_lli
	.p2align	8
	.type	_ZN12_GLOBAL__N_127rocblas_gemm_batched_kernelI19rocblas_complex_numIfELi16ELi16ELi64ELi64ELi4ELi64ELi4ELi4ELi64ELc84ELc78EKPKS2_S5_KPS2_EEvlllT_PT11_llSA_llS8_PT12_llPT13_lli,@function
_ZN12_GLOBAL__N_127rocblas_gemm_batched_kernelI19rocblas_complex_numIfELi16ELi16ELi64ELi64ELi4ELi64ELi4ELi4ELi64ELc84ELc78EKPKS2_S5_KPS2_EEvlllT_PT11_llSA_llS8_PT12_llPT13_lli: ; @_ZN12_GLOBAL__N_127rocblas_gemm_batched_kernelI19rocblas_complex_numIfELi16ELi16ELi64ELi64ELi4ELi64ELi4ELi4ELi64ELc84ELc78EKPKS2_S5_KPS2_EEvlllT_PT11_llSA_llS8_PT12_llPT13_lli
; %bb.0:
	s_load_b32 s33, s[0:1], 0x88
	s_lshr_b32 s2, ttmp7, 16
	s_wait_kmcnt 0x0
	s_cmp_ge_i32 s2, s33
	s_cbranch_scc1 .LBB235_10
; %bb.1:
	s_clause 0x2
	s_load_b128 s[20:23], s[0:1], 0x10
	s_load_b256 s[4:11], s[0:1], 0x20
	s_load_b128 s[24:27], s[0:1], 0x78
	v_dual_mov_b32 v16, 0 :: v_dual_and_b32 v3, 0x3ff, v0
	v_bfe_u32 v2, v0, 10, 10
	s_clause 0x2
	s_load_b128 s[28:31], s[0:1], 0x40
	s_load_b64 s[34:35], s[0:1], 0x50
	s_load_b256 s[12:19], s[0:1], 0x58
	v_lshlrev_b32_e32 v0, 3, v0
	s_lshl_b32 s0, ttmp7, 6
	s_mov_b32 s36, ttmp9
	v_lshl_add_u32 v1, v2, 4, v3
	s_and_b32 s3, s0, 0x3fffc0
	v_and_b32_e32 v14, 24, v0
	v_add_nc_u32_e32 v10, s3, v2
	s_ashr_i32 s37, ttmp9, 31
	v_and_b32_e32 v6, 63, v1
	v_lshrrev_b32_e32 v13, 6, v1
	v_lshrrev_b32_e32 v1, 2, v1
	s_lshl_b64 s[0:1], s[36:37], 6
	v_lshl_add_u32 v20, v2, 5, 0x800
	v_lshlrev_b32_e32 v4, 3, v6
	v_or_b32_e32 v8, s0, v6
	v_lshl_or_b32 v5, v1, 5, v14
	v_add_nc_u32_e32 v12, s3, v1
	s_wait_kmcnt 0x0
	v_mad_co_u64_u32 v[0:1], null, v10, s24, 0
	v_lshl_or_b32 v17, v13, 9, v4
	v_add_nc_u32_e32 v18, 0x800, v5
	v_mad_co_u64_u32 v[4:5], null, v10, s14, 0
	v_mad_co_u64_u32 v[6:7], null, s28, v12, 0
	;; [unrolled: 1-line block ×3, first 2 shown]
	v_mul_lo_u32 v15, s7, v8
	v_mad_co_u64_u32 v[8:9], null, s6, v8, 0
	v_dual_mov_b32 v2, v5 :: v_dual_lshlrev_b32 v19, 3, v3
	v_mov_b32_e32 v5, v7
	s_mul_i32 s6, s6, s1
	s_or_b32 s3, s34, s35
	s_delay_alu instid0(VALU_DEP_2) | instskip(NEXT) | instid1(VALU_DEP_2)
	v_mad_co_u64_u32 v[10:11], null, v10, s15, v[2:3]
	v_mad_co_u64_u32 v[11:12], null, s29, v12, v[5:6]
	s_wait_alu 0xfffe
	v_add3_u32 v9, v9, s6, v15
	s_bitset0_b32 s3, 31
	v_add_co_u32 v2, s0, s0, v3
	s_wait_alu 0xfffe
	s_cmp_eq_u32 s3, 0
	v_lshlrev_b64_e32 v[8:9], 3, v[8:9]
	v_mov_b32_e32 v7, v11
	s_cselect_b32 s36, -1, 0
	v_add_co_ci_u32_e64 v3, null, s1, 0, s0
	s_lshl_b64 s[0:1], s[8:9], 3
	v_dual_mov_b32 v5, v10 :: v_dual_lshlrev_b32 v10, 3, v13
	s_wait_alu 0xfffe
	v_add_co_u32 v8, vcc_lo, v8, s0
	v_lshlrev_b64_e32 v[6:7], 3, v[6:7]
	v_add_co_ci_u32_e64 v9, null, s1, v9, vcc_lo
	s_delay_alu instid0(VALU_DEP_3)
	v_add_co_u32 v21, vcc_lo, v8, v10
	s_lshl_b64 s[0:1], s[30:31], 3
	s_wait_alu 0xfffd
	v_add_co_ci_u32_e64 v22, null, 0, v9, vcc_lo
	s_wait_alu 0xfffe
	v_add_co_u32 v6, vcc_lo, v6, s0
	v_cmp_gt_i64_e64 s0, s[20:21], 0
	s_wait_alu 0xfffd
	v_add_co_ci_u32_e64 v7, null, s1, v7, vcc_lo
	s_delay_alu instid0(VALU_DEP_3)
	v_add_co_u32 v23, vcc_lo, v6, v14
	v_lshlrev_b64_e32 v[4:5], 3, v[4:5]
	s_wait_alu 0xf1ff
	v_cndmask_b32_e64 v8, 0, 1, s0
	s_wait_alu 0xfffd
	v_add_co_ci_u32_e64 v24, null, 0, v7, vcc_lo
	s_lshl_b64 s[24:25], s[24:25], 4
	s_lshl_b64 s[14:15], s[14:15], 4
	v_cmp_ne_u32_e64 s0, 1, v8
	s_mov_b32 s3, 0
	s_lshl_b64 s[6:7], s[26:27], 3
	s_lshl_b64 s[8:9], s[16:17], 3
	s_wait_alu 0xfffe
	s_lshl_b64 s[14:15], s[14:15], 3
	s_lshl_b64 s[16:17], s[24:25], 3
	s_branch .LBB235_3
.LBB235_2:                              ;   in Loop: Header=BB235_3 Depth=1
	s_add_co_i32 s2, s2, 0x10000
	flat_store_b32 v[8:9], v12 offset:4
	s_wait_alu 0xfffe
	s_cmp_lt_i32 s2, s33
	s_cbranch_scc0 .LBB235_10
.LBB235_3:                              ; =>This Loop Header: Depth=1
                                        ;     Child Loop BB235_5 Depth 2
	s_lshl_b64 s[24:25], s[2:3], 3
	v_dual_mov_b32 v56, 0 :: v_dual_mov_b32 v55, 0
	s_wait_alu 0xfffe
	s_add_nc_u64 s[26:27], s[12:13], s[24:25]
	s_add_nc_u64 s[28:29], s[18:19], s[24:25]
	s_clause 0x1
	global_load_b64 v[6:7], v16, s[26:27]
	global_load_b64 v[8:9], v16, s[28:29]
	v_dual_mov_b32 v53, 0 :: v_dual_mov_b32 v54, 0
	v_dual_mov_b32 v51, 0 :: v_dual_mov_b32 v52, 0
	;; [unrolled: 1-line block ×15, first 2 shown]
	s_and_b32 vcc_lo, exec_lo, s0
	s_wait_alu 0xfffe
	s_cbranch_vccnz .LBB235_6
; %bb.4:                                ;   in Loop: Header=BB235_3 Depth=1
	s_add_nc_u64 s[26:27], s[4:5], s[24:25]
	s_add_nc_u64 s[24:25], s[10:11], s[24:25]
	s_clause 0x1
	global_load_b64 v[10:11], v16, s[26:27]
	global_load_b64 v[12:13], v16, s[24:25]
	v_dual_mov_b32 v26, 0 :: v_dual_mov_b32 v25, 0
	v_dual_mov_b32 v28, 0 :: v_dual_mov_b32 v27, 0
	v_dual_mov_b32 v30, 0 :: v_dual_mov_b32 v29, 0
	v_dual_mov_b32 v32, 0 :: v_dual_mov_b32 v31, 0
	v_dual_mov_b32 v34, 0 :: v_dual_mov_b32 v33, 0
	v_dual_mov_b32 v36, 0 :: v_dual_mov_b32 v35, 0
	v_dual_mov_b32 v38, 0 :: v_dual_mov_b32 v37, 0
	v_dual_mov_b32 v40, 0 :: v_dual_mov_b32 v39, 0
	v_dual_mov_b32 v42, 0 :: v_dual_mov_b32 v41, 0
	v_dual_mov_b32 v44, 0 :: v_dual_mov_b32 v43, 0
	v_dual_mov_b32 v46, 0 :: v_dual_mov_b32 v45, 0
	v_dual_mov_b32 v48, 0 :: v_dual_mov_b32 v47, 0
	v_dual_mov_b32 v50, 0 :: v_dual_mov_b32 v49, 0
	v_dual_mov_b32 v52, 0 :: v_dual_mov_b32 v51, 0
	v_dual_mov_b32 v54, 0 :: v_dual_mov_b32 v53, 0
	v_dual_mov_b32 v55, 0 :: v_dual_mov_b32 v56, 0
	s_mov_b64 s[24:25], 0
	s_wait_loadcnt 0x1
	v_add_co_u32 v10, vcc_lo, v10, v21
	s_wait_alu 0xfffd
	v_add_co_ci_u32_e64 v11, null, v11, v22, vcc_lo
	s_wait_loadcnt 0x0
	v_add_co_u32 v12, vcc_lo, v12, v23
	s_wait_alu 0xfffd
	v_add_co_ci_u32_e64 v13, null, v13, v24, vcc_lo
.LBB235_5:                              ;   Parent Loop BB235_3 Depth=1
                                        ; =>  This Inner Loop Header: Depth=2
	flat_load_b64 v[14:15], v[10:11]
	s_wait_alu 0xfffe
	s_add_nc_u64 s[24:25], s[24:25], 4
	v_add_co_u32 v10, vcc_lo, v10, 32
	s_wait_alu 0xfffe
	v_cmp_lt_i64_e64 s1, s[24:25], s[20:21]
	s_wait_alu 0xfffd
	v_add_co_ci_u32_e64 v11, null, 0, v11, vcc_lo
	s_and_b32 vcc_lo, exec_lo, s1
	s_wait_loadcnt_dscnt 0x0
	ds_store_b64 v17, v[14:15]
	flat_load_b64 v[14:15], v[12:13]
	v_add_co_u32 v12, s1, v12, 32
	s_wait_alu 0xf1ff
	v_add_co_ci_u32_e64 v13, null, 0, v13, s1
	s_wait_loadcnt_dscnt 0x0
	ds_store_b64 v18, v[14:15]
	s_wait_dscnt 0x0
	s_barrier_signal -1
	s_barrier_wait -1
	global_inv scope:SCOPE_SE
	ds_load_2addr_b64 v[57:60], v19 offset1:16
	ds_load_b128 v[61:64], v20
	ds_load_b128 v[65:68], v20 offset:16
	ds_load_b128 v[69:72], v20 offset:512
	;; [unrolled: 1-line block ×7, first 2 shown]
	ds_load_2addr_b64 v[93:96], v19 offset0:32 offset1:48
	ds_load_2addr_b64 v[97:100], v19 offset0:64 offset1:80
	;; [unrolled: 1-line block ×7, first 2 shown]
	s_wait_loadcnt_dscnt 0x0
	s_barrier_signal -1
	s_barrier_wait -1
	global_inv scope:SCOPE_SE
	v_mul_f32_e32 v15, v61, v58
	v_dual_mul_f32 v122, v61, v60 :: v_dual_mul_f32 v123, v70, v58
	v_mul_f32_e32 v14, v62, v58
	v_dual_mul_f32 v121, v62, v60 :: v_dual_mul_f32 v124, v69, v58
	v_dual_mul_f32 v125, v70, v60 :: v_dual_mul_f32 v128, v77, v58
	;; [unrolled: 1-line block ×5, first 2 shown]
	v_mul_f32_e32 v129, v78, v60
	v_dual_mul_f32 v130, v77, v60 :: v_dual_mul_f32 v131, v86, v58
	v_mul_f32_e32 v58, v85, v58
	v_mul_f32_e32 v132, v86, v60
	v_dual_mul_f32 v60, v85, v60 :: v_dual_mul_f32 v133, v62, v94
	v_dual_mul_f32 v138, v69, v94 :: v_dual_mul_f32 v139, v70, v96
	;; [unrolled: 1-line block ×9, first 2 shown]
	v_mul_f32_e32 v149, v64, v100
	v_dual_mul_f32 v150, v63, v100 :: v_dual_mul_f32 v155, v72, v98
	v_dual_mul_f32 v152, v63, v102 :: v_dual_mul_f32 v161, v72, v104
	;; [unrolled: 1-line block ×11, first 2 shown]
	v_dual_mul_f32 v176, v65, v106 :: v_dual_fmac_f32 v15, v62, v57
	v_fmac_f32_e32 v122, v62, v59
	v_fma_f32 v123, v69, v57, -v123
	v_dual_fmac_f32 v134, v62, v93 :: v_dual_mul_f32 v197, v84, v116
	v_fmac_f32_e32 v136, v62, v95
	v_fma_f32 v62, v69, v93, -v137
	v_dual_mul_f32 v166, v79, v100 :: v_dual_mul_f32 v171, v88, v98
	v_dual_mul_f32 v98, v87, v98 :: v_dual_mul_f32 v185, v82, v108
	;; [unrolled: 1-line block ×8, first 2 shown]
	v_mul_f32_e32 v182, v73, v108
	v_mul_f32_e32 v186, v81, v108
	;; [unrolled: 1-line block ×6, first 2 shown]
	v_fma_f32 v14, v61, v57, -v14
	v_fma_f32 v121, v61, v59, -v121
	v_fmac_f32_e32 v124, v70, v57
	v_fma_f32 v125, v69, v59, -v125
	v_fmac_f32_e32 v126, v70, v59
	;; [unrolled: 2-line block ×6, first 2 shown]
	v_mul_f32_e32 v59, v74, v110
	v_mul_f32_e32 v132, v73, v110
	v_fma_f32 v133, v61, v93, -v133
	v_fma_f32 v61, v61, v95, -v135
	v_dual_fmac_f32 v138, v70, v93 :: v_dual_mul_f32 v199, v84, v120
	v_fma_f32 v69, v69, v95, -v139
	v_fmac_f32_e32 v140, v70, v95
	v_fma_f32 v70, v77, v93, -v141
	v_fma_f32 v77, v77, v95, -v143
	v_mul_f32_e32 v135, v81, v112
	v_fma_f32 v137, v63, v97, -v147
	v_fmac_f32_e32 v148, v64, v97
	v_fma_f32 v139, v63, v99, -v149
	v_fma_f32 v141, v63, v101, -v151
	v_fmac_f32_e32 v152, v64, v101
	v_fma_f32 v63, v63, v103, -v153
	v_dual_fmac_f32 v154, v64, v103 :: v_dual_add_f32 v53, v53, v121
	v_dual_fmac_f32 v156, v72, v97 :: v_dual_add_f32 v15, v55, v15
	v_fma_f32 v147, v71, v101, -v159
	v_dual_fmac_f32 v160, v72, v101 :: v_dual_add_f32 v47, v47, v123
	v_dual_mul_f32 v149, v67, v114 :: v_dual_fmac_f32 v144, v78, v95
	v_dual_mul_f32 v153, v67, v116 :: v_dual_fmac_f32 v142, v78, v93
	v_fma_f32 v78, v85, v93, -v145
	v_fma_f32 v85, v85, v95, -v146
	;; [unrolled: 1-line block ×6, first 2 shown]
	v_dual_fmac_f32 v164, v80, v97 :: v_dual_add_f32 v43, v43, v62
	v_fma_f32 v157, v79, v99, -v165
	v_fma_f32 v159, v79, v101, -v167
	v_dual_fmac_f32 v168, v80, v101 :: v_dual_add_f32 v39, v39, v127
	v_fma_f32 v79, v79, v103, -v169
	v_dual_mul_f32 v161, v67, v118 :: v_dual_fmac_f32 v96, v86, v95
	v_dual_mul_f32 v165, v67, v120 :: v_dual_fmac_f32 v94, v86, v93
	v_mul_f32_e32 v86, v82, v110
	v_dual_mul_f32 v93, v81, v110 :: v_dual_fmac_f32 v150, v64, v99
	v_mul_f32_e32 v169, v75, v114
	v_mul_f32_e32 v64, v90, v110
	v_fma_f32 v173, v87, v101, -v173
	v_dual_fmac_f32 v102, v88, v101 :: v_dual_add_f32 v31, v31, v131
	v_mul_f32_e32 v101, v75, v118
	v_mul_f32_e32 v110, v89, v110
	v_dual_mul_f32 v184, v81, v106 :: v_dual_mul_f32 v95, v82, v112
	v_dual_mul_f32 v106, v89, v106 :: v_dual_mul_f32 v143, v90, v112
	;; [unrolled: 1-line block ×3, first 2 shown]
	v_dual_fmac_f32 v158, v72, v99 :: v_dual_add_f32 v51, v51, v133
	v_dual_fmac_f32 v162, v72, v103 :: v_dual_add_f32 v49, v49, v61
	v_dual_mul_f32 v72, v68, v114 :: v_dual_add_f32 v45, v45, v125
	v_mul_f32_e32 v151, v68, v116
	v_dual_fmac_f32 v166, v80, v99 :: v_dual_add_f32 v41, v41, v69
	v_dual_fmac_f32 v170, v80, v103 :: v_dual_add_f32 v37, v37, v129
	v_dual_mul_f32 v80, v68, v118 :: v_dual_add_f32 v33, v33, v77
	v_fma_f32 v167, v87, v97, -v171
	v_dual_fmac_f32 v98, v88, v97 :: v_dual_add_f32 v35, v35, v70
	v_fma_f32 v97, v87, v99, -v172
	v_dual_fmac_f32 v100, v88, v99 :: v_dual_add_f32 v29, v29, v57
	v_dual_mul_f32 v99, v76, v114 :: v_dual_mul_f32 v172, v75, v116
	v_add_f32_e32 v25, v25, v85
	v_fma_f32 v87, v87, v103, -v174
	v_dual_fmac_f32 v104, v88, v103 :: v_dual_add_f32 v27, v27, v78
	v_dual_mul_f32 v103, v76, v120 :: v_dual_fmac_f32 v176, v66, v105
	v_add_f32_e32 v43, v43, v147
	v_dual_fmac_f32 v178, v66, v107 :: v_dual_add_f32 v51, v51, v141
	v_fma_f32 v179, v73, v105, -v179
	v_fma_f32 v181, v73, v107, -v181
	v_dual_fmac_f32 v182, v74, v107 :: v_dual_add_f32 v47, v47, v145
	v_fma_f32 v189, v65, v109, -v189
	v_dual_fmac_f32 v190, v66, v109 :: v_dual_add_f32 v31, v31, v167
	v_dual_fmac_f32 v192, v66, v111 :: v_dual_add_f32 v27, v27, v173
	v_fma_f32 v59, v73, v109, -v59
	v_fma_f32 v66, v73, v111, -v193
	;; [unrolled: 1-line block ×3, first 2 shown]
	v_fmac_f32_e32 v93, v82, v109
	v_dual_fmac_f32 v135, v82, v111 :: v_dual_mul_f32 v88, v76, v118
	v_dual_add_f32 v15, v15, v148 :: v_dual_fmac_f32 v132, v74, v109
	v_fmac_f32_e32 v169, v76, v113
	v_fma_f32 v64, v89, v109, -v64
	v_fmac_f32_e32 v101, v76, v117
	v_dual_fmac_f32 v110, v90, v109 :: v_dual_add_f32 v47, v47, v179
	v_dual_mul_f32 v109, v91, v118 :: v_dual_mul_f32 v112, v89, v112
	v_mul_f32_e32 v163, v68, v120
	v_mul_f32_e32 v171, v76, v116
	v_dual_mul_f32 v174, v75, v120 :: v_dual_add_f32 v53, v53, v139
	v_dual_mul_f32 v196, v83, v114 :: v_dual_add_f32 v49, v49, v63
	;; [unrolled: 1-line block ×3, first 2 shown]
	v_fma_f32 v175, v65, v105, -v175
	v_fma_f32 v177, v65, v107, -v177
	v_dual_fmac_f32 v180, v74, v105 :: v_dual_add_f32 v41, v41, v71
	v_fma_f32 v183, v81, v105, -v183
	v_dual_fmac_f32 v184, v82, v105 :: v_dual_add_f32 v39, v39, v155
	;; [unrolled: 2-line block ×5, first 2 shown]
	v_mul_f32_e32 v107, v84, v118
	v_dual_mul_f32 v188, v83, v118 :: v_dual_add_f32 v33, v33, v79
	v_dual_mul_f32 v200, v83, v120 :: v_dual_add_f32 v25, v25, v87
	v_fma_f32 v65, v65, v111, -v191
	v_dual_fmac_f32 v194, v74, v111 :: v_dual_add_f32 v53, v53, v177
	v_fma_f32 v74, v81, v111, -v95
	v_fma_f32 v81, v89, v111, -v143
	s_delay_alu instid0(VALU_DEP_4)
	v_dual_mul_f32 v82, v92, v114 :: v_dual_add_f32 v49, v49, v65
	v_mul_f32_e32 v89, v92, v116
	v_fmac_f32_e32 v149, v68, v113
	v_fmac_f32_e32 v153, v68, v115
	;; [unrolled: 1-line block ×4, first 2 shown]
	v_dual_mul_f32 v68, v92, v118 :: v_dual_add_f32 v43, v43, v59
	v_dual_fmac_f32 v109, v92, v117 :: v_dual_fmac_f32 v112, v90, v111
	v_add_f32_e32 v51, v51, v189
	v_dual_mul_f32 v90, v91, v116 :: v_dual_add_f32 v41, v41, v66
	v_dual_mul_f32 v111, v92, v120 :: v_dual_mul_f32 v86, v91, v114
	v_add_f32_e32 v45, v45, v181
	v_fma_f32 v72, v67, v113, -v72
	v_fma_f32 v95, v67, v115, -v151
	;; [unrolled: 1-line block ×4, first 2 shown]
	v_dual_mul_f32 v114, v91, v120 :: v_dual_add_f32 v37, v37, v185
	v_fma_f32 v99, v75, v113, -v99
	v_fma_f32 v116, v75, v115, -v171
	v_dual_fmac_f32 v172, v76, v115 :: v_dual_add_f32 v35, v35, v73
	v_fma_f32 v88, v75, v117, -v88
	v_fma_f32 v75, v75, v119, -v103
	v_dual_fmac_f32 v174, v76, v119 :: v_dual_add_f32 v33, v33, v74
	v_fma_f32 v76, v83, v113, -v195
	v_dual_fmac_f32 v196, v84, v113 :: v_dual_add_f32 v39, v39, v183
	;; [unrolled: 2-line block ×5, first 2 shown]
	v_fma_f32 v82, v91, v113, -v82
	v_fma_f32 v84, v91, v115, -v89
	v_dual_fmac_f32 v90, v92, v115 :: v_dual_add_f32 v25, v25, v81
	v_fma_f32 v68, v91, v117, -v68
	v_fma_f32 v89, v91, v119, -v111
	v_dual_add_f32 v14, v56, v14 :: v_dual_add_f32 v51, v51, v80
	v_dual_add_f32 v54, v54, v122 :: v_dual_add_f32 v49, v49, v67
	;; [unrolled: 1-line block ×14, first 2 shown]
	v_add_f32_e32 v28, v28, v94
	v_add_f32_e32 v26, v26, v96
	;; [unrolled: 1-line block ×18, first 2 shown]
	v_dual_fmac_f32 v86, v92, v113 :: v_dual_add_f32 v53, v53, v95
	v_dual_add_f32 v14, v14, v175 :: v_dual_add_f32 v15, v15, v176
	v_fmac_f32_e32 v114, v92, v119
	v_add_f32_e32 v54, v54, v178
	v_add_f32_e32 v52, v52, v190
	;; [unrolled: 1-line block ×15, first 2 shown]
	v_dual_add_f32 v56, v14, v72 :: v_dual_add_f32 v55, v15, v149
	v_add_f32_e32 v54, v54, v153
	v_add_f32_e32 v52, v52, v161
	;; [unrolled: 1-line block ×15, first 2 shown]
	s_wait_alu 0xfffe
	s_cbranch_vccnz .LBB235_5
.LBB235_6:                              ;   in Loop: Header=BB235_3 Depth=1
	s_wait_loadcnt 0x0
	v_add_co_u32 v10, vcc_lo, v8, s6
	s_wait_alu 0xfffd
	v_add_co_ci_u32_e64 v11, null, s7, v9, vcc_lo
	s_and_not1_b32 vcc_lo, exec_lo, s36
	s_mov_b32 s1, -1
                                        ; implicit-def: $vgpr12
                                        ; implicit-def: $vgpr8_vgpr9
	s_wait_alu 0xfffe
	s_cbranch_vccz .LBB235_8
; %bb.7:                                ;   in Loop: Header=BB235_3 Depth=1
	s_and_not1_b32 vcc_lo, exec_lo, s1
	s_wait_alu 0xfffe
	s_cbranch_vccnz .LBB235_2
	s_branch .LBB235_9
.LBB235_8:                              ;   in Loop: Header=BB235_3 Depth=1
	v_lshlrev_b64_e32 v[8:9], 3, v[0:1]
	v_lshlrev_b64_e32 v[14:15], 3, v[2:3]
	v_dual_mul_f32 v13, s22, v55 :: v_dual_mul_f32 v58, s22, v54
	v_dual_mul_f32 v12, s23, v55 :: v_dual_mul_f32 v57, s23, v54
	v_mul_f32_e32 v60, s22, v52
	v_add_co_u32 v63, vcc_lo, v10, v8
	s_wait_alu 0xfffd
	v_add_co_ci_u32_e64 v64, null, v11, v9, vcc_lo
	v_dual_mul_f32 v59, s23, v52 :: v_dual_mul_f32 v62, s22, v50
	s_delay_alu instid0(VALU_DEP_3)
	v_add_co_u32 v8, vcc_lo, v63, v14
	v_dual_mul_f32 v61, s23, v50 :: v_dual_fmac_f32 v58, s23, v53
	v_fmac_f32_e32 v13, s23, v56
	v_fma_f32 v12, v56, s22, -v12
	s_wait_alu 0xfffd
	v_add_co_ci_u32_e64 v9, null, v64, v15, vcc_lo
	v_add_co_u32 v63, vcc_lo, v63, s16
	v_fma_f32 v57, v53, s22, -v57
	v_fma_f32 v59, v51, s22, -v59
	v_fmac_f32_e32 v60, s23, v51
	s_wait_alu 0xfffd
	v_add_co_ci_u32_e64 v65, null, s17, v64, vcc_lo
	v_fma_f32 v61, v49, s22, -v61
	v_fmac_f32_e32 v62, s23, v49
	s_clause 0x3
	flat_store_b64 v[8:9], v[12:13]
	flat_store_b64 v[8:9], v[57:58] offset:128
	flat_store_b64 v[8:9], v[59:60] offset:256
	;; [unrolled: 1-line block ×3, first 2 shown]
	v_dual_mul_f32 v8, s23, v48 :: v_dual_mul_f32 v57, s23, v46
	v_mul_f32_e32 v9, s22, v48
	v_add_co_u32 v12, vcc_lo, v63, v14
	v_dual_mul_f32 v58, s22, v46 :: v_dual_mul_f32 v59, s23, v44
	v_dual_mul_f32 v60, s22, v44 :: v_dual_mul_f32 v61, s23, v42
	s_wait_alu 0xfffd
	v_add_co_ci_u32_e64 v13, null, v65, v15, vcc_lo
	v_add_co_u32 v73, vcc_lo, v63, s16
	v_dual_mul_f32 v62, s22, v42 :: v_dual_mul_f32 v69, s23, v36
	v_mul_f32_e32 v66, s23, v40
	v_mul_f32_e32 v64, s22, v40
	s_wait_alu 0xfffd
	v_add_co_ci_u32_e64 v74, null, s17, v65, vcc_lo
	v_fma_f32 v8, v47, s22, -v8
	v_dual_fmac_f32 v9, s23, v47 :: v_dual_fmac_f32 v58, s23, v45
	v_dual_mul_f32 v67, s23, v38 :: v_dual_fmac_f32 v60, s23, v43
	v_mul_f32_e32 v71, s23, v34
	v_mul_f32_e32 v68, s22, v38
	;; [unrolled: 1-line block ×4, first 2 shown]
	v_fma_f32 v57, v45, s22, -v57
	v_fma_f32 v59, v43, s22, -v59
	v_add_co_u32 v65, vcc_lo, v73, v14
	v_fma_f32 v61, v41, s22, -v61
	v_fmac_f32_e32 v62, s23, v41
	v_fma_f32 v63, v39, s22, -v66
	v_fmac_f32_e32 v64, s23, v39
	s_wait_alu 0xfffd
	v_add_co_ci_u32_e64 v66, null, v74, v15, vcc_lo
	v_fma_f32 v67, v37, s22, -v67
	v_fmac_f32_e32 v68, s23, v37
	v_fma_f32 v69, v35, s22, -v69
	v_fmac_f32_e32 v70, s23, v35
	;; [unrolled: 2-line block ×3, first 2 shown]
	s_clause 0x7
	flat_store_b64 v[12:13], v[8:9]
	flat_store_b64 v[12:13], v[57:58] offset:128
	flat_store_b64 v[12:13], v[59:60] offset:256
	;; [unrolled: 1-line block ×3, first 2 shown]
	flat_store_b64 v[65:66], v[63:64]
	flat_store_b64 v[65:66], v[67:68] offset:128
	flat_store_b64 v[65:66], v[69:70] offset:256
	;; [unrolled: 1-line block ×3, first 2 shown]
	v_mul_f32_e32 v8, s23, v32
	v_add_co_u32 v9, vcc_lo, v73, s16
	s_wait_alu 0xfffd
	v_add_co_ci_u32_e64 v12, null, s17, v74, vcc_lo
	s_delay_alu instid0(VALU_DEP_3)
	v_fma_f32 v57, v31, s22, -v8
	v_mul_f32_e32 v8, s23, v30
	v_add_co_u32 v13, vcc_lo, v9, v14
	v_mul_f32_e32 v58, s22, v32
	s_wait_alu 0xfffd
	v_add_co_ci_u32_e64 v14, null, v12, v15, vcc_lo
	v_fma_f32 v59, v29, s22, -v8
	v_dual_mul_f32 v8, s23, v28 :: v_dual_mul_f32 v9, s23, v26
	v_mul_f32_e32 v12, s22, v26
	v_mul_f32_e32 v60, s22, v30
	;; [unrolled: 1-line block ×3, first 2 shown]
	s_delay_alu instid0(VALU_DEP_4)
	v_fma_f32 v61, v27, s22, -v8
	v_add_co_u32 v8, vcc_lo, 0x180, v13
	v_fmac_f32_e32 v58, s23, v31
	v_fma_f32 v15, v25, s22, -v9
	v_fmac_f32_e32 v12, s23, v25
	s_wait_alu 0xfffd
	v_add_co_ci_u32_e64 v9, null, 0, v14, vcc_lo
	v_fmac_f32_e32 v60, s23, v29
	v_fmac_f32_e32 v62, s23, v27
	s_clause 0x3
	flat_store_b64 v[13:14], v[57:58]
	flat_store_b64 v[13:14], v[59:60] offset:128
	flat_store_b64 v[13:14], v[61:62] offset:256
	flat_store_b32 v[13:14], v15 offset:384
	s_cbranch_execnz .LBB235_2
.LBB235_9:                              ;   in Loop: Header=BB235_3 Depth=1
	v_add_co_u32 v8, vcc_lo, v6, s8
	s_wait_alu 0xfffd
	v_add_co_ci_u32_e64 v9, null, s9, v7, vcc_lo
	v_lshlrev_b64_e32 v[6:7], 3, v[2:3]
	s_delay_alu instid0(VALU_DEP_3) | instskip(SKIP_1) | instid1(VALU_DEP_3)
	v_add_co_u32 v57, vcc_lo, v8, v4
	s_wait_alu 0xfffd
	v_add_co_ci_u32_e64 v58, null, v9, v5, vcc_lo
	v_lshlrev_b64_e32 v[14:15], 3, v[0:1]
	s_delay_alu instid0(VALU_DEP_3) | instskip(SKIP_1) | instid1(VALU_DEP_3)
	v_add_co_u32 v8, vcc_lo, v57, v6
	s_wait_alu 0xfffd
	v_add_co_ci_u32_e64 v9, null, v58, v7, vcc_lo
	s_delay_alu instid0(VALU_DEP_3)
	v_add_co_u32 v14, vcc_lo, v10, v14
	flat_load_b64 v[12:13], v[8:9]
	v_mul_f32_e32 v59, s23, v55
	s_wait_alu 0xfffd
	v_add_co_ci_u32_e64 v15, null, v11, v15, vcc_lo
	v_add_co_u32 v10, vcc_lo, v14, v6
	s_delay_alu instid0(VALU_DEP_3) | instskip(SKIP_4) | instid1(VALU_DEP_2)
	v_fma_f32 v59, v56, s22, -v59
	v_mul_f32_e32 v55, s22, v55
	s_wait_alu 0xfffd
	v_add_co_ci_u32_e64 v11, null, v15, v7, vcc_lo
	s_wait_loadcnt_dscnt 0x0
	v_dual_fmac_f32 v55, s23, v56 :: v_dual_mul_f32 v56, s35, v13
	v_mul_f32_e32 v13, s34, v13
	s_delay_alu instid0(VALU_DEP_2) | instskip(NEXT) | instid1(VALU_DEP_2)
	v_fma_f32 v56, v12, s34, -v56
	v_fmac_f32_e32 v13, s35, v12
	s_delay_alu instid0(VALU_DEP_2) | instskip(NEXT) | instid1(VALU_DEP_2)
	v_add_f32_e32 v12, v59, v56
	v_add_f32_e32 v13, v55, v13
	flat_store_b64 v[10:11], v[12:13]
	flat_load_b64 v[12:13], v[8:9] offset:128
	v_mul_f32_e32 v55, s23, v54
	v_mul_f32_e32 v54, s22, v54
	s_delay_alu instid0(VALU_DEP_1) | instskip(SKIP_4) | instid1(VALU_DEP_3)
	v_fmac_f32_e32 v54, s23, v53
	s_wait_loadcnt_dscnt 0x0
	v_mul_f32_e32 v56, s35, v13
	v_mul_f32_e32 v13, s34, v13
	v_fma_f32 v55, v53, s22, -v55
	v_fma_f32 v53, v12, s34, -v56
	s_delay_alu instid0(VALU_DEP_1) | instskip(NEXT) | instid1(VALU_DEP_1)
	v_dual_fmac_f32 v13, s35, v12 :: v_dual_add_f32 v12, v55, v53
	v_add_f32_e32 v13, v54, v13
	flat_store_b64 v[10:11], v[12:13] offset:128
	flat_load_b64 v[12:13], v[8:9] offset:256
	v_mul_f32_e32 v53, s23, v52
	v_mul_f32_e32 v52, s22, v52
	s_delay_alu instid0(VALU_DEP_1) | instskip(SKIP_4) | instid1(VALU_DEP_3)
	v_fmac_f32_e32 v52, s23, v51
	s_wait_loadcnt_dscnt 0x0
	v_mul_f32_e32 v54, s35, v13
	v_mul_f32_e32 v13, s34, v13
	v_fma_f32 v53, v51, s22, -v53
	v_fma_f32 v51, v12, s34, -v54
	s_delay_alu instid0(VALU_DEP_1) | instskip(NEXT) | instid1(VALU_DEP_1)
	v_dual_fmac_f32 v13, s35, v12 :: v_dual_add_f32 v12, v53, v51
	v_add_f32_e32 v13, v52, v13
	flat_store_b64 v[10:11], v[12:13] offset:256
	flat_load_b64 v[8:9], v[8:9] offset:384
	v_mul_f32_e32 v12, s23, v50
	s_delay_alu instid0(VALU_DEP_1) | instskip(SKIP_1) | instid1(VALU_DEP_1)
	v_fma_f32 v12, v49, s22, -v12
	v_mul_f32_e32 v13, s22, v50
	v_fmac_f32_e32 v13, s23, v49
	s_wait_loadcnt_dscnt 0x0
	v_mul_f32_e32 v50, s35, v9
	v_mul_f32_e32 v9, s34, v9
	s_delay_alu instid0(VALU_DEP_2) | instskip(SKIP_1) | instid1(VALU_DEP_3)
	v_fma_f32 v49, v8, s34, -v50
	v_add_co_u32 v50, vcc_lo, v57, s14
	v_fmac_f32_e32 v9, s35, v8
	s_wait_alu 0xfffd
	v_add_co_ci_u32_e64 v51, null, s15, v58, vcc_lo
	v_add_f32_e32 v8, v12, v49
	v_add_co_u32 v12, vcc_lo, v50, v6
	v_add_f32_e32 v9, v13, v9
	s_wait_alu 0xfffd
	v_add_co_ci_u32_e64 v13, null, v51, v7, vcc_lo
	v_add_co_u32 v14, vcc_lo, v14, s16
	flat_store_b64 v[10:11], v[8:9] offset:384
	flat_load_b64 v[8:9], v[12:13]
	v_mul_f32_e32 v10, s23, v48
	v_mul_f32_e32 v11, s22, v48
	s_wait_alu 0xfffd
	v_add_co_ci_u32_e64 v15, null, s17, v15, vcc_lo
	s_delay_alu instid0(VALU_DEP_3) | instskip(SKIP_2) | instid1(VALU_DEP_1)
	v_fma_f32 v10, v47, s22, -v10
	s_wait_loadcnt_dscnt 0x0
	v_dual_mul_f32 v48, s34, v9 :: v_dual_fmac_f32 v11, s23, v47
	v_dual_mul_f32 v47, s35, v9 :: v_dual_fmac_f32 v48, s35, v8
	s_delay_alu instid0(VALU_DEP_1) | instskip(SKIP_3) | instid1(VALU_DEP_3)
	v_fma_f32 v47, v8, s34, -v47
	v_add_co_u32 v8, vcc_lo, v14, v6
	s_wait_alu 0xfffd
	v_add_co_ci_u32_e64 v9, null, v15, v7, vcc_lo
	v_dual_add_f32 v10, v10, v47 :: v_dual_mul_f32 v47, s23, v46
	v_mul_f32_e32 v46, s22, v46
	s_delay_alu instid0(VALU_DEP_2) | instskip(NEXT) | instid1(VALU_DEP_2)
	v_fma_f32 v47, v45, s22, -v47
	v_dual_fmac_f32 v46, s23, v45 :: v_dual_add_f32 v11, v11, v48
	flat_store_b64 v[8:9], v[10:11]
	flat_load_b64 v[10:11], v[12:13] offset:128
	s_wait_loadcnt_dscnt 0x0
	v_mul_f32_e32 v48, s35, v11
	s_delay_alu instid0(VALU_DEP_1) | instskip(SKIP_1) | instid1(VALU_DEP_1)
	v_fma_f32 v45, v10, s34, -v48
	v_mul_f32_e32 v11, s34, v11
	v_dual_fmac_f32 v11, s35, v10 :: v_dual_add_f32 v10, v47, v45
	v_mul_f32_e32 v45, s23, v44
	s_delay_alu instid0(VALU_DEP_2) | instskip(NEXT) | instid1(VALU_DEP_2)
	v_dual_mul_f32 v44, s22, v44 :: v_dual_add_f32 v11, v46, v11
	v_fma_f32 v45, v43, s22, -v45
	s_delay_alu instid0(VALU_DEP_2)
	v_fmac_f32_e32 v44, s23, v43
	flat_store_b64 v[8:9], v[10:11] offset:128
	flat_load_b64 v[10:11], v[12:13] offset:256
	s_wait_loadcnt_dscnt 0x0
	v_mul_f32_e32 v46, s35, v11
	v_mul_f32_e32 v11, s34, v11
	s_delay_alu instid0(VALU_DEP_2) | instskip(NEXT) | instid1(VALU_DEP_1)
	v_fma_f32 v43, v10, s34, -v46
	v_dual_fmac_f32 v11, s35, v10 :: v_dual_add_f32 v10, v45, v43
	s_delay_alu instid0(VALU_DEP_1) | instskip(SKIP_4) | instid1(VALU_DEP_2)
	v_add_f32_e32 v11, v44, v11
	flat_store_b64 v[8:9], v[10:11] offset:256
	flat_load_b64 v[10:11], v[12:13] offset:384
	v_mul_f32_e32 v12, s23, v42
	v_mul_f32_e32 v13, s22, v42
	v_fma_f32 v12, v41, s22, -v12
	s_wait_loadcnt_dscnt 0x0
	s_delay_alu instid0(VALU_DEP_2) | instskip(SKIP_1) | instid1(VALU_DEP_2)
	v_dual_fmac_f32 v13, s23, v41 :: v_dual_mul_f32 v42, s35, v11
	v_mul_f32_e32 v11, s34, v11
	v_fma_f32 v41, v10, s34, -v42
	v_add_co_u32 v42, vcc_lo, v50, s14
	s_delay_alu instid0(VALU_DEP_3)
	v_fmac_f32_e32 v11, s35, v10
	s_wait_alu 0xfffd
	v_add_co_ci_u32_e64 v43, null, s15, v51, vcc_lo
	v_add_f32_e32 v10, v12, v41
	v_add_co_u32 v12, vcc_lo, v42, v6
	v_add_f32_e32 v11, v13, v11
	s_wait_alu 0xfffd
	v_add_co_ci_u32_e64 v13, null, v43, v7, vcc_lo
	v_add_co_u32 v14, vcc_lo, v14, s16
	flat_store_b64 v[8:9], v[10:11] offset:384
	flat_load_b64 v[8:9], v[12:13]
	v_mul_f32_e32 v10, s23, v40
	v_mul_f32_e32 v11, s22, v40
	s_wait_alu 0xfffd
	v_add_co_ci_u32_e64 v15, null, s17, v15, vcc_lo
	s_delay_alu instid0(VALU_DEP_3) | instskip(NEXT) | instid1(VALU_DEP_3)
	v_fma_f32 v10, v39, s22, -v10
	v_fmac_f32_e32 v11, s23, v39
	s_wait_loadcnt_dscnt 0x0
	v_mul_f32_e32 v39, s35, v9
	v_mul_f32_e32 v40, s34, v9
	s_delay_alu instid0(VALU_DEP_2) | instskip(NEXT) | instid1(VALU_DEP_2)
	v_fma_f32 v39, v8, s34, -v39
	v_fmac_f32_e32 v40, s35, v8
	v_add_co_u32 v8, vcc_lo, v14, v6
	s_wait_alu 0xfffd
	v_add_co_ci_u32_e64 v9, null, v15, v7, vcc_lo
	s_delay_alu instid0(VALU_DEP_3)
	v_dual_add_f32 v10, v10, v39 :: v_dual_add_f32 v11, v11, v40
	v_mul_f32_e32 v39, s23, v38
	v_mul_f32_e32 v38, s22, v38
	flat_store_b64 v[8:9], v[10:11]
	flat_load_b64 v[10:11], v[12:13] offset:128
	v_fma_f32 v39, v37, s22, -v39
	v_fmac_f32_e32 v38, s23, v37
	s_wait_loadcnt_dscnt 0x0
	v_mul_f32_e32 v40, s35, v11
	v_mul_f32_e32 v11, s34, v11
	s_delay_alu instid0(VALU_DEP_2) | instskip(NEXT) | instid1(VALU_DEP_1)
	v_fma_f32 v37, v10, s34, -v40
	v_dual_fmac_f32 v11, s35, v10 :: v_dual_add_f32 v10, v39, v37
	s_delay_alu instid0(VALU_DEP_1)
	v_add_f32_e32 v11, v38, v11
	v_mul_f32_e32 v37, s23, v36
	v_mul_f32_e32 v36, s22, v36
	flat_store_b64 v[8:9], v[10:11] offset:128
	flat_load_b64 v[10:11], v[12:13] offset:256
	v_fma_f32 v37, v35, s22, -v37
	v_fmac_f32_e32 v36, s23, v35
	s_wait_loadcnt_dscnt 0x0
	v_mul_f32_e32 v38, s35, v11
	v_mul_f32_e32 v11, s34, v11
	s_delay_alu instid0(VALU_DEP_2) | instskip(NEXT) | instid1(VALU_DEP_1)
	v_fma_f32 v35, v10, s34, -v38
	v_dual_fmac_f32 v11, s35, v10 :: v_dual_add_f32 v10, v37, v35
	s_delay_alu instid0(VALU_DEP_1) | instskip(SKIP_4) | instid1(VALU_DEP_2)
	v_add_f32_e32 v11, v36, v11
	flat_store_b64 v[8:9], v[10:11] offset:256
	flat_load_b64 v[10:11], v[12:13] offset:384
	v_mul_f32_e32 v12, s23, v34
	v_mul_f32_e32 v13, s22, v34
	v_fma_f32 v12, v33, s22, -v12
	s_wait_loadcnt_dscnt 0x0
	s_delay_alu instid0(VALU_DEP_2) | instskip(SKIP_1) | instid1(VALU_DEP_2)
	v_dual_fmac_f32 v13, s23, v33 :: v_dual_mul_f32 v34, s35, v11
	v_mul_f32_e32 v11, s34, v11
	v_fma_f32 v33, v10, s34, -v34
	v_add_co_u32 v34, vcc_lo, v42, s14
	s_delay_alu instid0(VALU_DEP_3)
	v_fmac_f32_e32 v11, s35, v10
	s_wait_alu 0xfffd
	v_add_co_ci_u32_e64 v35, null, s15, v43, vcc_lo
	v_add_f32_e32 v10, v12, v33
	v_add_co_u32 v12, vcc_lo, v34, v6
	v_add_f32_e32 v11, v13, v11
	s_wait_alu 0xfffd
	v_add_co_ci_u32_e64 v13, null, v35, v7, vcc_lo
	v_add_co_u32 v14, vcc_lo, v14, s16
	flat_store_b64 v[8:9], v[10:11] offset:384
	flat_load_b64 v[8:9], v[12:13]
	v_mul_f32_e32 v10, s23, v32
	v_mul_f32_e32 v11, s22, v32
	s_wait_alu 0xfffd
	v_add_co_ci_u32_e64 v15, null, s17, v15, vcc_lo
	v_add_co_u32 v6, vcc_lo, v14, v6
	v_fma_f32 v10, v31, s22, -v10
	v_fmac_f32_e32 v11, s23, v31
	s_wait_alu 0xfffd
	v_add_co_ci_u32_e64 v7, null, v15, v7, vcc_lo
	s_wait_loadcnt_dscnt 0x0
	v_mul_f32_e32 v31, s35, v9
	v_mul_f32_e32 v9, s34, v9
	s_delay_alu instid0(VALU_DEP_2) | instskip(NEXT) | instid1(VALU_DEP_1)
	v_fma_f32 v31, v8, s34, -v31
	v_dual_fmac_f32 v9, s35, v8 :: v_dual_add_f32 v8, v10, v31
	s_delay_alu instid0(VALU_DEP_1)
	v_dual_add_f32 v9, v11, v9 :: v_dual_mul_f32 v10, s23, v30
	v_mul_f32_e32 v11, s22, v30
	flat_store_b64 v[6:7], v[8:9]
	flat_load_b64 v[8:9], v[12:13] offset:128
	v_fma_f32 v10, v29, s22, -v10
	v_fmac_f32_e32 v11, s23, v29
	s_wait_loadcnt_dscnt 0x0
	v_mul_f32_e32 v14, s35, v9
	v_mul_f32_e32 v9, s34, v9
	s_delay_alu instid0(VALU_DEP_2) | instskip(NEXT) | instid1(VALU_DEP_1)
	v_fma_f32 v14, v8, s34, -v14
	v_dual_fmac_f32 v9, s35, v8 :: v_dual_add_f32 v8, v10, v14
	s_delay_alu instid0(VALU_DEP_1)
	v_dual_add_f32 v9, v11, v9 :: v_dual_mul_f32 v10, s23, v28
	v_mul_f32_e32 v11, s22, v28
	flat_store_b64 v[6:7], v[8:9] offset:128
	flat_load_b64 v[8:9], v[12:13] offset:256
	v_fma_f32 v10, v27, s22, -v10
	s_wait_loadcnt_dscnt 0x0
	v_dual_fmac_f32 v11, s23, v27 :: v_dual_mul_f32 v14, s35, v9
	v_mul_f32_e32 v9, s34, v9
	s_delay_alu instid0(VALU_DEP_2) | instskip(NEXT) | instid1(VALU_DEP_1)
	v_fma_f32 v14, v8, s34, -v14
	v_dual_fmac_f32 v9, s35, v8 :: v_dual_add_f32 v8, v10, v14
	s_delay_alu instid0(VALU_DEP_1)
	v_dual_add_f32 v9, v11, v9 :: v_dual_mul_f32 v10, s23, v26
	v_mul_f32_e32 v11, s22, v26
	flat_store_b64 v[6:7], v[8:9] offset:256
	flat_load_b64 v[8:9], v[12:13] offset:384
	v_fma_f32 v10, v25, s22, -v10
	v_fmac_f32_e32 v11, s23, v25
	s_wait_loadcnt_dscnt 0x0
	v_mul_f32_e32 v12, s35, v9
	v_mul_f32_e32 v9, s34, v9
	s_delay_alu instid0(VALU_DEP_2) | instskip(NEXT) | instid1(VALU_DEP_2)
	v_fma_f32 v12, v8, s34, -v12
	v_fmac_f32_e32 v9, s35, v8
	v_add_co_u32 v8, vcc_lo, 0x180, v6
	s_delay_alu instid0(VALU_DEP_3) | instskip(NEXT) | instid1(VALU_DEP_3)
	v_add_f32_e32 v10, v10, v12
	v_add_f32_e32 v12, v11, v9
	s_wait_alu 0xfffd
	v_add_co_ci_u32_e64 v9, null, 0, v7, vcc_lo
	flat_store_b32 v[6:7], v10 offset:384
	s_branch .LBB235_2
.LBB235_10:
	s_nop 0
	s_sendmsg sendmsg(MSG_DEALLOC_VGPRS)
	s_endpgm
	.section	.rodata,"a",@progbits
	.p2align	6, 0x0
	.amdhsa_kernel _ZN12_GLOBAL__N_127rocblas_gemm_batched_kernelI19rocblas_complex_numIfELi16ELi16ELi64ELi64ELi4ELi64ELi4ELi4ELi64ELc84ELc78EKPKS2_S5_KPS2_EEvlllT_PT11_llSA_llS8_PT12_llPT13_lli
		.amdhsa_group_segment_fixed_size 4096
		.amdhsa_private_segment_fixed_size 0
		.amdhsa_kernarg_size 140
		.amdhsa_user_sgpr_count 2
		.amdhsa_user_sgpr_dispatch_ptr 0
		.amdhsa_user_sgpr_queue_ptr 0
		.amdhsa_user_sgpr_kernarg_segment_ptr 1
		.amdhsa_user_sgpr_dispatch_id 0
		.amdhsa_user_sgpr_private_segment_size 0
		.amdhsa_wavefront_size32 1
		.amdhsa_uses_dynamic_stack 0
		.amdhsa_enable_private_segment 0
		.amdhsa_system_sgpr_workgroup_id_x 1
		.amdhsa_system_sgpr_workgroup_id_y 1
		.amdhsa_system_sgpr_workgroup_id_z 1
		.amdhsa_system_sgpr_workgroup_info 0
		.amdhsa_system_vgpr_workitem_id 1
		.amdhsa_next_free_vgpr 201
		.amdhsa_next_free_sgpr 38
		.amdhsa_reserve_vcc 1
		.amdhsa_float_round_mode_32 0
		.amdhsa_float_round_mode_16_64 0
		.amdhsa_float_denorm_mode_32 3
		.amdhsa_float_denorm_mode_16_64 3
		.amdhsa_fp16_overflow 0
		.amdhsa_workgroup_processor_mode 1
		.amdhsa_memory_ordered 1
		.amdhsa_forward_progress 1
		.amdhsa_inst_pref_size 44
		.amdhsa_round_robin_scheduling 0
		.amdhsa_exception_fp_ieee_invalid_op 0
		.amdhsa_exception_fp_denorm_src 0
		.amdhsa_exception_fp_ieee_div_zero 0
		.amdhsa_exception_fp_ieee_overflow 0
		.amdhsa_exception_fp_ieee_underflow 0
		.amdhsa_exception_fp_ieee_inexact 0
		.amdhsa_exception_int_div_zero 0
	.end_amdhsa_kernel
	.section	.text._ZN12_GLOBAL__N_127rocblas_gemm_batched_kernelI19rocblas_complex_numIfELi16ELi16ELi64ELi64ELi4ELi64ELi4ELi4ELi64ELc84ELc78EKPKS2_S5_KPS2_EEvlllT_PT11_llSA_llS8_PT12_llPT13_lli,"axG",@progbits,_ZN12_GLOBAL__N_127rocblas_gemm_batched_kernelI19rocblas_complex_numIfELi16ELi16ELi64ELi64ELi4ELi64ELi4ELi4ELi64ELc84ELc78EKPKS2_S5_KPS2_EEvlllT_PT11_llSA_llS8_PT12_llPT13_lli,comdat
.Lfunc_end235:
	.size	_ZN12_GLOBAL__N_127rocblas_gemm_batched_kernelI19rocblas_complex_numIfELi16ELi16ELi64ELi64ELi4ELi64ELi4ELi4ELi64ELc84ELc78EKPKS2_S5_KPS2_EEvlllT_PT11_llSA_llS8_PT12_llPT13_lli, .Lfunc_end235-_ZN12_GLOBAL__N_127rocblas_gemm_batched_kernelI19rocblas_complex_numIfELi16ELi16ELi64ELi64ELi4ELi64ELi4ELi4ELi64ELc84ELc78EKPKS2_S5_KPS2_EEvlllT_PT11_llSA_llS8_PT12_llPT13_lli
                                        ; -- End function
	.set _ZN12_GLOBAL__N_127rocblas_gemm_batched_kernelI19rocblas_complex_numIfELi16ELi16ELi64ELi64ELi4ELi64ELi4ELi4ELi64ELc84ELc78EKPKS2_S5_KPS2_EEvlllT_PT11_llSA_llS8_PT12_llPT13_lli.num_vgpr, 201
	.set _ZN12_GLOBAL__N_127rocblas_gemm_batched_kernelI19rocblas_complex_numIfELi16ELi16ELi64ELi64ELi4ELi64ELi4ELi4ELi64ELc84ELc78EKPKS2_S5_KPS2_EEvlllT_PT11_llSA_llS8_PT12_llPT13_lli.num_agpr, 0
	.set _ZN12_GLOBAL__N_127rocblas_gemm_batched_kernelI19rocblas_complex_numIfELi16ELi16ELi64ELi64ELi4ELi64ELi4ELi4ELi64ELc84ELc78EKPKS2_S5_KPS2_EEvlllT_PT11_llSA_llS8_PT12_llPT13_lli.numbered_sgpr, 38
	.set _ZN12_GLOBAL__N_127rocblas_gemm_batched_kernelI19rocblas_complex_numIfELi16ELi16ELi64ELi64ELi4ELi64ELi4ELi4ELi64ELc84ELc78EKPKS2_S5_KPS2_EEvlllT_PT11_llSA_llS8_PT12_llPT13_lli.num_named_barrier, 0
	.set _ZN12_GLOBAL__N_127rocblas_gemm_batched_kernelI19rocblas_complex_numIfELi16ELi16ELi64ELi64ELi4ELi64ELi4ELi4ELi64ELc84ELc78EKPKS2_S5_KPS2_EEvlllT_PT11_llSA_llS8_PT12_llPT13_lli.private_seg_size, 0
	.set _ZN12_GLOBAL__N_127rocblas_gemm_batched_kernelI19rocblas_complex_numIfELi16ELi16ELi64ELi64ELi4ELi64ELi4ELi4ELi64ELc84ELc78EKPKS2_S5_KPS2_EEvlllT_PT11_llSA_llS8_PT12_llPT13_lli.uses_vcc, 1
	.set _ZN12_GLOBAL__N_127rocblas_gemm_batched_kernelI19rocblas_complex_numIfELi16ELi16ELi64ELi64ELi4ELi64ELi4ELi4ELi64ELc84ELc78EKPKS2_S5_KPS2_EEvlllT_PT11_llSA_llS8_PT12_llPT13_lli.uses_flat_scratch, 1
	.set _ZN12_GLOBAL__N_127rocblas_gemm_batched_kernelI19rocblas_complex_numIfELi16ELi16ELi64ELi64ELi4ELi64ELi4ELi4ELi64ELc84ELc78EKPKS2_S5_KPS2_EEvlllT_PT11_llSA_llS8_PT12_llPT13_lli.has_dyn_sized_stack, 0
	.set _ZN12_GLOBAL__N_127rocblas_gemm_batched_kernelI19rocblas_complex_numIfELi16ELi16ELi64ELi64ELi4ELi64ELi4ELi4ELi64ELc84ELc78EKPKS2_S5_KPS2_EEvlllT_PT11_llSA_llS8_PT12_llPT13_lli.has_recursion, 0
	.set _ZN12_GLOBAL__N_127rocblas_gemm_batched_kernelI19rocblas_complex_numIfELi16ELi16ELi64ELi64ELi4ELi64ELi4ELi4ELi64ELc84ELc78EKPKS2_S5_KPS2_EEvlllT_PT11_llSA_llS8_PT12_llPT13_lli.has_indirect_call, 0
	.section	.AMDGPU.csdata,"",@progbits
; Kernel info:
; codeLenInByte = 5600
; TotalNumSgprs: 40
; NumVgprs: 201
; ScratchSize: 0
; MemoryBound: 0
; FloatMode: 240
; IeeeMode: 1
; LDSByteSize: 4096 bytes/workgroup (compile time only)
; SGPRBlocks: 0
; VGPRBlocks: 25
; NumSGPRsForWavesPerEU: 40
; NumVGPRsForWavesPerEU: 201
; Occupancy: 7
; WaveLimiterHint : 1
; COMPUTE_PGM_RSRC2:SCRATCH_EN: 0
; COMPUTE_PGM_RSRC2:USER_SGPR: 2
; COMPUTE_PGM_RSRC2:TRAP_HANDLER: 0
; COMPUTE_PGM_RSRC2:TGID_X_EN: 1
; COMPUTE_PGM_RSRC2:TGID_Y_EN: 1
; COMPUTE_PGM_RSRC2:TGID_Z_EN: 1
; COMPUTE_PGM_RSRC2:TIDIG_COMP_CNT: 1
	.section	.text._ZN12_GLOBAL__N_127rocblas_gemm_batched_kernelI19rocblas_complex_numIfELi16ELi16ELi64ELi64ELi4ELi64ELi4ELi4ELi64ELc78ELc84EKPKS2_S5_KPS2_EEvlllT_PT11_llSA_llS8_PT12_llPT13_lli,"axG",@progbits,_ZN12_GLOBAL__N_127rocblas_gemm_batched_kernelI19rocblas_complex_numIfELi16ELi16ELi64ELi64ELi4ELi64ELi4ELi4ELi64ELc78ELc84EKPKS2_S5_KPS2_EEvlllT_PT11_llSA_llS8_PT12_llPT13_lli,comdat
	.globl	_ZN12_GLOBAL__N_127rocblas_gemm_batched_kernelI19rocblas_complex_numIfELi16ELi16ELi64ELi64ELi4ELi64ELi4ELi4ELi64ELc78ELc84EKPKS2_S5_KPS2_EEvlllT_PT11_llSA_llS8_PT12_llPT13_lli ; -- Begin function _ZN12_GLOBAL__N_127rocblas_gemm_batched_kernelI19rocblas_complex_numIfELi16ELi16ELi64ELi64ELi4ELi64ELi4ELi4ELi64ELc78ELc84EKPKS2_S5_KPS2_EEvlllT_PT11_llSA_llS8_PT12_llPT13_lli
	.p2align	8
	.type	_ZN12_GLOBAL__N_127rocblas_gemm_batched_kernelI19rocblas_complex_numIfELi16ELi16ELi64ELi64ELi4ELi64ELi4ELi4ELi64ELc78ELc84EKPKS2_S5_KPS2_EEvlllT_PT11_llSA_llS8_PT12_llPT13_lli,@function
_ZN12_GLOBAL__N_127rocblas_gemm_batched_kernelI19rocblas_complex_numIfELi16ELi16ELi64ELi64ELi4ELi64ELi4ELi4ELi64ELc78ELc84EKPKS2_S5_KPS2_EEvlllT_PT11_llSA_llS8_PT12_llPT13_lli: ; @_ZN12_GLOBAL__N_127rocblas_gemm_batched_kernelI19rocblas_complex_numIfELi16ELi16ELi64ELi64ELi4ELi64ELi4ELi4ELi64ELc78ELc84EKPKS2_S5_KPS2_EEvlllT_PT11_llSA_llS8_PT12_llPT13_lli
; %bb.0:
	s_load_b32 s33, s[0:1], 0x88
	s_lshr_b32 s2, ttmp7, 16
	s_wait_kmcnt 0x0
	s_cmp_ge_i32 s2, s33
	s_cbranch_scc1 .LBB236_10
; %bb.1:
	s_clause 0x4
	s_load_b128 s[20:23], s[0:1], 0x10
	s_load_b256 s[4:11], s[0:1], 0x20
	s_load_b64 s[34:35], s[0:1], 0x50
	s_load_b128 s[28:31], s[0:1], 0x78
	s_load_b256 s[12:19], s[0:1], 0x58
	v_and_b32_e32 v12, 0x3ff, v0
	v_bfe_u32 v10, v0, 10, 10
	s_load_b128 s[24:27], s[0:1], 0x40
	s_lshl_b32 s3, ttmp7, 6
	s_mov_b32 s36, ttmp9
	s_and_b32 s38, s3, 0x3fffc0
	v_lshl_add_u32 v2, v10, 4, v12
	v_add_nc_u32_e32 v14, s38, v10
	s_ashr_i32 s37, ttmp9, 31
	v_mov_b32_e32 v16, 0
	s_lshl_b64 s[0:1], s[36:37], 6
	v_lshrrev_b32_e32 v3, 2, v2
	v_lshrrev_b32_e32 v11, 6, v2
	v_and_b32_e32 v13, 63, v2
	v_lshl_add_u32 v20, v10, 5, 0x800
	s_wait_kmcnt 0x0
	s_or_b32 s36, s34, s35
	v_mad_co_u64_u32 v[8:9], null, v14, s14, 0
	v_and_b32_e32 v6, 3, v0
	v_add_co_u32 v0, s3, v3, s38
	s_delay_alu instid0(VALU_DEP_1)
	v_add_co_ci_u32_e64 v1, null, 0, 0, s3
	s_bitset0_b32 s36, 31
	s_mov_b32 s3, 0
	s_cmp_eq_u32 s36, 0
	v_mad_co_u64_u32 v[4:5], null, s24, v6, v[0:1]
	v_lshlrev_b32_e32 v1, 3, v6
	s_cselect_b32 s36, -1, 0
	s_lshl_b64 s[38:39], s[14:15], 4
	s_lshl_b64 s[16:17], s[16:17], 3
	s_delay_alu instid0(VALU_DEP_2) | instskip(SKIP_1) | instid1(VALU_DEP_1)
	v_mov_b32_e32 v0, v5
	v_lshl_or_b32 v1, v3, 5, v1
	v_mad_co_u64_u32 v[2:3], null, s25, v6, v[0:1]
	v_mad_co_u64_u32 v[6:7], null, s6, v11, s[0:1]
	v_lshlrev_b32_e32 v5, 3, v13
	v_dual_mov_b32 v3, v9 :: v_dual_add_nc_u32 v18, 0x800, v1
	s_delay_alu instid0(VALU_DEP_2) | instskip(NEXT) | instid1(VALU_DEP_4)
	v_lshl_or_b32 v17, v11, 9, v5
	v_dual_mov_b32 v5, v2 :: v_dual_mov_b32 v2, v7
	v_add_co_u32 v6, vcc_lo, v6, v13
	v_lshlrev_b32_e32 v19, 3, v12
	s_delay_alu instid0(VALU_DEP_3) | instskip(SKIP_4) | instid1(VALU_DEP_3)
	v_mad_co_u64_u32 v[9:10], null, s7, v11, v[2:3]
	v_mad_co_u64_u32 v[10:11], null, v14, s15, v[3:4]
	v_lshlrev_b64_e32 v[4:5], 3, v[4:5]
	s_lshl_b64 s[6:7], s[6:7], 5
	s_lshl_b64 s[14:15], s[30:31], 3
	v_add_co_ci_u32_e64 v7, null, 0, v9, vcc_lo
	s_delay_alu instid0(VALU_DEP_3) | instskip(SKIP_1) | instid1(VALU_DEP_3)
	v_mov_b32_e32 v9, v10
	v_mad_co_u64_u32 v[0:1], null, v14, s28, 0
	v_lshlrev_b64_e32 v[6:7], 3, v[6:7]
	s_delay_alu instid0(VALU_DEP_2)
	v_mad_co_u64_u32 v[1:2], null, v14, s29, v[1:2]
	v_add_co_u32 v2, s0, s0, v12
	s_wait_alu 0xf1ff
	v_add_co_ci_u32_e64 v3, null, s1, 0, s0
	s_lshl_b64 s[0:1], s[8:9], 3
	v_cmp_gt_i64_e64 s8, s[20:21], 0
	s_wait_alu 0xfffe
	v_add_co_u32 v21, vcc_lo, s0, v6
	s_wait_alu 0xfffd
	v_add_co_ci_u32_e64 v22, null, s1, v7, vcc_lo
	s_lshl_b64 s[0:1], s[26:27], 3
	v_cndmask_b32_e64 v6, 0, 1, s8
	s_wait_alu 0xfffe
	v_add_co_u32 v23, vcc_lo, s0, v4
	s_wait_alu 0xfffd
	v_add_co_ci_u32_e64 v24, null, s1, v5, vcc_lo
	v_lshlrev_b64_e32 v[4:5], 3, v[8:9]
	v_cmp_ne_u32_e64 s0, 1, v6
	s_lshl_b64 s[28:29], s[28:29], 4
	s_lshl_b64 s[8:9], s[24:25], 5
	;; [unrolled: 1-line block ×3, first 2 shown]
	s_wait_alu 0xfffe
	s_lshl_b64 s[26:27], s[28:29], 3
	s_branch .LBB236_3
.LBB236_2:                              ;   in Loop: Header=BB236_3 Depth=1
	s_add_co_i32 s2, s2, 0x10000
	flat_store_b32 v[8:9], v12 offset:4
	s_wait_alu 0xfffe
	s_cmp_lt_i32 s2, s33
	s_cbranch_scc0 .LBB236_10
.LBB236_3:                              ; =>This Loop Header: Depth=1
                                        ;     Child Loop BB236_5 Depth 2
	s_lshl_b64 s[28:29], s[2:3], 3
	v_dual_mov_b32 v56, 0 :: v_dual_mov_b32 v55, 0
	s_wait_alu 0xfffe
	s_add_nc_u64 s[30:31], s[12:13], s[28:29]
	s_add_nc_u64 s[38:39], s[18:19], s[28:29]
	s_clause 0x1
	global_load_b64 v[6:7], v16, s[30:31]
	global_load_b64 v[8:9], v16, s[38:39]
	v_dual_mov_b32 v53, 0 :: v_dual_mov_b32 v54, 0
	v_dual_mov_b32 v51, 0 :: v_dual_mov_b32 v52, 0
	;; [unrolled: 1-line block ×15, first 2 shown]
	s_and_b32 vcc_lo, exec_lo, s0
	s_wait_alu 0xfffe
	s_cbranch_vccnz .LBB236_6
; %bb.4:                                ;   in Loop: Header=BB236_3 Depth=1
	s_add_nc_u64 s[30:31], s[4:5], s[28:29]
	s_add_nc_u64 s[28:29], s[10:11], s[28:29]
	s_clause 0x1
	global_load_b64 v[10:11], v16, s[30:31]
	global_load_b64 v[12:13], v16, s[28:29]
	v_dual_mov_b32 v26, 0 :: v_dual_mov_b32 v25, 0
	v_dual_mov_b32 v28, 0 :: v_dual_mov_b32 v27, 0
	;; [unrolled: 1-line block ×16, first 2 shown]
	s_mov_b64 s[28:29], 0
	s_wait_loadcnt 0x1
	v_add_co_u32 v10, vcc_lo, v10, v21
	s_wait_alu 0xfffd
	v_add_co_ci_u32_e64 v11, null, v11, v22, vcc_lo
	s_wait_loadcnt 0x0
	v_add_co_u32 v12, vcc_lo, v12, v23
	s_wait_alu 0xfffd
	v_add_co_ci_u32_e64 v13, null, v13, v24, vcc_lo
.LBB236_5:                              ;   Parent Loop BB236_3 Depth=1
                                        ; =>  This Inner Loop Header: Depth=2
	flat_load_b64 v[14:15], v[10:11]
	s_wait_alu 0xfffe
	s_add_nc_u64 s[28:29], s[28:29], 4
	v_add_co_u32 v10, vcc_lo, v10, s6
	s_wait_alu 0xfffe
	v_cmp_lt_i64_e64 s1, s[28:29], s[20:21]
	s_wait_alu 0xfffd
	v_add_co_ci_u32_e64 v11, null, s7, v11, vcc_lo
	s_and_b32 vcc_lo, exec_lo, s1
	s_wait_loadcnt_dscnt 0x0
	ds_store_b64 v17, v[14:15]
	flat_load_b64 v[14:15], v[12:13]
	v_add_co_u32 v12, s1, v12, s8
	s_wait_alu 0xf1ff
	v_add_co_ci_u32_e64 v13, null, s9, v13, s1
	s_wait_loadcnt_dscnt 0x0
	ds_store_b64 v18, v[14:15]
	s_wait_dscnt 0x0
	s_barrier_signal -1
	s_barrier_wait -1
	global_inv scope:SCOPE_SE
	ds_load_2addr_b64 v[57:60], v19 offset1:16
	ds_load_b128 v[61:64], v20
	ds_load_b128 v[65:68], v20 offset:16
	ds_load_b128 v[69:72], v20 offset:512
	ds_load_b128 v[73:76], v20 offset:528
	ds_load_b128 v[77:80], v20 offset:1024
	ds_load_b128 v[81:84], v20 offset:1040
	ds_load_b128 v[85:88], v20 offset:1536
	ds_load_b128 v[89:92], v20 offset:1552
	ds_load_2addr_b64 v[93:96], v19 offset0:32 offset1:48
	ds_load_2addr_b64 v[97:100], v19 offset0:64 offset1:80
	;; [unrolled: 1-line block ×7, first 2 shown]
	s_wait_loadcnt_dscnt 0x0
	s_barrier_signal -1
	s_barrier_wait -1
	global_inv scope:SCOPE_SE
	v_mul_f32_e32 v15, v61, v58
	v_dual_mul_f32 v122, v61, v60 :: v_dual_mul_f32 v123, v70, v58
	v_mul_f32_e32 v14, v62, v58
	v_dual_mul_f32 v121, v62, v60 :: v_dual_mul_f32 v124, v69, v58
	v_dual_mul_f32 v125, v70, v60 :: v_dual_mul_f32 v128, v77, v58
	;; [unrolled: 1-line block ×5, first 2 shown]
	v_mul_f32_e32 v129, v78, v60
	v_dual_mul_f32 v130, v77, v60 :: v_dual_mul_f32 v131, v86, v58
	v_mul_f32_e32 v58, v85, v58
	v_mul_f32_e32 v132, v86, v60
	v_dual_mul_f32 v60, v85, v60 :: v_dual_mul_f32 v133, v62, v94
	v_dual_mul_f32 v138, v69, v94 :: v_dual_mul_f32 v139, v70, v96
	;; [unrolled: 1-line block ×9, first 2 shown]
	v_mul_f32_e32 v149, v64, v100
	v_dual_mul_f32 v150, v63, v100 :: v_dual_mul_f32 v155, v72, v98
	v_dual_mul_f32 v152, v63, v102 :: v_dual_mul_f32 v161, v72, v104
	;; [unrolled: 1-line block ×11, first 2 shown]
	v_dual_mul_f32 v176, v65, v106 :: v_dual_fmac_f32 v15, v62, v57
	v_fmac_f32_e32 v122, v62, v59
	v_fma_f32 v123, v69, v57, -v123
	v_dual_fmac_f32 v134, v62, v93 :: v_dual_mul_f32 v197, v84, v116
	v_fmac_f32_e32 v136, v62, v95
	v_fma_f32 v62, v69, v93, -v137
	v_dual_mul_f32 v166, v79, v100 :: v_dual_mul_f32 v171, v88, v98
	v_dual_mul_f32 v98, v87, v98 :: v_dual_mul_f32 v185, v82, v108
	;; [unrolled: 1-line block ×8, first 2 shown]
	v_mul_f32_e32 v182, v73, v108
	v_mul_f32_e32 v186, v81, v108
	;; [unrolled: 1-line block ×6, first 2 shown]
	v_fma_f32 v14, v61, v57, -v14
	v_fma_f32 v121, v61, v59, -v121
	v_fmac_f32_e32 v124, v70, v57
	v_fma_f32 v125, v69, v59, -v125
	v_fmac_f32_e32 v126, v70, v59
	;; [unrolled: 2-line block ×6, first 2 shown]
	v_mul_f32_e32 v59, v74, v110
	v_mul_f32_e32 v132, v73, v110
	v_fma_f32 v133, v61, v93, -v133
	v_fma_f32 v61, v61, v95, -v135
	v_dual_fmac_f32 v138, v70, v93 :: v_dual_mul_f32 v199, v84, v120
	v_fma_f32 v69, v69, v95, -v139
	v_fmac_f32_e32 v140, v70, v95
	v_fma_f32 v70, v77, v93, -v141
	v_fma_f32 v77, v77, v95, -v143
	v_mul_f32_e32 v135, v81, v112
	v_fma_f32 v137, v63, v97, -v147
	v_fmac_f32_e32 v148, v64, v97
	v_fma_f32 v139, v63, v99, -v149
	v_fma_f32 v141, v63, v101, -v151
	v_fmac_f32_e32 v152, v64, v101
	v_fma_f32 v63, v63, v103, -v153
	v_dual_fmac_f32 v154, v64, v103 :: v_dual_add_f32 v53, v53, v121
	v_dual_fmac_f32 v156, v72, v97 :: v_dual_add_f32 v15, v55, v15
	v_fma_f32 v147, v71, v101, -v159
	v_dual_fmac_f32 v160, v72, v101 :: v_dual_add_f32 v47, v47, v123
	v_dual_mul_f32 v149, v67, v114 :: v_dual_fmac_f32 v144, v78, v95
	v_dual_mul_f32 v153, v67, v116 :: v_dual_fmac_f32 v142, v78, v93
	v_fma_f32 v78, v85, v93, -v145
	v_fma_f32 v85, v85, v95, -v146
	;; [unrolled: 1-line block ×6, first 2 shown]
	v_dual_fmac_f32 v164, v80, v97 :: v_dual_add_f32 v43, v43, v62
	v_fma_f32 v157, v79, v99, -v165
	v_fma_f32 v159, v79, v101, -v167
	v_dual_fmac_f32 v168, v80, v101 :: v_dual_add_f32 v39, v39, v127
	v_fma_f32 v79, v79, v103, -v169
	v_dual_mul_f32 v161, v67, v118 :: v_dual_fmac_f32 v96, v86, v95
	v_dual_mul_f32 v165, v67, v120 :: v_dual_fmac_f32 v94, v86, v93
	v_mul_f32_e32 v86, v82, v110
	v_dual_mul_f32 v93, v81, v110 :: v_dual_fmac_f32 v150, v64, v99
	v_mul_f32_e32 v169, v75, v114
	v_mul_f32_e32 v64, v90, v110
	v_fma_f32 v173, v87, v101, -v173
	v_dual_fmac_f32 v102, v88, v101 :: v_dual_add_f32 v31, v31, v131
	v_mul_f32_e32 v101, v75, v118
	v_mul_f32_e32 v110, v89, v110
	v_dual_mul_f32 v184, v81, v106 :: v_dual_mul_f32 v95, v82, v112
	v_dual_mul_f32 v106, v89, v106 :: v_dual_mul_f32 v143, v90, v112
	;; [unrolled: 1-line block ×3, first 2 shown]
	v_dual_fmac_f32 v158, v72, v99 :: v_dual_add_f32 v51, v51, v133
	v_dual_fmac_f32 v162, v72, v103 :: v_dual_add_f32 v49, v49, v61
	v_dual_mul_f32 v72, v68, v114 :: v_dual_add_f32 v45, v45, v125
	v_mul_f32_e32 v151, v68, v116
	v_dual_fmac_f32 v166, v80, v99 :: v_dual_add_f32 v41, v41, v69
	v_dual_fmac_f32 v170, v80, v103 :: v_dual_add_f32 v37, v37, v129
	v_dual_mul_f32 v80, v68, v118 :: v_dual_add_f32 v33, v33, v77
	v_fma_f32 v167, v87, v97, -v171
	v_dual_fmac_f32 v98, v88, v97 :: v_dual_add_f32 v35, v35, v70
	v_fma_f32 v97, v87, v99, -v172
	v_dual_fmac_f32 v100, v88, v99 :: v_dual_add_f32 v29, v29, v57
	v_dual_mul_f32 v99, v76, v114 :: v_dual_mul_f32 v172, v75, v116
	v_add_f32_e32 v25, v25, v85
	v_fma_f32 v87, v87, v103, -v174
	v_dual_fmac_f32 v104, v88, v103 :: v_dual_add_f32 v27, v27, v78
	v_dual_mul_f32 v103, v76, v120 :: v_dual_fmac_f32 v176, v66, v105
	v_add_f32_e32 v43, v43, v147
	v_dual_fmac_f32 v178, v66, v107 :: v_dual_add_f32 v51, v51, v141
	v_fma_f32 v179, v73, v105, -v179
	v_fma_f32 v181, v73, v107, -v181
	v_dual_fmac_f32 v182, v74, v107 :: v_dual_add_f32 v47, v47, v145
	v_fma_f32 v189, v65, v109, -v189
	v_dual_fmac_f32 v190, v66, v109 :: v_dual_add_f32 v31, v31, v167
	v_dual_fmac_f32 v192, v66, v111 :: v_dual_add_f32 v27, v27, v173
	v_fma_f32 v59, v73, v109, -v59
	v_fma_f32 v66, v73, v111, -v193
	;; [unrolled: 1-line block ×3, first 2 shown]
	v_fmac_f32_e32 v93, v82, v109
	v_dual_fmac_f32 v135, v82, v111 :: v_dual_mul_f32 v88, v76, v118
	v_dual_add_f32 v15, v15, v148 :: v_dual_fmac_f32 v132, v74, v109
	v_fmac_f32_e32 v169, v76, v113
	v_fma_f32 v64, v89, v109, -v64
	v_fmac_f32_e32 v101, v76, v117
	v_dual_fmac_f32 v110, v90, v109 :: v_dual_add_f32 v47, v47, v179
	v_dual_mul_f32 v109, v91, v118 :: v_dual_mul_f32 v112, v89, v112
	v_mul_f32_e32 v163, v68, v120
	v_mul_f32_e32 v171, v76, v116
	v_dual_mul_f32 v174, v75, v120 :: v_dual_add_f32 v53, v53, v139
	v_dual_mul_f32 v196, v83, v114 :: v_dual_add_f32 v49, v49, v63
	;; [unrolled: 1-line block ×3, first 2 shown]
	v_fma_f32 v175, v65, v105, -v175
	v_fma_f32 v177, v65, v107, -v177
	v_dual_fmac_f32 v180, v74, v105 :: v_dual_add_f32 v41, v41, v71
	v_fma_f32 v183, v81, v105, -v183
	v_dual_fmac_f32 v184, v82, v105 :: v_dual_add_f32 v39, v39, v155
	;; [unrolled: 2-line block ×5, first 2 shown]
	v_mul_f32_e32 v107, v84, v118
	v_dual_mul_f32 v188, v83, v118 :: v_dual_add_f32 v33, v33, v79
	v_dual_mul_f32 v200, v83, v120 :: v_dual_add_f32 v25, v25, v87
	v_fma_f32 v65, v65, v111, -v191
	v_dual_fmac_f32 v194, v74, v111 :: v_dual_add_f32 v53, v53, v177
	v_fma_f32 v74, v81, v111, -v95
	v_fma_f32 v81, v89, v111, -v143
	s_delay_alu instid0(VALU_DEP_4)
	v_dual_mul_f32 v82, v92, v114 :: v_dual_add_f32 v49, v49, v65
	v_mul_f32_e32 v89, v92, v116
	v_fmac_f32_e32 v149, v68, v113
	v_fmac_f32_e32 v153, v68, v115
	v_fmac_f32_e32 v161, v68, v117
	v_fmac_f32_e32 v165, v68, v119
	v_dual_mul_f32 v68, v92, v118 :: v_dual_add_f32 v43, v43, v59
	v_dual_fmac_f32 v109, v92, v117 :: v_dual_fmac_f32 v112, v90, v111
	v_add_f32_e32 v51, v51, v189
	v_dual_mul_f32 v90, v91, v116 :: v_dual_add_f32 v41, v41, v66
	v_dual_mul_f32 v111, v92, v120 :: v_dual_mul_f32 v86, v91, v114
	v_add_f32_e32 v45, v45, v181
	v_fma_f32 v72, v67, v113, -v72
	v_fma_f32 v95, v67, v115, -v151
	;; [unrolled: 1-line block ×4, first 2 shown]
	v_dual_mul_f32 v114, v91, v120 :: v_dual_add_f32 v37, v37, v185
	v_fma_f32 v99, v75, v113, -v99
	v_fma_f32 v116, v75, v115, -v171
	v_dual_fmac_f32 v172, v76, v115 :: v_dual_add_f32 v35, v35, v73
	v_fma_f32 v88, v75, v117, -v88
	v_fma_f32 v75, v75, v119, -v103
	v_dual_fmac_f32 v174, v76, v119 :: v_dual_add_f32 v33, v33, v74
	v_fma_f32 v76, v83, v113, -v195
	v_dual_fmac_f32 v196, v84, v113 :: v_dual_add_f32 v39, v39, v183
	;; [unrolled: 2-line block ×5, first 2 shown]
	v_fma_f32 v82, v91, v113, -v82
	v_fma_f32 v84, v91, v115, -v89
	v_dual_fmac_f32 v90, v92, v115 :: v_dual_add_f32 v25, v25, v81
	v_fma_f32 v68, v91, v117, -v68
	v_fma_f32 v89, v91, v119, -v111
	v_dual_add_f32 v14, v56, v14 :: v_dual_add_f32 v51, v51, v80
	v_dual_add_f32 v54, v54, v122 :: v_dual_add_f32 v49, v49, v67
	;; [unrolled: 1-line block ×14, first 2 shown]
	v_add_f32_e32 v28, v28, v94
	v_add_f32_e32 v26, v26, v96
	;; [unrolled: 1-line block ×18, first 2 shown]
	v_dual_fmac_f32 v86, v92, v113 :: v_dual_add_f32 v53, v53, v95
	v_dual_add_f32 v14, v14, v175 :: v_dual_add_f32 v15, v15, v176
	v_fmac_f32_e32 v114, v92, v119
	v_add_f32_e32 v54, v54, v178
	v_add_f32_e32 v52, v52, v190
	;; [unrolled: 1-line block ×15, first 2 shown]
	v_dual_add_f32 v56, v14, v72 :: v_dual_add_f32 v55, v15, v149
	v_add_f32_e32 v54, v54, v153
	v_add_f32_e32 v52, v52, v161
	;; [unrolled: 1-line block ×15, first 2 shown]
	s_wait_alu 0xfffe
	s_cbranch_vccnz .LBB236_5
.LBB236_6:                              ;   in Loop: Header=BB236_3 Depth=1
	s_wait_loadcnt 0x0
	v_add_co_u32 v10, vcc_lo, v8, s14
	s_wait_alu 0xfffd
	v_add_co_ci_u32_e64 v11, null, s15, v9, vcc_lo
	s_and_not1_b32 vcc_lo, exec_lo, s36
	s_mov_b32 s1, -1
                                        ; implicit-def: $vgpr12
                                        ; implicit-def: $vgpr8_vgpr9
	s_wait_alu 0xfffe
	s_cbranch_vccz .LBB236_8
; %bb.7:                                ;   in Loop: Header=BB236_3 Depth=1
	s_and_not1_b32 vcc_lo, exec_lo, s1
	s_wait_alu 0xfffe
	s_cbranch_vccnz .LBB236_2
	s_branch .LBB236_9
.LBB236_8:                              ;   in Loop: Header=BB236_3 Depth=1
	v_lshlrev_b64_e32 v[8:9], 3, v[0:1]
	v_lshlrev_b64_e32 v[14:15], 3, v[2:3]
	v_dual_mul_f32 v13, s22, v55 :: v_dual_mul_f32 v58, s22, v54
	v_dual_mul_f32 v12, s23, v55 :: v_dual_mul_f32 v57, s23, v54
	v_mul_f32_e32 v60, s22, v52
	v_add_co_u32 v63, vcc_lo, v10, v8
	s_wait_alu 0xfffd
	v_add_co_ci_u32_e64 v64, null, v11, v9, vcc_lo
	v_dual_mul_f32 v59, s23, v52 :: v_dual_mul_f32 v62, s22, v50
	s_delay_alu instid0(VALU_DEP_3)
	v_add_co_u32 v8, vcc_lo, v63, v14
	v_dual_mul_f32 v61, s23, v50 :: v_dual_fmac_f32 v58, s23, v53
	v_fmac_f32_e32 v13, s23, v56
	v_fma_f32 v12, v56, s22, -v12
	s_wait_alu 0xfffd
	v_add_co_ci_u32_e64 v9, null, v64, v15, vcc_lo
	v_add_co_u32 v63, vcc_lo, v63, s26
	v_fma_f32 v57, v53, s22, -v57
	v_fma_f32 v59, v51, s22, -v59
	v_fmac_f32_e32 v60, s23, v51
	s_wait_alu 0xfffd
	v_add_co_ci_u32_e64 v65, null, s27, v64, vcc_lo
	v_fma_f32 v61, v49, s22, -v61
	v_fmac_f32_e32 v62, s23, v49
	s_clause 0x3
	flat_store_b64 v[8:9], v[12:13]
	flat_store_b64 v[8:9], v[57:58] offset:128
	flat_store_b64 v[8:9], v[59:60] offset:256
	;; [unrolled: 1-line block ×3, first 2 shown]
	v_dual_mul_f32 v8, s23, v48 :: v_dual_mul_f32 v57, s23, v46
	v_mul_f32_e32 v9, s22, v48
	v_add_co_u32 v12, vcc_lo, v63, v14
	v_dual_mul_f32 v58, s22, v46 :: v_dual_mul_f32 v59, s23, v44
	v_dual_mul_f32 v60, s22, v44 :: v_dual_mul_f32 v61, s23, v42
	s_wait_alu 0xfffd
	v_add_co_ci_u32_e64 v13, null, v65, v15, vcc_lo
	v_add_co_u32 v73, vcc_lo, v63, s26
	v_dual_mul_f32 v62, s22, v42 :: v_dual_mul_f32 v69, s23, v36
	v_mul_f32_e32 v66, s23, v40
	v_mul_f32_e32 v64, s22, v40
	s_wait_alu 0xfffd
	v_add_co_ci_u32_e64 v74, null, s27, v65, vcc_lo
	v_fma_f32 v8, v47, s22, -v8
	v_dual_fmac_f32 v9, s23, v47 :: v_dual_fmac_f32 v58, s23, v45
	v_dual_mul_f32 v67, s23, v38 :: v_dual_fmac_f32 v60, s23, v43
	v_mul_f32_e32 v71, s23, v34
	v_mul_f32_e32 v68, s22, v38
	;; [unrolled: 1-line block ×4, first 2 shown]
	v_fma_f32 v57, v45, s22, -v57
	v_fma_f32 v59, v43, s22, -v59
	v_add_co_u32 v65, vcc_lo, v73, v14
	v_fma_f32 v61, v41, s22, -v61
	v_fmac_f32_e32 v62, s23, v41
	v_fma_f32 v63, v39, s22, -v66
	v_fmac_f32_e32 v64, s23, v39
	s_wait_alu 0xfffd
	v_add_co_ci_u32_e64 v66, null, v74, v15, vcc_lo
	v_fma_f32 v67, v37, s22, -v67
	v_fmac_f32_e32 v68, s23, v37
	v_fma_f32 v69, v35, s22, -v69
	v_fmac_f32_e32 v70, s23, v35
	;; [unrolled: 2-line block ×3, first 2 shown]
	s_clause 0x7
	flat_store_b64 v[12:13], v[8:9]
	flat_store_b64 v[12:13], v[57:58] offset:128
	flat_store_b64 v[12:13], v[59:60] offset:256
	;; [unrolled: 1-line block ×3, first 2 shown]
	flat_store_b64 v[65:66], v[63:64]
	flat_store_b64 v[65:66], v[67:68] offset:128
	flat_store_b64 v[65:66], v[69:70] offset:256
	;; [unrolled: 1-line block ×3, first 2 shown]
	v_mul_f32_e32 v8, s23, v32
	v_add_co_u32 v9, vcc_lo, v73, s26
	s_wait_alu 0xfffd
	v_add_co_ci_u32_e64 v12, null, s27, v74, vcc_lo
	s_delay_alu instid0(VALU_DEP_3)
	v_fma_f32 v57, v31, s22, -v8
	v_mul_f32_e32 v8, s23, v30
	v_add_co_u32 v13, vcc_lo, v9, v14
	v_mul_f32_e32 v58, s22, v32
	s_wait_alu 0xfffd
	v_add_co_ci_u32_e64 v14, null, v12, v15, vcc_lo
	v_fma_f32 v59, v29, s22, -v8
	v_dual_mul_f32 v8, s23, v28 :: v_dual_mul_f32 v9, s23, v26
	v_mul_f32_e32 v12, s22, v26
	v_mul_f32_e32 v60, s22, v30
	;; [unrolled: 1-line block ×3, first 2 shown]
	s_delay_alu instid0(VALU_DEP_4)
	v_fma_f32 v61, v27, s22, -v8
	v_add_co_u32 v8, vcc_lo, 0x180, v13
	v_fmac_f32_e32 v58, s23, v31
	v_fma_f32 v15, v25, s22, -v9
	v_fmac_f32_e32 v12, s23, v25
	s_wait_alu 0xfffd
	v_add_co_ci_u32_e64 v9, null, 0, v14, vcc_lo
	v_fmac_f32_e32 v60, s23, v29
	v_fmac_f32_e32 v62, s23, v27
	s_clause 0x3
	flat_store_b64 v[13:14], v[57:58]
	flat_store_b64 v[13:14], v[59:60] offset:128
	flat_store_b64 v[13:14], v[61:62] offset:256
	flat_store_b32 v[13:14], v15 offset:384
	s_cbranch_execnz .LBB236_2
.LBB236_9:                              ;   in Loop: Header=BB236_3 Depth=1
	v_add_co_u32 v8, vcc_lo, v6, s16
	s_wait_alu 0xfffd
	v_add_co_ci_u32_e64 v9, null, s17, v7, vcc_lo
	v_lshlrev_b64_e32 v[6:7], 3, v[2:3]
	s_delay_alu instid0(VALU_DEP_3) | instskip(SKIP_1) | instid1(VALU_DEP_3)
	v_add_co_u32 v57, vcc_lo, v8, v4
	s_wait_alu 0xfffd
	v_add_co_ci_u32_e64 v58, null, v9, v5, vcc_lo
	v_lshlrev_b64_e32 v[14:15], 3, v[0:1]
	s_delay_alu instid0(VALU_DEP_3) | instskip(SKIP_1) | instid1(VALU_DEP_3)
	v_add_co_u32 v8, vcc_lo, v57, v6
	s_wait_alu 0xfffd
	v_add_co_ci_u32_e64 v9, null, v58, v7, vcc_lo
	s_delay_alu instid0(VALU_DEP_3)
	v_add_co_u32 v14, vcc_lo, v10, v14
	flat_load_b64 v[12:13], v[8:9]
	v_mul_f32_e32 v59, s23, v55
	s_wait_alu 0xfffd
	v_add_co_ci_u32_e64 v15, null, v11, v15, vcc_lo
	v_add_co_u32 v10, vcc_lo, v14, v6
	s_delay_alu instid0(VALU_DEP_3) | instskip(SKIP_4) | instid1(VALU_DEP_2)
	v_fma_f32 v59, v56, s22, -v59
	v_mul_f32_e32 v55, s22, v55
	s_wait_alu 0xfffd
	v_add_co_ci_u32_e64 v11, null, v15, v7, vcc_lo
	s_wait_loadcnt_dscnt 0x0
	v_dual_fmac_f32 v55, s23, v56 :: v_dual_mul_f32 v56, s35, v13
	v_mul_f32_e32 v13, s34, v13
	s_delay_alu instid0(VALU_DEP_2) | instskip(NEXT) | instid1(VALU_DEP_2)
	v_fma_f32 v56, v12, s34, -v56
	v_fmac_f32_e32 v13, s35, v12
	s_delay_alu instid0(VALU_DEP_2) | instskip(NEXT) | instid1(VALU_DEP_2)
	v_add_f32_e32 v12, v59, v56
	v_add_f32_e32 v13, v55, v13
	flat_store_b64 v[10:11], v[12:13]
	flat_load_b64 v[12:13], v[8:9] offset:128
	v_mul_f32_e32 v55, s23, v54
	v_mul_f32_e32 v54, s22, v54
	s_delay_alu instid0(VALU_DEP_1) | instskip(SKIP_4) | instid1(VALU_DEP_3)
	v_fmac_f32_e32 v54, s23, v53
	s_wait_loadcnt_dscnt 0x0
	v_mul_f32_e32 v56, s35, v13
	v_mul_f32_e32 v13, s34, v13
	v_fma_f32 v55, v53, s22, -v55
	v_fma_f32 v53, v12, s34, -v56
	s_delay_alu instid0(VALU_DEP_1) | instskip(NEXT) | instid1(VALU_DEP_1)
	v_dual_fmac_f32 v13, s35, v12 :: v_dual_add_f32 v12, v55, v53
	v_add_f32_e32 v13, v54, v13
	flat_store_b64 v[10:11], v[12:13] offset:128
	flat_load_b64 v[12:13], v[8:9] offset:256
	v_mul_f32_e32 v53, s23, v52
	v_mul_f32_e32 v52, s22, v52
	s_delay_alu instid0(VALU_DEP_1) | instskip(SKIP_4) | instid1(VALU_DEP_3)
	v_fmac_f32_e32 v52, s23, v51
	s_wait_loadcnt_dscnt 0x0
	v_mul_f32_e32 v54, s35, v13
	v_mul_f32_e32 v13, s34, v13
	v_fma_f32 v53, v51, s22, -v53
	v_fma_f32 v51, v12, s34, -v54
	s_delay_alu instid0(VALU_DEP_1) | instskip(NEXT) | instid1(VALU_DEP_1)
	v_dual_fmac_f32 v13, s35, v12 :: v_dual_add_f32 v12, v53, v51
	v_add_f32_e32 v13, v52, v13
	flat_store_b64 v[10:11], v[12:13] offset:256
	flat_load_b64 v[8:9], v[8:9] offset:384
	v_mul_f32_e32 v12, s23, v50
	s_delay_alu instid0(VALU_DEP_1) | instskip(SKIP_1) | instid1(VALU_DEP_1)
	v_fma_f32 v12, v49, s22, -v12
	v_mul_f32_e32 v13, s22, v50
	v_fmac_f32_e32 v13, s23, v49
	s_wait_loadcnt_dscnt 0x0
	v_mul_f32_e32 v50, s35, v9
	v_mul_f32_e32 v9, s34, v9
	s_delay_alu instid0(VALU_DEP_2) | instskip(SKIP_1) | instid1(VALU_DEP_3)
	v_fma_f32 v49, v8, s34, -v50
	v_add_co_u32 v50, vcc_lo, v57, s24
	v_fmac_f32_e32 v9, s35, v8
	s_wait_alu 0xfffd
	v_add_co_ci_u32_e64 v51, null, s25, v58, vcc_lo
	v_add_f32_e32 v8, v12, v49
	v_add_co_u32 v12, vcc_lo, v50, v6
	v_add_f32_e32 v9, v13, v9
	s_wait_alu 0xfffd
	v_add_co_ci_u32_e64 v13, null, v51, v7, vcc_lo
	v_add_co_u32 v14, vcc_lo, v14, s26
	flat_store_b64 v[10:11], v[8:9] offset:384
	flat_load_b64 v[8:9], v[12:13]
	v_mul_f32_e32 v10, s23, v48
	v_mul_f32_e32 v11, s22, v48
	s_wait_alu 0xfffd
	v_add_co_ci_u32_e64 v15, null, s27, v15, vcc_lo
	s_delay_alu instid0(VALU_DEP_3) | instskip(SKIP_2) | instid1(VALU_DEP_1)
	v_fma_f32 v10, v47, s22, -v10
	s_wait_loadcnt_dscnt 0x0
	v_dual_mul_f32 v48, s34, v9 :: v_dual_fmac_f32 v11, s23, v47
	v_dual_mul_f32 v47, s35, v9 :: v_dual_fmac_f32 v48, s35, v8
	s_delay_alu instid0(VALU_DEP_1) | instskip(SKIP_3) | instid1(VALU_DEP_3)
	v_fma_f32 v47, v8, s34, -v47
	v_add_co_u32 v8, vcc_lo, v14, v6
	s_wait_alu 0xfffd
	v_add_co_ci_u32_e64 v9, null, v15, v7, vcc_lo
	v_dual_add_f32 v10, v10, v47 :: v_dual_mul_f32 v47, s23, v46
	v_mul_f32_e32 v46, s22, v46
	s_delay_alu instid0(VALU_DEP_2) | instskip(NEXT) | instid1(VALU_DEP_2)
	v_fma_f32 v47, v45, s22, -v47
	v_dual_fmac_f32 v46, s23, v45 :: v_dual_add_f32 v11, v11, v48
	flat_store_b64 v[8:9], v[10:11]
	flat_load_b64 v[10:11], v[12:13] offset:128
	s_wait_loadcnt_dscnt 0x0
	v_mul_f32_e32 v48, s35, v11
	s_delay_alu instid0(VALU_DEP_1) | instskip(SKIP_1) | instid1(VALU_DEP_1)
	v_fma_f32 v45, v10, s34, -v48
	v_mul_f32_e32 v11, s34, v11
	v_dual_fmac_f32 v11, s35, v10 :: v_dual_add_f32 v10, v47, v45
	v_mul_f32_e32 v45, s23, v44
	s_delay_alu instid0(VALU_DEP_2) | instskip(NEXT) | instid1(VALU_DEP_2)
	v_dual_mul_f32 v44, s22, v44 :: v_dual_add_f32 v11, v46, v11
	v_fma_f32 v45, v43, s22, -v45
	s_delay_alu instid0(VALU_DEP_2)
	v_fmac_f32_e32 v44, s23, v43
	flat_store_b64 v[8:9], v[10:11] offset:128
	flat_load_b64 v[10:11], v[12:13] offset:256
	s_wait_loadcnt_dscnt 0x0
	v_mul_f32_e32 v46, s35, v11
	v_mul_f32_e32 v11, s34, v11
	s_delay_alu instid0(VALU_DEP_2) | instskip(NEXT) | instid1(VALU_DEP_1)
	v_fma_f32 v43, v10, s34, -v46
	v_dual_fmac_f32 v11, s35, v10 :: v_dual_add_f32 v10, v45, v43
	s_delay_alu instid0(VALU_DEP_1) | instskip(SKIP_4) | instid1(VALU_DEP_2)
	v_add_f32_e32 v11, v44, v11
	flat_store_b64 v[8:9], v[10:11] offset:256
	flat_load_b64 v[10:11], v[12:13] offset:384
	v_mul_f32_e32 v12, s23, v42
	v_mul_f32_e32 v13, s22, v42
	v_fma_f32 v12, v41, s22, -v12
	s_wait_loadcnt_dscnt 0x0
	s_delay_alu instid0(VALU_DEP_2) | instskip(SKIP_1) | instid1(VALU_DEP_2)
	v_dual_fmac_f32 v13, s23, v41 :: v_dual_mul_f32 v42, s35, v11
	v_mul_f32_e32 v11, s34, v11
	v_fma_f32 v41, v10, s34, -v42
	v_add_co_u32 v42, vcc_lo, v50, s24
	s_delay_alu instid0(VALU_DEP_3)
	v_fmac_f32_e32 v11, s35, v10
	s_wait_alu 0xfffd
	v_add_co_ci_u32_e64 v43, null, s25, v51, vcc_lo
	v_add_f32_e32 v10, v12, v41
	v_add_co_u32 v12, vcc_lo, v42, v6
	v_add_f32_e32 v11, v13, v11
	s_wait_alu 0xfffd
	v_add_co_ci_u32_e64 v13, null, v43, v7, vcc_lo
	v_add_co_u32 v14, vcc_lo, v14, s26
	flat_store_b64 v[8:9], v[10:11] offset:384
	flat_load_b64 v[8:9], v[12:13]
	v_mul_f32_e32 v10, s23, v40
	v_mul_f32_e32 v11, s22, v40
	s_wait_alu 0xfffd
	v_add_co_ci_u32_e64 v15, null, s27, v15, vcc_lo
	s_delay_alu instid0(VALU_DEP_3) | instskip(NEXT) | instid1(VALU_DEP_3)
	v_fma_f32 v10, v39, s22, -v10
	v_fmac_f32_e32 v11, s23, v39
	s_wait_loadcnt_dscnt 0x0
	v_mul_f32_e32 v39, s35, v9
	v_mul_f32_e32 v40, s34, v9
	s_delay_alu instid0(VALU_DEP_2) | instskip(NEXT) | instid1(VALU_DEP_2)
	v_fma_f32 v39, v8, s34, -v39
	v_fmac_f32_e32 v40, s35, v8
	v_add_co_u32 v8, vcc_lo, v14, v6
	s_wait_alu 0xfffd
	v_add_co_ci_u32_e64 v9, null, v15, v7, vcc_lo
	s_delay_alu instid0(VALU_DEP_3)
	v_dual_add_f32 v10, v10, v39 :: v_dual_add_f32 v11, v11, v40
	v_mul_f32_e32 v39, s23, v38
	v_mul_f32_e32 v38, s22, v38
	flat_store_b64 v[8:9], v[10:11]
	flat_load_b64 v[10:11], v[12:13] offset:128
	v_fma_f32 v39, v37, s22, -v39
	v_fmac_f32_e32 v38, s23, v37
	s_wait_loadcnt_dscnt 0x0
	v_mul_f32_e32 v40, s35, v11
	v_mul_f32_e32 v11, s34, v11
	s_delay_alu instid0(VALU_DEP_2) | instskip(NEXT) | instid1(VALU_DEP_1)
	v_fma_f32 v37, v10, s34, -v40
	v_dual_fmac_f32 v11, s35, v10 :: v_dual_add_f32 v10, v39, v37
	s_delay_alu instid0(VALU_DEP_1)
	v_add_f32_e32 v11, v38, v11
	v_mul_f32_e32 v37, s23, v36
	v_mul_f32_e32 v36, s22, v36
	flat_store_b64 v[8:9], v[10:11] offset:128
	flat_load_b64 v[10:11], v[12:13] offset:256
	v_fma_f32 v37, v35, s22, -v37
	v_fmac_f32_e32 v36, s23, v35
	s_wait_loadcnt_dscnt 0x0
	v_mul_f32_e32 v38, s35, v11
	v_mul_f32_e32 v11, s34, v11
	s_delay_alu instid0(VALU_DEP_2) | instskip(NEXT) | instid1(VALU_DEP_1)
	v_fma_f32 v35, v10, s34, -v38
	v_dual_fmac_f32 v11, s35, v10 :: v_dual_add_f32 v10, v37, v35
	s_delay_alu instid0(VALU_DEP_1) | instskip(SKIP_4) | instid1(VALU_DEP_2)
	v_add_f32_e32 v11, v36, v11
	flat_store_b64 v[8:9], v[10:11] offset:256
	flat_load_b64 v[10:11], v[12:13] offset:384
	v_mul_f32_e32 v12, s23, v34
	v_mul_f32_e32 v13, s22, v34
	v_fma_f32 v12, v33, s22, -v12
	s_wait_loadcnt_dscnt 0x0
	s_delay_alu instid0(VALU_DEP_2) | instskip(SKIP_1) | instid1(VALU_DEP_2)
	v_dual_fmac_f32 v13, s23, v33 :: v_dual_mul_f32 v34, s35, v11
	v_mul_f32_e32 v11, s34, v11
	v_fma_f32 v33, v10, s34, -v34
	v_add_co_u32 v34, vcc_lo, v42, s24
	s_delay_alu instid0(VALU_DEP_3)
	v_fmac_f32_e32 v11, s35, v10
	s_wait_alu 0xfffd
	v_add_co_ci_u32_e64 v35, null, s25, v43, vcc_lo
	v_add_f32_e32 v10, v12, v33
	v_add_co_u32 v12, vcc_lo, v34, v6
	v_add_f32_e32 v11, v13, v11
	s_wait_alu 0xfffd
	v_add_co_ci_u32_e64 v13, null, v35, v7, vcc_lo
	v_add_co_u32 v14, vcc_lo, v14, s26
	flat_store_b64 v[8:9], v[10:11] offset:384
	flat_load_b64 v[8:9], v[12:13]
	v_mul_f32_e32 v10, s23, v32
	v_mul_f32_e32 v11, s22, v32
	s_wait_alu 0xfffd
	v_add_co_ci_u32_e64 v15, null, s27, v15, vcc_lo
	v_add_co_u32 v6, vcc_lo, v14, v6
	v_fma_f32 v10, v31, s22, -v10
	v_fmac_f32_e32 v11, s23, v31
	s_wait_alu 0xfffd
	v_add_co_ci_u32_e64 v7, null, v15, v7, vcc_lo
	s_wait_loadcnt_dscnt 0x0
	v_mul_f32_e32 v31, s35, v9
	v_mul_f32_e32 v9, s34, v9
	s_delay_alu instid0(VALU_DEP_2) | instskip(NEXT) | instid1(VALU_DEP_1)
	v_fma_f32 v31, v8, s34, -v31
	v_dual_fmac_f32 v9, s35, v8 :: v_dual_add_f32 v8, v10, v31
	s_delay_alu instid0(VALU_DEP_1)
	v_dual_add_f32 v9, v11, v9 :: v_dual_mul_f32 v10, s23, v30
	v_mul_f32_e32 v11, s22, v30
	flat_store_b64 v[6:7], v[8:9]
	flat_load_b64 v[8:9], v[12:13] offset:128
	v_fma_f32 v10, v29, s22, -v10
	v_fmac_f32_e32 v11, s23, v29
	s_wait_loadcnt_dscnt 0x0
	v_mul_f32_e32 v14, s35, v9
	v_mul_f32_e32 v9, s34, v9
	s_delay_alu instid0(VALU_DEP_2) | instskip(NEXT) | instid1(VALU_DEP_1)
	v_fma_f32 v14, v8, s34, -v14
	v_dual_fmac_f32 v9, s35, v8 :: v_dual_add_f32 v8, v10, v14
	s_delay_alu instid0(VALU_DEP_1)
	v_dual_add_f32 v9, v11, v9 :: v_dual_mul_f32 v10, s23, v28
	v_mul_f32_e32 v11, s22, v28
	flat_store_b64 v[6:7], v[8:9] offset:128
	flat_load_b64 v[8:9], v[12:13] offset:256
	v_fma_f32 v10, v27, s22, -v10
	s_wait_loadcnt_dscnt 0x0
	v_dual_fmac_f32 v11, s23, v27 :: v_dual_mul_f32 v14, s35, v9
	v_mul_f32_e32 v9, s34, v9
	s_delay_alu instid0(VALU_DEP_2) | instskip(NEXT) | instid1(VALU_DEP_1)
	v_fma_f32 v14, v8, s34, -v14
	v_dual_fmac_f32 v9, s35, v8 :: v_dual_add_f32 v8, v10, v14
	s_delay_alu instid0(VALU_DEP_1)
	v_dual_add_f32 v9, v11, v9 :: v_dual_mul_f32 v10, s23, v26
	v_mul_f32_e32 v11, s22, v26
	flat_store_b64 v[6:7], v[8:9] offset:256
	flat_load_b64 v[8:9], v[12:13] offset:384
	v_fma_f32 v10, v25, s22, -v10
	v_fmac_f32_e32 v11, s23, v25
	s_wait_loadcnt_dscnt 0x0
	v_mul_f32_e32 v12, s35, v9
	v_mul_f32_e32 v9, s34, v9
	s_delay_alu instid0(VALU_DEP_2) | instskip(NEXT) | instid1(VALU_DEP_2)
	v_fma_f32 v12, v8, s34, -v12
	v_fmac_f32_e32 v9, s35, v8
	v_add_co_u32 v8, vcc_lo, 0x180, v6
	s_delay_alu instid0(VALU_DEP_3) | instskip(NEXT) | instid1(VALU_DEP_3)
	v_add_f32_e32 v10, v10, v12
	v_add_f32_e32 v12, v11, v9
	s_wait_alu 0xfffd
	v_add_co_ci_u32_e64 v9, null, 0, v7, vcc_lo
	flat_store_b32 v[6:7], v10 offset:384
	s_branch .LBB236_2
.LBB236_10:
	s_nop 0
	s_sendmsg sendmsg(MSG_DEALLOC_VGPRS)
	s_endpgm
	.section	.rodata,"a",@progbits
	.p2align	6, 0x0
	.amdhsa_kernel _ZN12_GLOBAL__N_127rocblas_gemm_batched_kernelI19rocblas_complex_numIfELi16ELi16ELi64ELi64ELi4ELi64ELi4ELi4ELi64ELc78ELc84EKPKS2_S5_KPS2_EEvlllT_PT11_llSA_llS8_PT12_llPT13_lli
		.amdhsa_group_segment_fixed_size 4096
		.amdhsa_private_segment_fixed_size 0
		.amdhsa_kernarg_size 140
		.amdhsa_user_sgpr_count 2
		.amdhsa_user_sgpr_dispatch_ptr 0
		.amdhsa_user_sgpr_queue_ptr 0
		.amdhsa_user_sgpr_kernarg_segment_ptr 1
		.amdhsa_user_sgpr_dispatch_id 0
		.amdhsa_user_sgpr_private_segment_size 0
		.amdhsa_wavefront_size32 1
		.amdhsa_uses_dynamic_stack 0
		.amdhsa_enable_private_segment 0
		.amdhsa_system_sgpr_workgroup_id_x 1
		.amdhsa_system_sgpr_workgroup_id_y 1
		.amdhsa_system_sgpr_workgroup_id_z 1
		.amdhsa_system_sgpr_workgroup_info 0
		.amdhsa_system_vgpr_workitem_id 1
		.amdhsa_next_free_vgpr 201
		.amdhsa_next_free_sgpr 40
		.amdhsa_reserve_vcc 1
		.amdhsa_float_round_mode_32 0
		.amdhsa_float_round_mode_16_64 0
		.amdhsa_float_denorm_mode_32 3
		.amdhsa_float_denorm_mode_16_64 3
		.amdhsa_fp16_overflow 0
		.amdhsa_workgroup_processor_mode 1
		.amdhsa_memory_ordered 1
		.amdhsa_forward_progress 1
		.amdhsa_inst_pref_size 44
		.amdhsa_round_robin_scheduling 0
		.amdhsa_exception_fp_ieee_invalid_op 0
		.amdhsa_exception_fp_denorm_src 0
		.amdhsa_exception_fp_ieee_div_zero 0
		.amdhsa_exception_fp_ieee_overflow 0
		.amdhsa_exception_fp_ieee_underflow 0
		.amdhsa_exception_fp_ieee_inexact 0
		.amdhsa_exception_int_div_zero 0
	.end_amdhsa_kernel
	.section	.text._ZN12_GLOBAL__N_127rocblas_gemm_batched_kernelI19rocblas_complex_numIfELi16ELi16ELi64ELi64ELi4ELi64ELi4ELi4ELi64ELc78ELc84EKPKS2_S5_KPS2_EEvlllT_PT11_llSA_llS8_PT12_llPT13_lli,"axG",@progbits,_ZN12_GLOBAL__N_127rocblas_gemm_batched_kernelI19rocblas_complex_numIfELi16ELi16ELi64ELi64ELi4ELi64ELi4ELi4ELi64ELc78ELc84EKPKS2_S5_KPS2_EEvlllT_PT11_llSA_llS8_PT12_llPT13_lli,comdat
.Lfunc_end236:
	.size	_ZN12_GLOBAL__N_127rocblas_gemm_batched_kernelI19rocblas_complex_numIfELi16ELi16ELi64ELi64ELi4ELi64ELi4ELi4ELi64ELc78ELc84EKPKS2_S5_KPS2_EEvlllT_PT11_llSA_llS8_PT12_llPT13_lli, .Lfunc_end236-_ZN12_GLOBAL__N_127rocblas_gemm_batched_kernelI19rocblas_complex_numIfELi16ELi16ELi64ELi64ELi4ELi64ELi4ELi4ELi64ELc78ELc84EKPKS2_S5_KPS2_EEvlllT_PT11_llSA_llS8_PT12_llPT13_lli
                                        ; -- End function
	.set _ZN12_GLOBAL__N_127rocblas_gemm_batched_kernelI19rocblas_complex_numIfELi16ELi16ELi64ELi64ELi4ELi64ELi4ELi4ELi64ELc78ELc84EKPKS2_S5_KPS2_EEvlllT_PT11_llSA_llS8_PT12_llPT13_lli.num_vgpr, 201
	.set _ZN12_GLOBAL__N_127rocblas_gemm_batched_kernelI19rocblas_complex_numIfELi16ELi16ELi64ELi64ELi4ELi64ELi4ELi4ELi64ELc78ELc84EKPKS2_S5_KPS2_EEvlllT_PT11_llSA_llS8_PT12_llPT13_lli.num_agpr, 0
	.set _ZN12_GLOBAL__N_127rocblas_gemm_batched_kernelI19rocblas_complex_numIfELi16ELi16ELi64ELi64ELi4ELi64ELi4ELi4ELi64ELc78ELc84EKPKS2_S5_KPS2_EEvlllT_PT11_llSA_llS8_PT12_llPT13_lli.numbered_sgpr, 40
	.set _ZN12_GLOBAL__N_127rocblas_gemm_batched_kernelI19rocblas_complex_numIfELi16ELi16ELi64ELi64ELi4ELi64ELi4ELi4ELi64ELc78ELc84EKPKS2_S5_KPS2_EEvlllT_PT11_llSA_llS8_PT12_llPT13_lli.num_named_barrier, 0
	.set _ZN12_GLOBAL__N_127rocblas_gemm_batched_kernelI19rocblas_complex_numIfELi16ELi16ELi64ELi64ELi4ELi64ELi4ELi4ELi64ELc78ELc84EKPKS2_S5_KPS2_EEvlllT_PT11_llSA_llS8_PT12_llPT13_lli.private_seg_size, 0
	.set _ZN12_GLOBAL__N_127rocblas_gemm_batched_kernelI19rocblas_complex_numIfELi16ELi16ELi64ELi64ELi4ELi64ELi4ELi4ELi64ELc78ELc84EKPKS2_S5_KPS2_EEvlllT_PT11_llSA_llS8_PT12_llPT13_lli.uses_vcc, 1
	.set _ZN12_GLOBAL__N_127rocblas_gemm_batched_kernelI19rocblas_complex_numIfELi16ELi16ELi64ELi64ELi4ELi64ELi4ELi4ELi64ELc78ELc84EKPKS2_S5_KPS2_EEvlllT_PT11_llSA_llS8_PT12_llPT13_lli.uses_flat_scratch, 1
	.set _ZN12_GLOBAL__N_127rocblas_gemm_batched_kernelI19rocblas_complex_numIfELi16ELi16ELi64ELi64ELi4ELi64ELi4ELi4ELi64ELc78ELc84EKPKS2_S5_KPS2_EEvlllT_PT11_llSA_llS8_PT12_llPT13_lli.has_dyn_sized_stack, 0
	.set _ZN12_GLOBAL__N_127rocblas_gemm_batched_kernelI19rocblas_complex_numIfELi16ELi16ELi64ELi64ELi4ELi64ELi4ELi4ELi64ELc78ELc84EKPKS2_S5_KPS2_EEvlllT_PT11_llSA_llS8_PT12_llPT13_lli.has_recursion, 0
	.set _ZN12_GLOBAL__N_127rocblas_gemm_batched_kernelI19rocblas_complex_numIfELi16ELi16ELi64ELi64ELi4ELi64ELi4ELi4ELi64ELc78ELc84EKPKS2_S5_KPS2_EEvlllT_PT11_llSA_llS8_PT12_llPT13_lli.has_indirect_call, 0
	.section	.AMDGPU.csdata,"",@progbits
; Kernel info:
; codeLenInByte = 5584
; TotalNumSgprs: 42
; NumVgprs: 201
; ScratchSize: 0
; MemoryBound: 0
; FloatMode: 240
; IeeeMode: 1
; LDSByteSize: 4096 bytes/workgroup (compile time only)
; SGPRBlocks: 0
; VGPRBlocks: 25
; NumSGPRsForWavesPerEU: 42
; NumVGPRsForWavesPerEU: 201
; Occupancy: 7
; WaveLimiterHint : 1
; COMPUTE_PGM_RSRC2:SCRATCH_EN: 0
; COMPUTE_PGM_RSRC2:USER_SGPR: 2
; COMPUTE_PGM_RSRC2:TRAP_HANDLER: 0
; COMPUTE_PGM_RSRC2:TGID_X_EN: 1
; COMPUTE_PGM_RSRC2:TGID_Y_EN: 1
; COMPUTE_PGM_RSRC2:TGID_Z_EN: 1
; COMPUTE_PGM_RSRC2:TIDIG_COMP_CNT: 1
	.section	.text._ZN12_GLOBAL__N_127rocblas_gemm_batched_kernelI19rocblas_complex_numIfELi16ELi16ELi64ELi64ELi4ELi64ELi4ELi4ELi64ELc84ELc84EKPKS2_S5_KPS2_EEvlllT_PT11_llSA_llS8_PT12_llPT13_lli,"axG",@progbits,_ZN12_GLOBAL__N_127rocblas_gemm_batched_kernelI19rocblas_complex_numIfELi16ELi16ELi64ELi64ELi4ELi64ELi4ELi4ELi64ELc84ELc84EKPKS2_S5_KPS2_EEvlllT_PT11_llSA_llS8_PT12_llPT13_lli,comdat
	.globl	_ZN12_GLOBAL__N_127rocblas_gemm_batched_kernelI19rocblas_complex_numIfELi16ELi16ELi64ELi64ELi4ELi64ELi4ELi4ELi64ELc84ELc84EKPKS2_S5_KPS2_EEvlllT_PT11_llSA_llS8_PT12_llPT13_lli ; -- Begin function _ZN12_GLOBAL__N_127rocblas_gemm_batched_kernelI19rocblas_complex_numIfELi16ELi16ELi64ELi64ELi4ELi64ELi4ELi4ELi64ELc84ELc84EKPKS2_S5_KPS2_EEvlllT_PT11_llSA_llS8_PT12_llPT13_lli
	.p2align	8
	.type	_ZN12_GLOBAL__N_127rocblas_gemm_batched_kernelI19rocblas_complex_numIfELi16ELi16ELi64ELi64ELi4ELi64ELi4ELi4ELi64ELc84ELc84EKPKS2_S5_KPS2_EEvlllT_PT11_llSA_llS8_PT12_llPT13_lli,@function
_ZN12_GLOBAL__N_127rocblas_gemm_batched_kernelI19rocblas_complex_numIfELi16ELi16ELi64ELi64ELi4ELi64ELi4ELi4ELi64ELc84ELc84EKPKS2_S5_KPS2_EEvlllT_PT11_llSA_llS8_PT12_llPT13_lli: ; @_ZN12_GLOBAL__N_127rocblas_gemm_batched_kernelI19rocblas_complex_numIfELi16ELi16ELi64ELi64ELi4ELi64ELi4ELi4ELi64ELc84ELc84EKPKS2_S5_KPS2_EEvlllT_PT11_llSA_llS8_PT12_llPT13_lli
; %bb.0:
	s_load_b32 s33, s[0:1], 0x88
	s_lshr_b32 s2, ttmp7, 16
	s_wait_kmcnt 0x0
	s_cmp_ge_i32 s2, s33
	s_cbranch_scc1 .LBB237_10
; %bb.1:
	v_dual_mov_b32 v16, 0 :: v_dual_and_b32 v13, 0x3ff, v0
	v_bfe_u32 v8, v0, 10, 10
	s_load_b128 s[28:31], s[0:1], 0x40
	s_lshl_b32 s3, ttmp7, 6
	v_and_b32_e32 v6, 3, v0
	s_and_b32 s38, s3, 0x3fffc0
	v_lshl_add_u32 v2, v8, 4, v13
	s_clause 0x4
	s_load_b128 s[20:23], s[0:1], 0x10
	s_load_b256 s[4:11], s[0:1], 0x20
	s_load_b128 s[24:27], s[0:1], 0x78
	s_load_b64 s[34:35], s[0:1], 0x50
	s_load_b256 s[12:19], s[0:1], 0x58
	v_add_nc_u32_e32 v12, s38, v8
	s_mov_b32 s36, ttmp9
	v_lshrrev_b32_e32 v3, 2, v2
	v_and_b32_e32 v7, 63, v2
	s_ashr_i32 s37, ttmp9, 31
	v_lshrrev_b32_e32 v14, 6, v2
	s_lshl_b64 s[0:1], s[36:37], 6
	v_add_co_u32 v0, s3, v3, s38
	s_delay_alu instid0(VALU_DEP_1) | instskip(SKIP_3) | instid1(VALU_DEP_2)
	v_add_co_ci_u32_e64 v1, null, 0, 0, s3
	v_lshl_add_u32 v20, v8, 5, 0x800
	s_mov_b32 s3, 0
	s_wait_kmcnt 0x0
	v_mad_co_u64_u32 v[4:5], null, s28, v6, v[0:1]
	v_lshlrev_b32_e32 v1, 3, v6
	s_or_b32 s36, s34, s35
	s_delay_alu instid0(SALU_CYCLE_1) | instskip(NEXT) | instid1(VALU_DEP_2)
	s_bitset0_b32 s36, 31
	v_mov_b32_e32 v0, v5
	s_delay_alu instid0(VALU_DEP_2) | instskip(SKIP_2) | instid1(VALU_DEP_3)
	v_lshl_or_b32 v9, v3, 5, v1
	v_lshlrev_b32_e32 v5, 3, v7
	s_cmp_eq_u32 s36, 0
	v_mad_co_u64_u32 v[2:3], null, s29, v6, v[0:1]
	v_or_b32_e32 v3, s0, v7
	v_mad_co_u64_u32 v[6:7], null, v12, s14, 0
	v_mad_co_u64_u32 v[0:1], null, v12, s24, 0
	v_lshlrev_b32_e32 v17, 3, v13
	v_lshl_or_b32 v18, v14, 9, v5
	v_mov_b32_e32 v5, v2
	v_dual_mov_b32 v2, v7 :: v_dual_add_nc_u32 v19, 0x800, v9
	v_mul_lo_u32 v15, s7, v3
	v_mad_co_u64_u32 v[8:9], null, s6, v3, 0
	s_mul_i32 s6, s6, s1
	v_mad_co_u64_u32 v[10:11], null, v12, s25, v[1:2]
	s_cselect_b32 s36, -1, 0
	v_lshlrev_b64_e32 v[4:5], 3, v[4:5]
	s_lshl_b64 s[24:25], s[24:25], 4
	s_wait_alu 0xfffe
	v_add3_u32 v9, v9, s6, v15
	v_cmp_gt_i64_e64 s6, s[20:21], 0
	s_lshl_b64 s[38:39], s[14:15], 4
	v_mov_b32_e32 v1, v10
	v_mad_co_u64_u32 v[11:12], null, v12, s15, v[2:3]
	v_lshlrev_b64_e32 v[8:9], 3, v[8:9]
	v_add_co_u32 v2, s0, s0, v13
	s_wait_alu 0xf1ff
	v_add_co_ci_u32_e64 v3, null, s1, 0, s0
	s_lshl_b64 s[0:1], s[8:9], 3
	v_dual_mov_b32 v7, v11 :: v_dual_lshlrev_b32 v10, 3, v14
	s_wait_alu 0xfffe
	v_add_co_u32 v8, vcc_lo, v8, s0
	s_delay_alu instid0(VALU_DEP_1)
	v_add_co_ci_u32_e64 v9, null, s1, v9, vcc_lo
	s_lshl_b64 s[0:1], s[30:31], 3
	v_add_co_u32 v21, vcc_lo, v8, v10
	v_cndmask_b32_e64 v8, 0, 1, s6
	s_wait_alu 0xfffd
	v_add_co_ci_u32_e64 v22, null, 0, v9, vcc_lo
	s_wait_alu 0xfffe
	v_add_co_u32 v23, vcc_lo, s0, v4
	s_wait_alu 0xfffd
	v_add_co_ci_u32_e64 v24, null, s1, v5, vcc_lo
	v_lshlrev_b64_e32 v[4:5], 3, v[6:7]
	v_cmp_ne_u32_e64 s0, 1, v8
	s_lshl_b64 s[6:7], s[28:29], 5
	s_lshl_b64 s[8:9], s[26:27], 3
	;; [unrolled: 1-line block ×5, first 2 shown]
	s_branch .LBB237_3
.LBB237_2:                              ;   in Loop: Header=BB237_3 Depth=1
	s_add_co_i32 s2, s2, 0x10000
	flat_store_b32 v[8:9], v12 offset:4
	s_wait_alu 0xfffe
	s_cmp_lt_i32 s2, s33
	s_cbranch_scc0 .LBB237_10
.LBB237_3:                              ; =>This Loop Header: Depth=1
                                        ;     Child Loop BB237_5 Depth 2
	s_lshl_b64 s[26:27], s[2:3], 3
	v_dual_mov_b32 v56, 0 :: v_dual_mov_b32 v55, 0
	s_wait_alu 0xfffe
	s_add_nc_u64 s[28:29], s[12:13], s[26:27]
	s_add_nc_u64 s[30:31], s[18:19], s[26:27]
	s_clause 0x1
	global_load_b64 v[6:7], v16, s[28:29]
	global_load_b64 v[8:9], v16, s[30:31]
	v_dual_mov_b32 v53, 0 :: v_dual_mov_b32 v54, 0
	v_dual_mov_b32 v51, 0 :: v_dual_mov_b32 v52, 0
	;; [unrolled: 1-line block ×15, first 2 shown]
	s_and_b32 vcc_lo, exec_lo, s0
	s_wait_alu 0xfffe
	s_cbranch_vccnz .LBB237_6
; %bb.4:                                ;   in Loop: Header=BB237_3 Depth=1
	s_add_nc_u64 s[28:29], s[4:5], s[26:27]
	s_add_nc_u64 s[26:27], s[10:11], s[26:27]
	s_clause 0x1
	global_load_b64 v[10:11], v16, s[28:29]
	global_load_b64 v[12:13], v16, s[26:27]
	v_dual_mov_b32 v26, 0 :: v_dual_mov_b32 v25, 0
	v_dual_mov_b32 v28, 0 :: v_dual_mov_b32 v27, 0
	;; [unrolled: 1-line block ×16, first 2 shown]
	s_mov_b64 s[26:27], 0
	s_wait_loadcnt 0x1
	v_add_co_u32 v10, vcc_lo, v10, v21
	s_wait_alu 0xfffd
	v_add_co_ci_u32_e64 v11, null, v11, v22, vcc_lo
	s_wait_loadcnt 0x0
	v_add_co_u32 v12, vcc_lo, v12, v23
	s_wait_alu 0xfffd
	v_add_co_ci_u32_e64 v13, null, v13, v24, vcc_lo
.LBB237_5:                              ;   Parent Loop BB237_3 Depth=1
                                        ; =>  This Inner Loop Header: Depth=2
	flat_load_b64 v[14:15], v[10:11]
	s_wait_alu 0xfffe
	s_add_nc_u64 s[26:27], s[26:27], 4
	v_add_co_u32 v10, vcc_lo, v10, 32
	s_wait_alu 0xfffe
	v_cmp_lt_i64_e64 s1, s[26:27], s[20:21]
	s_wait_alu 0xfffd
	v_add_co_ci_u32_e64 v11, null, 0, v11, vcc_lo
	s_and_b32 vcc_lo, exec_lo, s1
	s_wait_loadcnt_dscnt 0x0
	ds_store_b64 v18, v[14:15]
	flat_load_b64 v[14:15], v[12:13]
	v_add_co_u32 v12, s1, v12, s6
	s_wait_alu 0xf1ff
	v_add_co_ci_u32_e64 v13, null, s7, v13, s1
	s_wait_loadcnt_dscnt 0x0
	ds_store_b64 v19, v[14:15]
	s_wait_dscnt 0x0
	s_barrier_signal -1
	s_barrier_wait -1
	global_inv scope:SCOPE_SE
	ds_load_2addr_b64 v[57:60], v17 offset1:16
	ds_load_b128 v[61:64], v20
	ds_load_b128 v[65:68], v20 offset:16
	ds_load_b128 v[69:72], v20 offset:512
	ds_load_b128 v[73:76], v20 offset:528
	ds_load_b128 v[77:80], v20 offset:1024
	ds_load_b128 v[81:84], v20 offset:1040
	ds_load_b128 v[85:88], v20 offset:1536
	ds_load_b128 v[89:92], v20 offset:1552
	ds_load_2addr_b64 v[93:96], v17 offset0:32 offset1:48
	ds_load_2addr_b64 v[97:100], v17 offset0:64 offset1:80
	;; [unrolled: 1-line block ×7, first 2 shown]
	s_wait_loadcnt_dscnt 0x0
	s_barrier_signal -1
	s_barrier_wait -1
	global_inv scope:SCOPE_SE
	v_mul_f32_e32 v15, v61, v58
	v_dual_mul_f32 v122, v61, v60 :: v_dual_mul_f32 v123, v70, v58
	v_mul_f32_e32 v14, v62, v58
	v_dual_mul_f32 v121, v62, v60 :: v_dual_mul_f32 v124, v69, v58
	v_dual_mul_f32 v125, v70, v60 :: v_dual_mul_f32 v128, v77, v58
	;; [unrolled: 1-line block ×5, first 2 shown]
	v_mul_f32_e32 v129, v78, v60
	v_dual_mul_f32 v130, v77, v60 :: v_dual_mul_f32 v131, v86, v58
	v_mul_f32_e32 v58, v85, v58
	v_mul_f32_e32 v132, v86, v60
	v_dual_mul_f32 v60, v85, v60 :: v_dual_mul_f32 v133, v62, v94
	v_dual_mul_f32 v138, v69, v94 :: v_dual_mul_f32 v139, v70, v96
	;; [unrolled: 1-line block ×9, first 2 shown]
	v_mul_f32_e32 v149, v64, v100
	v_dual_mul_f32 v150, v63, v100 :: v_dual_mul_f32 v155, v72, v98
	v_dual_mul_f32 v152, v63, v102 :: v_dual_mul_f32 v161, v72, v104
	;; [unrolled: 1-line block ×11, first 2 shown]
	v_dual_mul_f32 v176, v65, v106 :: v_dual_fmac_f32 v15, v62, v57
	v_fmac_f32_e32 v122, v62, v59
	v_fma_f32 v123, v69, v57, -v123
	v_dual_fmac_f32 v134, v62, v93 :: v_dual_mul_f32 v197, v84, v116
	v_fmac_f32_e32 v136, v62, v95
	v_fma_f32 v62, v69, v93, -v137
	v_dual_mul_f32 v166, v79, v100 :: v_dual_mul_f32 v171, v88, v98
	v_dual_mul_f32 v98, v87, v98 :: v_dual_mul_f32 v185, v82, v108
	;; [unrolled: 1-line block ×8, first 2 shown]
	v_mul_f32_e32 v182, v73, v108
	v_mul_f32_e32 v186, v81, v108
	;; [unrolled: 1-line block ×6, first 2 shown]
	v_fma_f32 v14, v61, v57, -v14
	v_fma_f32 v121, v61, v59, -v121
	v_fmac_f32_e32 v124, v70, v57
	v_fma_f32 v125, v69, v59, -v125
	v_fmac_f32_e32 v126, v70, v59
	;; [unrolled: 2-line block ×6, first 2 shown]
	v_mul_f32_e32 v59, v74, v110
	v_mul_f32_e32 v132, v73, v110
	v_fma_f32 v133, v61, v93, -v133
	v_fma_f32 v61, v61, v95, -v135
	v_dual_fmac_f32 v138, v70, v93 :: v_dual_mul_f32 v199, v84, v120
	v_fma_f32 v69, v69, v95, -v139
	v_fmac_f32_e32 v140, v70, v95
	v_fma_f32 v70, v77, v93, -v141
	v_fma_f32 v77, v77, v95, -v143
	v_mul_f32_e32 v135, v81, v112
	v_fma_f32 v137, v63, v97, -v147
	v_fmac_f32_e32 v148, v64, v97
	v_fma_f32 v139, v63, v99, -v149
	v_fma_f32 v141, v63, v101, -v151
	v_fmac_f32_e32 v152, v64, v101
	v_fma_f32 v63, v63, v103, -v153
	v_dual_fmac_f32 v154, v64, v103 :: v_dual_add_f32 v53, v53, v121
	v_dual_fmac_f32 v156, v72, v97 :: v_dual_add_f32 v15, v55, v15
	v_fma_f32 v147, v71, v101, -v159
	v_dual_fmac_f32 v160, v72, v101 :: v_dual_add_f32 v47, v47, v123
	v_dual_mul_f32 v149, v67, v114 :: v_dual_fmac_f32 v144, v78, v95
	v_dual_mul_f32 v153, v67, v116 :: v_dual_fmac_f32 v142, v78, v93
	v_fma_f32 v78, v85, v93, -v145
	v_fma_f32 v85, v85, v95, -v146
	;; [unrolled: 1-line block ×6, first 2 shown]
	v_dual_fmac_f32 v164, v80, v97 :: v_dual_add_f32 v43, v43, v62
	v_fma_f32 v157, v79, v99, -v165
	v_fma_f32 v159, v79, v101, -v167
	v_dual_fmac_f32 v168, v80, v101 :: v_dual_add_f32 v39, v39, v127
	v_fma_f32 v79, v79, v103, -v169
	v_dual_mul_f32 v161, v67, v118 :: v_dual_fmac_f32 v96, v86, v95
	v_dual_mul_f32 v165, v67, v120 :: v_dual_fmac_f32 v94, v86, v93
	v_mul_f32_e32 v86, v82, v110
	v_dual_mul_f32 v93, v81, v110 :: v_dual_fmac_f32 v150, v64, v99
	v_mul_f32_e32 v169, v75, v114
	v_mul_f32_e32 v64, v90, v110
	v_fma_f32 v173, v87, v101, -v173
	v_dual_fmac_f32 v102, v88, v101 :: v_dual_add_f32 v31, v31, v131
	v_mul_f32_e32 v101, v75, v118
	v_mul_f32_e32 v110, v89, v110
	v_dual_mul_f32 v184, v81, v106 :: v_dual_mul_f32 v95, v82, v112
	v_dual_mul_f32 v106, v89, v106 :: v_dual_mul_f32 v143, v90, v112
	v_dual_mul_f32 v194, v73, v112 :: v_dual_mul_f32 v195, v84, v114
	v_dual_fmac_f32 v158, v72, v99 :: v_dual_add_f32 v51, v51, v133
	v_dual_fmac_f32 v162, v72, v103 :: v_dual_add_f32 v49, v49, v61
	v_dual_mul_f32 v72, v68, v114 :: v_dual_add_f32 v45, v45, v125
	v_mul_f32_e32 v151, v68, v116
	v_dual_fmac_f32 v166, v80, v99 :: v_dual_add_f32 v41, v41, v69
	v_dual_fmac_f32 v170, v80, v103 :: v_dual_add_f32 v37, v37, v129
	v_dual_mul_f32 v80, v68, v118 :: v_dual_add_f32 v33, v33, v77
	v_fma_f32 v167, v87, v97, -v171
	v_dual_fmac_f32 v98, v88, v97 :: v_dual_add_f32 v35, v35, v70
	v_fma_f32 v97, v87, v99, -v172
	v_dual_fmac_f32 v100, v88, v99 :: v_dual_add_f32 v29, v29, v57
	v_dual_mul_f32 v99, v76, v114 :: v_dual_mul_f32 v172, v75, v116
	v_add_f32_e32 v25, v25, v85
	v_fma_f32 v87, v87, v103, -v174
	v_dual_fmac_f32 v104, v88, v103 :: v_dual_add_f32 v27, v27, v78
	v_dual_mul_f32 v103, v76, v120 :: v_dual_fmac_f32 v176, v66, v105
	v_add_f32_e32 v43, v43, v147
	v_dual_fmac_f32 v178, v66, v107 :: v_dual_add_f32 v51, v51, v141
	v_fma_f32 v179, v73, v105, -v179
	v_fma_f32 v181, v73, v107, -v181
	v_dual_fmac_f32 v182, v74, v107 :: v_dual_add_f32 v47, v47, v145
	v_fma_f32 v189, v65, v109, -v189
	v_dual_fmac_f32 v190, v66, v109 :: v_dual_add_f32 v31, v31, v167
	v_dual_fmac_f32 v192, v66, v111 :: v_dual_add_f32 v27, v27, v173
	v_fma_f32 v59, v73, v109, -v59
	v_fma_f32 v66, v73, v111, -v193
	;; [unrolled: 1-line block ×3, first 2 shown]
	v_fmac_f32_e32 v93, v82, v109
	v_dual_fmac_f32 v135, v82, v111 :: v_dual_mul_f32 v88, v76, v118
	v_dual_add_f32 v15, v15, v148 :: v_dual_fmac_f32 v132, v74, v109
	v_fmac_f32_e32 v169, v76, v113
	v_fma_f32 v64, v89, v109, -v64
	v_fmac_f32_e32 v101, v76, v117
	v_dual_fmac_f32 v110, v90, v109 :: v_dual_add_f32 v47, v47, v179
	v_dual_mul_f32 v109, v91, v118 :: v_dual_mul_f32 v112, v89, v112
	v_mul_f32_e32 v163, v68, v120
	v_mul_f32_e32 v171, v76, v116
	v_dual_mul_f32 v174, v75, v120 :: v_dual_add_f32 v53, v53, v139
	v_dual_mul_f32 v196, v83, v114 :: v_dual_add_f32 v49, v49, v63
	;; [unrolled: 1-line block ×3, first 2 shown]
	v_fma_f32 v175, v65, v105, -v175
	v_fma_f32 v177, v65, v107, -v177
	v_dual_fmac_f32 v180, v74, v105 :: v_dual_add_f32 v41, v41, v71
	v_fma_f32 v183, v81, v105, -v183
	v_dual_fmac_f32 v184, v82, v105 :: v_dual_add_f32 v39, v39, v155
	;; [unrolled: 2-line block ×5, first 2 shown]
	v_mul_f32_e32 v107, v84, v118
	v_dual_mul_f32 v188, v83, v118 :: v_dual_add_f32 v33, v33, v79
	v_dual_mul_f32 v200, v83, v120 :: v_dual_add_f32 v25, v25, v87
	v_fma_f32 v65, v65, v111, -v191
	v_dual_fmac_f32 v194, v74, v111 :: v_dual_add_f32 v53, v53, v177
	v_fma_f32 v74, v81, v111, -v95
	v_fma_f32 v81, v89, v111, -v143
	s_delay_alu instid0(VALU_DEP_4)
	v_dual_mul_f32 v82, v92, v114 :: v_dual_add_f32 v49, v49, v65
	v_mul_f32_e32 v89, v92, v116
	v_fmac_f32_e32 v149, v68, v113
	v_fmac_f32_e32 v153, v68, v115
	;; [unrolled: 1-line block ×4, first 2 shown]
	v_dual_mul_f32 v68, v92, v118 :: v_dual_add_f32 v43, v43, v59
	v_dual_fmac_f32 v109, v92, v117 :: v_dual_fmac_f32 v112, v90, v111
	v_add_f32_e32 v51, v51, v189
	v_dual_mul_f32 v90, v91, v116 :: v_dual_add_f32 v41, v41, v66
	v_dual_mul_f32 v111, v92, v120 :: v_dual_mul_f32 v86, v91, v114
	v_add_f32_e32 v45, v45, v181
	v_fma_f32 v72, v67, v113, -v72
	v_fma_f32 v95, v67, v115, -v151
	;; [unrolled: 1-line block ×4, first 2 shown]
	v_dual_mul_f32 v114, v91, v120 :: v_dual_add_f32 v37, v37, v185
	v_fma_f32 v99, v75, v113, -v99
	v_fma_f32 v116, v75, v115, -v171
	v_dual_fmac_f32 v172, v76, v115 :: v_dual_add_f32 v35, v35, v73
	v_fma_f32 v88, v75, v117, -v88
	v_fma_f32 v75, v75, v119, -v103
	v_dual_fmac_f32 v174, v76, v119 :: v_dual_add_f32 v33, v33, v74
	v_fma_f32 v76, v83, v113, -v195
	v_dual_fmac_f32 v196, v84, v113 :: v_dual_add_f32 v39, v39, v183
	v_fma_f32 v103, v83, v115, -v197
	v_dual_fmac_f32 v198, v84, v115 :: v_dual_add_f32 v29, v29, v105
	v_fma_f32 v107, v83, v117, -v107
	v_dual_fmac_f32 v188, v84, v117 :: v_dual_add_f32 v31, v31, v187
	v_fma_f32 v83, v83, v119, -v199
	v_dual_fmac_f32 v200, v84, v119 :: v_dual_add_f32 v27, v27, v64
	v_fma_f32 v82, v91, v113, -v82
	v_fma_f32 v84, v91, v115, -v89
	v_dual_fmac_f32 v90, v92, v115 :: v_dual_add_f32 v25, v25, v81
	v_fma_f32 v68, v91, v117, -v68
	v_fma_f32 v89, v91, v119, -v111
	v_dual_add_f32 v14, v56, v14 :: v_dual_add_f32 v51, v51, v80
	v_dual_add_f32 v54, v54, v122 :: v_dual_add_f32 v49, v49, v67
	;; [unrolled: 1-line block ×14, first 2 shown]
	v_add_f32_e32 v28, v28, v94
	v_add_f32_e32 v26, v26, v96
	v_add_f32_e32 v14, v14, v137
	v_add_f32_e32 v54, v54, v150
	v_add_f32_e32 v52, v52, v152
	v_add_f32_e32 v50, v50, v154
	v_add_f32_e32 v48, v48, v156
	v_add_f32_e32 v46, v46, v158
	v_add_f32_e32 v44, v44, v160
	v_add_f32_e32 v42, v42, v162
	v_add_f32_e32 v40, v40, v164
	v_add_f32_e32 v38, v38, v166
	v_add_f32_e32 v36, v36, v168
	v_add_f32_e32 v34, v34, v170
	v_add_f32_e32 v32, v32, v98
	v_add_f32_e32 v30, v30, v100
	v_add_f32_e32 v28, v28, v102
	v_add_f32_e32 v26, v26, v104
	v_dual_fmac_f32 v86, v92, v113 :: v_dual_add_f32 v53, v53, v95
	v_dual_add_f32 v14, v14, v175 :: v_dual_add_f32 v15, v15, v176
	v_fmac_f32_e32 v114, v92, v119
	v_add_f32_e32 v54, v54, v178
	v_add_f32_e32 v52, v52, v190
	;; [unrolled: 1-line block ×15, first 2 shown]
	v_dual_add_f32 v56, v14, v72 :: v_dual_add_f32 v55, v15, v149
	v_add_f32_e32 v54, v54, v153
	v_add_f32_e32 v52, v52, v161
	;; [unrolled: 1-line block ×15, first 2 shown]
	s_wait_alu 0xfffe
	s_cbranch_vccnz .LBB237_5
.LBB237_6:                              ;   in Loop: Header=BB237_3 Depth=1
	s_wait_loadcnt 0x0
	v_add_co_u32 v10, vcc_lo, v8, s8
	s_wait_alu 0xfffd
	v_add_co_ci_u32_e64 v11, null, s9, v9, vcc_lo
	s_and_not1_b32 vcc_lo, exec_lo, s36
	s_mov_b32 s1, -1
                                        ; implicit-def: $vgpr12
                                        ; implicit-def: $vgpr8_vgpr9
	s_wait_alu 0xfffe
	s_cbranch_vccz .LBB237_8
; %bb.7:                                ;   in Loop: Header=BB237_3 Depth=1
	s_and_not1_b32 vcc_lo, exec_lo, s1
	s_wait_alu 0xfffe
	s_cbranch_vccnz .LBB237_2
	s_branch .LBB237_9
.LBB237_8:                              ;   in Loop: Header=BB237_3 Depth=1
	v_lshlrev_b64_e32 v[8:9], 3, v[0:1]
	v_lshlrev_b64_e32 v[14:15], 3, v[2:3]
	v_dual_mul_f32 v13, s22, v55 :: v_dual_mul_f32 v58, s22, v54
	v_dual_mul_f32 v12, s23, v55 :: v_dual_mul_f32 v57, s23, v54
	v_mul_f32_e32 v60, s22, v52
	v_add_co_u32 v63, vcc_lo, v10, v8
	s_wait_alu 0xfffd
	v_add_co_ci_u32_e64 v64, null, v11, v9, vcc_lo
	v_dual_mul_f32 v59, s23, v52 :: v_dual_mul_f32 v62, s22, v50
	s_delay_alu instid0(VALU_DEP_3)
	v_add_co_u32 v8, vcc_lo, v63, v14
	v_dual_mul_f32 v61, s23, v50 :: v_dual_fmac_f32 v58, s23, v53
	v_fmac_f32_e32 v13, s23, v56
	v_fma_f32 v12, v56, s22, -v12
	s_wait_alu 0xfffd
	v_add_co_ci_u32_e64 v9, null, v64, v15, vcc_lo
	v_add_co_u32 v63, vcc_lo, v63, s24
	v_fma_f32 v57, v53, s22, -v57
	v_fma_f32 v59, v51, s22, -v59
	v_fmac_f32_e32 v60, s23, v51
	s_wait_alu 0xfffd
	v_add_co_ci_u32_e64 v65, null, s25, v64, vcc_lo
	v_fma_f32 v61, v49, s22, -v61
	v_fmac_f32_e32 v62, s23, v49
	s_clause 0x3
	flat_store_b64 v[8:9], v[12:13]
	flat_store_b64 v[8:9], v[57:58] offset:128
	flat_store_b64 v[8:9], v[59:60] offset:256
	;; [unrolled: 1-line block ×3, first 2 shown]
	v_dual_mul_f32 v8, s23, v48 :: v_dual_mul_f32 v57, s23, v46
	v_mul_f32_e32 v9, s22, v48
	v_add_co_u32 v12, vcc_lo, v63, v14
	v_dual_mul_f32 v58, s22, v46 :: v_dual_mul_f32 v59, s23, v44
	v_dual_mul_f32 v60, s22, v44 :: v_dual_mul_f32 v61, s23, v42
	s_wait_alu 0xfffd
	v_add_co_ci_u32_e64 v13, null, v65, v15, vcc_lo
	v_add_co_u32 v73, vcc_lo, v63, s24
	v_dual_mul_f32 v62, s22, v42 :: v_dual_mul_f32 v69, s23, v36
	v_mul_f32_e32 v66, s23, v40
	v_mul_f32_e32 v64, s22, v40
	s_wait_alu 0xfffd
	v_add_co_ci_u32_e64 v74, null, s25, v65, vcc_lo
	v_fma_f32 v8, v47, s22, -v8
	v_dual_fmac_f32 v9, s23, v47 :: v_dual_fmac_f32 v58, s23, v45
	v_dual_mul_f32 v67, s23, v38 :: v_dual_fmac_f32 v60, s23, v43
	v_mul_f32_e32 v71, s23, v34
	v_mul_f32_e32 v68, s22, v38
	;; [unrolled: 1-line block ×4, first 2 shown]
	v_fma_f32 v57, v45, s22, -v57
	v_fma_f32 v59, v43, s22, -v59
	v_add_co_u32 v65, vcc_lo, v73, v14
	v_fma_f32 v61, v41, s22, -v61
	v_fmac_f32_e32 v62, s23, v41
	v_fma_f32 v63, v39, s22, -v66
	v_fmac_f32_e32 v64, s23, v39
	s_wait_alu 0xfffd
	v_add_co_ci_u32_e64 v66, null, v74, v15, vcc_lo
	v_fma_f32 v67, v37, s22, -v67
	v_fmac_f32_e32 v68, s23, v37
	v_fma_f32 v69, v35, s22, -v69
	v_fmac_f32_e32 v70, s23, v35
	;; [unrolled: 2-line block ×3, first 2 shown]
	s_clause 0x7
	flat_store_b64 v[12:13], v[8:9]
	flat_store_b64 v[12:13], v[57:58] offset:128
	flat_store_b64 v[12:13], v[59:60] offset:256
	;; [unrolled: 1-line block ×3, first 2 shown]
	flat_store_b64 v[65:66], v[63:64]
	flat_store_b64 v[65:66], v[67:68] offset:128
	flat_store_b64 v[65:66], v[69:70] offset:256
	;; [unrolled: 1-line block ×3, first 2 shown]
	v_mul_f32_e32 v8, s23, v32
	v_add_co_u32 v9, vcc_lo, v73, s24
	s_wait_alu 0xfffd
	v_add_co_ci_u32_e64 v12, null, s25, v74, vcc_lo
	s_delay_alu instid0(VALU_DEP_3)
	v_fma_f32 v57, v31, s22, -v8
	v_mul_f32_e32 v8, s23, v30
	v_add_co_u32 v13, vcc_lo, v9, v14
	v_mul_f32_e32 v58, s22, v32
	s_wait_alu 0xfffd
	v_add_co_ci_u32_e64 v14, null, v12, v15, vcc_lo
	v_fma_f32 v59, v29, s22, -v8
	v_dual_mul_f32 v8, s23, v28 :: v_dual_mul_f32 v9, s23, v26
	v_mul_f32_e32 v12, s22, v26
	v_mul_f32_e32 v60, s22, v30
	;; [unrolled: 1-line block ×3, first 2 shown]
	s_delay_alu instid0(VALU_DEP_4)
	v_fma_f32 v61, v27, s22, -v8
	v_add_co_u32 v8, vcc_lo, 0x180, v13
	v_fmac_f32_e32 v58, s23, v31
	v_fma_f32 v15, v25, s22, -v9
	v_fmac_f32_e32 v12, s23, v25
	s_wait_alu 0xfffd
	v_add_co_ci_u32_e64 v9, null, 0, v14, vcc_lo
	v_fmac_f32_e32 v60, s23, v29
	v_fmac_f32_e32 v62, s23, v27
	s_clause 0x3
	flat_store_b64 v[13:14], v[57:58]
	flat_store_b64 v[13:14], v[59:60] offset:128
	flat_store_b64 v[13:14], v[61:62] offset:256
	flat_store_b32 v[13:14], v15 offset:384
	s_cbranch_execnz .LBB237_2
.LBB237_9:                              ;   in Loop: Header=BB237_3 Depth=1
	v_add_co_u32 v8, vcc_lo, v6, s14
	s_wait_alu 0xfffd
	v_add_co_ci_u32_e64 v9, null, s15, v7, vcc_lo
	v_lshlrev_b64_e32 v[6:7], 3, v[2:3]
	s_delay_alu instid0(VALU_DEP_3) | instskip(SKIP_1) | instid1(VALU_DEP_3)
	v_add_co_u32 v57, vcc_lo, v8, v4
	s_wait_alu 0xfffd
	v_add_co_ci_u32_e64 v58, null, v9, v5, vcc_lo
	v_lshlrev_b64_e32 v[14:15], 3, v[0:1]
	s_delay_alu instid0(VALU_DEP_3) | instskip(SKIP_1) | instid1(VALU_DEP_3)
	v_add_co_u32 v8, vcc_lo, v57, v6
	s_wait_alu 0xfffd
	v_add_co_ci_u32_e64 v9, null, v58, v7, vcc_lo
	s_delay_alu instid0(VALU_DEP_3)
	v_add_co_u32 v14, vcc_lo, v10, v14
	flat_load_b64 v[12:13], v[8:9]
	v_mul_f32_e32 v59, s23, v55
	s_wait_alu 0xfffd
	v_add_co_ci_u32_e64 v15, null, v11, v15, vcc_lo
	v_add_co_u32 v10, vcc_lo, v14, v6
	s_delay_alu instid0(VALU_DEP_3) | instskip(SKIP_4) | instid1(VALU_DEP_2)
	v_fma_f32 v59, v56, s22, -v59
	v_mul_f32_e32 v55, s22, v55
	s_wait_alu 0xfffd
	v_add_co_ci_u32_e64 v11, null, v15, v7, vcc_lo
	s_wait_loadcnt_dscnt 0x0
	v_dual_fmac_f32 v55, s23, v56 :: v_dual_mul_f32 v56, s35, v13
	v_mul_f32_e32 v13, s34, v13
	s_delay_alu instid0(VALU_DEP_2) | instskip(NEXT) | instid1(VALU_DEP_2)
	v_fma_f32 v56, v12, s34, -v56
	v_fmac_f32_e32 v13, s35, v12
	s_delay_alu instid0(VALU_DEP_2) | instskip(NEXT) | instid1(VALU_DEP_2)
	v_add_f32_e32 v12, v59, v56
	v_add_f32_e32 v13, v55, v13
	flat_store_b64 v[10:11], v[12:13]
	flat_load_b64 v[12:13], v[8:9] offset:128
	v_mul_f32_e32 v55, s23, v54
	v_mul_f32_e32 v54, s22, v54
	s_delay_alu instid0(VALU_DEP_1) | instskip(SKIP_4) | instid1(VALU_DEP_3)
	v_fmac_f32_e32 v54, s23, v53
	s_wait_loadcnt_dscnt 0x0
	v_mul_f32_e32 v56, s35, v13
	v_mul_f32_e32 v13, s34, v13
	v_fma_f32 v55, v53, s22, -v55
	v_fma_f32 v53, v12, s34, -v56
	s_delay_alu instid0(VALU_DEP_1) | instskip(NEXT) | instid1(VALU_DEP_1)
	v_dual_fmac_f32 v13, s35, v12 :: v_dual_add_f32 v12, v55, v53
	v_add_f32_e32 v13, v54, v13
	flat_store_b64 v[10:11], v[12:13] offset:128
	flat_load_b64 v[12:13], v[8:9] offset:256
	v_mul_f32_e32 v53, s23, v52
	v_mul_f32_e32 v52, s22, v52
	s_delay_alu instid0(VALU_DEP_1) | instskip(SKIP_4) | instid1(VALU_DEP_3)
	v_fmac_f32_e32 v52, s23, v51
	s_wait_loadcnt_dscnt 0x0
	v_mul_f32_e32 v54, s35, v13
	v_mul_f32_e32 v13, s34, v13
	v_fma_f32 v53, v51, s22, -v53
	v_fma_f32 v51, v12, s34, -v54
	s_delay_alu instid0(VALU_DEP_1) | instskip(NEXT) | instid1(VALU_DEP_1)
	v_dual_fmac_f32 v13, s35, v12 :: v_dual_add_f32 v12, v53, v51
	v_add_f32_e32 v13, v52, v13
	flat_store_b64 v[10:11], v[12:13] offset:256
	flat_load_b64 v[8:9], v[8:9] offset:384
	v_mul_f32_e32 v12, s23, v50
	s_delay_alu instid0(VALU_DEP_1) | instskip(SKIP_1) | instid1(VALU_DEP_1)
	v_fma_f32 v12, v49, s22, -v12
	v_mul_f32_e32 v13, s22, v50
	v_fmac_f32_e32 v13, s23, v49
	s_wait_loadcnt_dscnt 0x0
	v_mul_f32_e32 v50, s35, v9
	v_mul_f32_e32 v9, s34, v9
	s_delay_alu instid0(VALU_DEP_2) | instskip(SKIP_1) | instid1(VALU_DEP_3)
	v_fma_f32 v49, v8, s34, -v50
	v_add_co_u32 v50, vcc_lo, v57, s16
	v_fmac_f32_e32 v9, s35, v8
	s_wait_alu 0xfffd
	v_add_co_ci_u32_e64 v51, null, s17, v58, vcc_lo
	v_add_f32_e32 v8, v12, v49
	v_add_co_u32 v12, vcc_lo, v50, v6
	v_add_f32_e32 v9, v13, v9
	s_wait_alu 0xfffd
	v_add_co_ci_u32_e64 v13, null, v51, v7, vcc_lo
	v_add_co_u32 v14, vcc_lo, v14, s24
	flat_store_b64 v[10:11], v[8:9] offset:384
	flat_load_b64 v[8:9], v[12:13]
	v_mul_f32_e32 v10, s23, v48
	v_mul_f32_e32 v11, s22, v48
	s_wait_alu 0xfffd
	v_add_co_ci_u32_e64 v15, null, s25, v15, vcc_lo
	s_delay_alu instid0(VALU_DEP_3) | instskip(SKIP_2) | instid1(VALU_DEP_1)
	v_fma_f32 v10, v47, s22, -v10
	s_wait_loadcnt_dscnt 0x0
	v_dual_mul_f32 v48, s34, v9 :: v_dual_fmac_f32 v11, s23, v47
	v_dual_mul_f32 v47, s35, v9 :: v_dual_fmac_f32 v48, s35, v8
	s_delay_alu instid0(VALU_DEP_1) | instskip(SKIP_3) | instid1(VALU_DEP_3)
	v_fma_f32 v47, v8, s34, -v47
	v_add_co_u32 v8, vcc_lo, v14, v6
	s_wait_alu 0xfffd
	v_add_co_ci_u32_e64 v9, null, v15, v7, vcc_lo
	v_dual_add_f32 v10, v10, v47 :: v_dual_mul_f32 v47, s23, v46
	v_mul_f32_e32 v46, s22, v46
	s_delay_alu instid0(VALU_DEP_2) | instskip(NEXT) | instid1(VALU_DEP_2)
	v_fma_f32 v47, v45, s22, -v47
	v_dual_fmac_f32 v46, s23, v45 :: v_dual_add_f32 v11, v11, v48
	flat_store_b64 v[8:9], v[10:11]
	flat_load_b64 v[10:11], v[12:13] offset:128
	s_wait_loadcnt_dscnt 0x0
	v_mul_f32_e32 v48, s35, v11
	s_delay_alu instid0(VALU_DEP_1) | instskip(SKIP_1) | instid1(VALU_DEP_1)
	v_fma_f32 v45, v10, s34, -v48
	v_mul_f32_e32 v11, s34, v11
	v_dual_fmac_f32 v11, s35, v10 :: v_dual_add_f32 v10, v47, v45
	v_mul_f32_e32 v45, s23, v44
	s_delay_alu instid0(VALU_DEP_2) | instskip(NEXT) | instid1(VALU_DEP_2)
	v_dual_mul_f32 v44, s22, v44 :: v_dual_add_f32 v11, v46, v11
	v_fma_f32 v45, v43, s22, -v45
	s_delay_alu instid0(VALU_DEP_2)
	v_fmac_f32_e32 v44, s23, v43
	flat_store_b64 v[8:9], v[10:11] offset:128
	flat_load_b64 v[10:11], v[12:13] offset:256
	s_wait_loadcnt_dscnt 0x0
	v_mul_f32_e32 v46, s35, v11
	v_mul_f32_e32 v11, s34, v11
	s_delay_alu instid0(VALU_DEP_2) | instskip(NEXT) | instid1(VALU_DEP_1)
	v_fma_f32 v43, v10, s34, -v46
	v_dual_fmac_f32 v11, s35, v10 :: v_dual_add_f32 v10, v45, v43
	s_delay_alu instid0(VALU_DEP_1) | instskip(SKIP_4) | instid1(VALU_DEP_2)
	v_add_f32_e32 v11, v44, v11
	flat_store_b64 v[8:9], v[10:11] offset:256
	flat_load_b64 v[10:11], v[12:13] offset:384
	v_mul_f32_e32 v12, s23, v42
	v_mul_f32_e32 v13, s22, v42
	v_fma_f32 v12, v41, s22, -v12
	s_wait_loadcnt_dscnt 0x0
	s_delay_alu instid0(VALU_DEP_2) | instskip(SKIP_1) | instid1(VALU_DEP_2)
	v_dual_fmac_f32 v13, s23, v41 :: v_dual_mul_f32 v42, s35, v11
	v_mul_f32_e32 v11, s34, v11
	v_fma_f32 v41, v10, s34, -v42
	v_add_co_u32 v42, vcc_lo, v50, s16
	s_delay_alu instid0(VALU_DEP_3)
	v_fmac_f32_e32 v11, s35, v10
	s_wait_alu 0xfffd
	v_add_co_ci_u32_e64 v43, null, s17, v51, vcc_lo
	v_add_f32_e32 v10, v12, v41
	v_add_co_u32 v12, vcc_lo, v42, v6
	v_add_f32_e32 v11, v13, v11
	s_wait_alu 0xfffd
	v_add_co_ci_u32_e64 v13, null, v43, v7, vcc_lo
	v_add_co_u32 v14, vcc_lo, v14, s24
	flat_store_b64 v[8:9], v[10:11] offset:384
	flat_load_b64 v[8:9], v[12:13]
	v_mul_f32_e32 v10, s23, v40
	v_mul_f32_e32 v11, s22, v40
	s_wait_alu 0xfffd
	v_add_co_ci_u32_e64 v15, null, s25, v15, vcc_lo
	s_delay_alu instid0(VALU_DEP_3) | instskip(NEXT) | instid1(VALU_DEP_3)
	v_fma_f32 v10, v39, s22, -v10
	v_fmac_f32_e32 v11, s23, v39
	s_wait_loadcnt_dscnt 0x0
	v_mul_f32_e32 v39, s35, v9
	v_mul_f32_e32 v40, s34, v9
	s_delay_alu instid0(VALU_DEP_2) | instskip(NEXT) | instid1(VALU_DEP_2)
	v_fma_f32 v39, v8, s34, -v39
	v_fmac_f32_e32 v40, s35, v8
	v_add_co_u32 v8, vcc_lo, v14, v6
	s_wait_alu 0xfffd
	v_add_co_ci_u32_e64 v9, null, v15, v7, vcc_lo
	s_delay_alu instid0(VALU_DEP_3)
	v_dual_add_f32 v10, v10, v39 :: v_dual_add_f32 v11, v11, v40
	v_mul_f32_e32 v39, s23, v38
	v_mul_f32_e32 v38, s22, v38
	flat_store_b64 v[8:9], v[10:11]
	flat_load_b64 v[10:11], v[12:13] offset:128
	v_fma_f32 v39, v37, s22, -v39
	v_fmac_f32_e32 v38, s23, v37
	s_wait_loadcnt_dscnt 0x0
	v_mul_f32_e32 v40, s35, v11
	v_mul_f32_e32 v11, s34, v11
	s_delay_alu instid0(VALU_DEP_2) | instskip(NEXT) | instid1(VALU_DEP_1)
	v_fma_f32 v37, v10, s34, -v40
	v_dual_fmac_f32 v11, s35, v10 :: v_dual_add_f32 v10, v39, v37
	s_delay_alu instid0(VALU_DEP_1)
	v_add_f32_e32 v11, v38, v11
	v_mul_f32_e32 v37, s23, v36
	v_mul_f32_e32 v36, s22, v36
	flat_store_b64 v[8:9], v[10:11] offset:128
	flat_load_b64 v[10:11], v[12:13] offset:256
	v_fma_f32 v37, v35, s22, -v37
	v_fmac_f32_e32 v36, s23, v35
	s_wait_loadcnt_dscnt 0x0
	v_mul_f32_e32 v38, s35, v11
	v_mul_f32_e32 v11, s34, v11
	s_delay_alu instid0(VALU_DEP_2) | instskip(NEXT) | instid1(VALU_DEP_1)
	v_fma_f32 v35, v10, s34, -v38
	v_dual_fmac_f32 v11, s35, v10 :: v_dual_add_f32 v10, v37, v35
	s_delay_alu instid0(VALU_DEP_1) | instskip(SKIP_4) | instid1(VALU_DEP_2)
	v_add_f32_e32 v11, v36, v11
	flat_store_b64 v[8:9], v[10:11] offset:256
	flat_load_b64 v[10:11], v[12:13] offset:384
	v_mul_f32_e32 v12, s23, v34
	v_mul_f32_e32 v13, s22, v34
	v_fma_f32 v12, v33, s22, -v12
	s_wait_loadcnt_dscnt 0x0
	s_delay_alu instid0(VALU_DEP_2) | instskip(SKIP_1) | instid1(VALU_DEP_2)
	v_dual_fmac_f32 v13, s23, v33 :: v_dual_mul_f32 v34, s35, v11
	v_mul_f32_e32 v11, s34, v11
	v_fma_f32 v33, v10, s34, -v34
	v_add_co_u32 v34, vcc_lo, v42, s16
	s_delay_alu instid0(VALU_DEP_3)
	v_fmac_f32_e32 v11, s35, v10
	s_wait_alu 0xfffd
	v_add_co_ci_u32_e64 v35, null, s17, v43, vcc_lo
	v_add_f32_e32 v10, v12, v33
	v_add_co_u32 v12, vcc_lo, v34, v6
	v_add_f32_e32 v11, v13, v11
	s_wait_alu 0xfffd
	v_add_co_ci_u32_e64 v13, null, v35, v7, vcc_lo
	v_add_co_u32 v14, vcc_lo, v14, s24
	flat_store_b64 v[8:9], v[10:11] offset:384
	flat_load_b64 v[8:9], v[12:13]
	v_mul_f32_e32 v10, s23, v32
	v_mul_f32_e32 v11, s22, v32
	s_wait_alu 0xfffd
	v_add_co_ci_u32_e64 v15, null, s25, v15, vcc_lo
	v_add_co_u32 v6, vcc_lo, v14, v6
	v_fma_f32 v10, v31, s22, -v10
	v_fmac_f32_e32 v11, s23, v31
	s_wait_alu 0xfffd
	v_add_co_ci_u32_e64 v7, null, v15, v7, vcc_lo
	s_wait_loadcnt_dscnt 0x0
	v_mul_f32_e32 v31, s35, v9
	v_mul_f32_e32 v9, s34, v9
	s_delay_alu instid0(VALU_DEP_2) | instskip(NEXT) | instid1(VALU_DEP_1)
	v_fma_f32 v31, v8, s34, -v31
	v_dual_fmac_f32 v9, s35, v8 :: v_dual_add_f32 v8, v10, v31
	s_delay_alu instid0(VALU_DEP_1)
	v_dual_add_f32 v9, v11, v9 :: v_dual_mul_f32 v10, s23, v30
	v_mul_f32_e32 v11, s22, v30
	flat_store_b64 v[6:7], v[8:9]
	flat_load_b64 v[8:9], v[12:13] offset:128
	v_fma_f32 v10, v29, s22, -v10
	v_fmac_f32_e32 v11, s23, v29
	s_wait_loadcnt_dscnt 0x0
	v_mul_f32_e32 v14, s35, v9
	v_mul_f32_e32 v9, s34, v9
	s_delay_alu instid0(VALU_DEP_2) | instskip(NEXT) | instid1(VALU_DEP_1)
	v_fma_f32 v14, v8, s34, -v14
	v_dual_fmac_f32 v9, s35, v8 :: v_dual_add_f32 v8, v10, v14
	s_delay_alu instid0(VALU_DEP_1)
	v_dual_add_f32 v9, v11, v9 :: v_dual_mul_f32 v10, s23, v28
	v_mul_f32_e32 v11, s22, v28
	flat_store_b64 v[6:7], v[8:9] offset:128
	flat_load_b64 v[8:9], v[12:13] offset:256
	v_fma_f32 v10, v27, s22, -v10
	s_wait_loadcnt_dscnt 0x0
	v_dual_fmac_f32 v11, s23, v27 :: v_dual_mul_f32 v14, s35, v9
	v_mul_f32_e32 v9, s34, v9
	s_delay_alu instid0(VALU_DEP_2) | instskip(NEXT) | instid1(VALU_DEP_1)
	v_fma_f32 v14, v8, s34, -v14
	v_dual_fmac_f32 v9, s35, v8 :: v_dual_add_f32 v8, v10, v14
	s_delay_alu instid0(VALU_DEP_1)
	v_dual_add_f32 v9, v11, v9 :: v_dual_mul_f32 v10, s23, v26
	v_mul_f32_e32 v11, s22, v26
	flat_store_b64 v[6:7], v[8:9] offset:256
	flat_load_b64 v[8:9], v[12:13] offset:384
	v_fma_f32 v10, v25, s22, -v10
	v_fmac_f32_e32 v11, s23, v25
	s_wait_loadcnt_dscnt 0x0
	v_mul_f32_e32 v12, s35, v9
	v_mul_f32_e32 v9, s34, v9
	s_delay_alu instid0(VALU_DEP_2) | instskip(NEXT) | instid1(VALU_DEP_2)
	v_fma_f32 v12, v8, s34, -v12
	v_fmac_f32_e32 v9, s35, v8
	v_add_co_u32 v8, vcc_lo, 0x180, v6
	s_delay_alu instid0(VALU_DEP_3) | instskip(NEXT) | instid1(VALU_DEP_3)
	v_add_f32_e32 v10, v10, v12
	v_add_f32_e32 v12, v11, v9
	s_wait_alu 0xfffd
	v_add_co_ci_u32_e64 v9, null, 0, v7, vcc_lo
	flat_store_b32 v[6:7], v10 offset:384
	s_branch .LBB237_2
.LBB237_10:
	s_nop 0
	s_sendmsg sendmsg(MSG_DEALLOC_VGPRS)
	s_endpgm
	.section	.rodata,"a",@progbits
	.p2align	6, 0x0
	.amdhsa_kernel _ZN12_GLOBAL__N_127rocblas_gemm_batched_kernelI19rocblas_complex_numIfELi16ELi16ELi64ELi64ELi4ELi64ELi4ELi4ELi64ELc84ELc84EKPKS2_S5_KPS2_EEvlllT_PT11_llSA_llS8_PT12_llPT13_lli
		.amdhsa_group_segment_fixed_size 4096
		.amdhsa_private_segment_fixed_size 0
		.amdhsa_kernarg_size 140
		.amdhsa_user_sgpr_count 2
		.amdhsa_user_sgpr_dispatch_ptr 0
		.amdhsa_user_sgpr_queue_ptr 0
		.amdhsa_user_sgpr_kernarg_segment_ptr 1
		.amdhsa_user_sgpr_dispatch_id 0
		.amdhsa_user_sgpr_private_segment_size 0
		.amdhsa_wavefront_size32 1
		.amdhsa_uses_dynamic_stack 0
		.amdhsa_enable_private_segment 0
		.amdhsa_system_sgpr_workgroup_id_x 1
		.amdhsa_system_sgpr_workgroup_id_y 1
		.amdhsa_system_sgpr_workgroup_id_z 1
		.amdhsa_system_sgpr_workgroup_info 0
		.amdhsa_system_vgpr_workitem_id 1
		.amdhsa_next_free_vgpr 201
		.amdhsa_next_free_sgpr 40
		.amdhsa_reserve_vcc 1
		.amdhsa_float_round_mode_32 0
		.amdhsa_float_round_mode_16_64 0
		.amdhsa_float_denorm_mode_32 3
		.amdhsa_float_denorm_mode_16_64 3
		.amdhsa_fp16_overflow 0
		.amdhsa_workgroup_processor_mode 1
		.amdhsa_memory_ordered 1
		.amdhsa_forward_progress 1
		.amdhsa_inst_pref_size 44
		.amdhsa_round_robin_scheduling 0
		.amdhsa_exception_fp_ieee_invalid_op 0
		.amdhsa_exception_fp_denorm_src 0
		.amdhsa_exception_fp_ieee_div_zero 0
		.amdhsa_exception_fp_ieee_overflow 0
		.amdhsa_exception_fp_ieee_underflow 0
		.amdhsa_exception_fp_ieee_inexact 0
		.amdhsa_exception_int_div_zero 0
	.end_amdhsa_kernel
	.section	.text._ZN12_GLOBAL__N_127rocblas_gemm_batched_kernelI19rocblas_complex_numIfELi16ELi16ELi64ELi64ELi4ELi64ELi4ELi4ELi64ELc84ELc84EKPKS2_S5_KPS2_EEvlllT_PT11_llSA_llS8_PT12_llPT13_lli,"axG",@progbits,_ZN12_GLOBAL__N_127rocblas_gemm_batched_kernelI19rocblas_complex_numIfELi16ELi16ELi64ELi64ELi4ELi64ELi4ELi4ELi64ELc84ELc84EKPKS2_S5_KPS2_EEvlllT_PT11_llSA_llS8_PT12_llPT13_lli,comdat
.Lfunc_end237:
	.size	_ZN12_GLOBAL__N_127rocblas_gemm_batched_kernelI19rocblas_complex_numIfELi16ELi16ELi64ELi64ELi4ELi64ELi4ELi4ELi64ELc84ELc84EKPKS2_S5_KPS2_EEvlllT_PT11_llSA_llS8_PT12_llPT13_lli, .Lfunc_end237-_ZN12_GLOBAL__N_127rocblas_gemm_batched_kernelI19rocblas_complex_numIfELi16ELi16ELi64ELi64ELi4ELi64ELi4ELi4ELi64ELc84ELc84EKPKS2_S5_KPS2_EEvlllT_PT11_llSA_llS8_PT12_llPT13_lli
                                        ; -- End function
	.set _ZN12_GLOBAL__N_127rocblas_gemm_batched_kernelI19rocblas_complex_numIfELi16ELi16ELi64ELi64ELi4ELi64ELi4ELi4ELi64ELc84ELc84EKPKS2_S5_KPS2_EEvlllT_PT11_llSA_llS8_PT12_llPT13_lli.num_vgpr, 201
	.set _ZN12_GLOBAL__N_127rocblas_gemm_batched_kernelI19rocblas_complex_numIfELi16ELi16ELi64ELi64ELi4ELi64ELi4ELi4ELi64ELc84ELc84EKPKS2_S5_KPS2_EEvlllT_PT11_llSA_llS8_PT12_llPT13_lli.num_agpr, 0
	.set _ZN12_GLOBAL__N_127rocblas_gemm_batched_kernelI19rocblas_complex_numIfELi16ELi16ELi64ELi64ELi4ELi64ELi4ELi4ELi64ELc84ELc84EKPKS2_S5_KPS2_EEvlllT_PT11_llSA_llS8_PT12_llPT13_lli.numbered_sgpr, 40
	.set _ZN12_GLOBAL__N_127rocblas_gemm_batched_kernelI19rocblas_complex_numIfELi16ELi16ELi64ELi64ELi4ELi64ELi4ELi4ELi64ELc84ELc84EKPKS2_S5_KPS2_EEvlllT_PT11_llSA_llS8_PT12_llPT13_lli.num_named_barrier, 0
	.set _ZN12_GLOBAL__N_127rocblas_gemm_batched_kernelI19rocblas_complex_numIfELi16ELi16ELi64ELi64ELi4ELi64ELi4ELi4ELi64ELc84ELc84EKPKS2_S5_KPS2_EEvlllT_PT11_llSA_llS8_PT12_llPT13_lli.private_seg_size, 0
	.set _ZN12_GLOBAL__N_127rocblas_gemm_batched_kernelI19rocblas_complex_numIfELi16ELi16ELi64ELi64ELi4ELi64ELi4ELi4ELi64ELc84ELc84EKPKS2_S5_KPS2_EEvlllT_PT11_llSA_llS8_PT12_llPT13_lli.uses_vcc, 1
	.set _ZN12_GLOBAL__N_127rocblas_gemm_batched_kernelI19rocblas_complex_numIfELi16ELi16ELi64ELi64ELi4ELi64ELi4ELi4ELi64ELc84ELc84EKPKS2_S5_KPS2_EEvlllT_PT11_llSA_llS8_PT12_llPT13_lli.uses_flat_scratch, 1
	.set _ZN12_GLOBAL__N_127rocblas_gemm_batched_kernelI19rocblas_complex_numIfELi16ELi16ELi64ELi64ELi4ELi64ELi4ELi4ELi64ELc84ELc84EKPKS2_S5_KPS2_EEvlllT_PT11_llSA_llS8_PT12_llPT13_lli.has_dyn_sized_stack, 0
	.set _ZN12_GLOBAL__N_127rocblas_gemm_batched_kernelI19rocblas_complex_numIfELi16ELi16ELi64ELi64ELi4ELi64ELi4ELi4ELi64ELc84ELc84EKPKS2_S5_KPS2_EEvlllT_PT11_llSA_llS8_PT12_llPT13_lli.has_recursion, 0
	.set _ZN12_GLOBAL__N_127rocblas_gemm_batched_kernelI19rocblas_complex_numIfELi16ELi16ELi64ELi64ELi4ELi64ELi4ELi4ELi64ELc84ELc84EKPKS2_S5_KPS2_EEvlllT_PT11_llSA_llS8_PT12_llPT13_lli.has_indirect_call, 0
	.section	.AMDGPU.csdata,"",@progbits
; Kernel info:
; codeLenInByte = 5592
; TotalNumSgprs: 42
; NumVgprs: 201
; ScratchSize: 0
; MemoryBound: 0
; FloatMode: 240
; IeeeMode: 1
; LDSByteSize: 4096 bytes/workgroup (compile time only)
; SGPRBlocks: 0
; VGPRBlocks: 25
; NumSGPRsForWavesPerEU: 42
; NumVGPRsForWavesPerEU: 201
; Occupancy: 7
; WaveLimiterHint : 1
; COMPUTE_PGM_RSRC2:SCRATCH_EN: 0
; COMPUTE_PGM_RSRC2:USER_SGPR: 2
; COMPUTE_PGM_RSRC2:TRAP_HANDLER: 0
; COMPUTE_PGM_RSRC2:TGID_X_EN: 1
; COMPUTE_PGM_RSRC2:TGID_Y_EN: 1
; COMPUTE_PGM_RSRC2:TGID_Z_EN: 1
; COMPUTE_PGM_RSRC2:TIDIG_COMP_CNT: 1
	.section	.text._ZN12_GLOBAL__N_127rocblas_gemm_batched_kernelI19rocblas_complex_numIfELi16ELi16ELi64ELi64ELi4ELi64ELi4ELi4ELi64ELc67ELc67EKPKS2_S5_KPS2_EEvlllT_PT11_llSA_llS8_PT12_llPT13_lli,"axG",@progbits,_ZN12_GLOBAL__N_127rocblas_gemm_batched_kernelI19rocblas_complex_numIfELi16ELi16ELi64ELi64ELi4ELi64ELi4ELi4ELi64ELc67ELc67EKPKS2_S5_KPS2_EEvlllT_PT11_llSA_llS8_PT12_llPT13_lli,comdat
	.globl	_ZN12_GLOBAL__N_127rocblas_gemm_batched_kernelI19rocblas_complex_numIfELi16ELi16ELi64ELi64ELi4ELi64ELi4ELi4ELi64ELc67ELc67EKPKS2_S5_KPS2_EEvlllT_PT11_llSA_llS8_PT12_llPT13_lli ; -- Begin function _ZN12_GLOBAL__N_127rocblas_gemm_batched_kernelI19rocblas_complex_numIfELi16ELi16ELi64ELi64ELi4ELi64ELi4ELi4ELi64ELc67ELc67EKPKS2_S5_KPS2_EEvlllT_PT11_llSA_llS8_PT12_llPT13_lli
	.p2align	8
	.type	_ZN12_GLOBAL__N_127rocblas_gemm_batched_kernelI19rocblas_complex_numIfELi16ELi16ELi64ELi64ELi4ELi64ELi4ELi4ELi64ELc67ELc67EKPKS2_S5_KPS2_EEvlllT_PT11_llSA_llS8_PT12_llPT13_lli,@function
_ZN12_GLOBAL__N_127rocblas_gemm_batched_kernelI19rocblas_complex_numIfELi16ELi16ELi64ELi64ELi4ELi64ELi4ELi4ELi64ELc67ELc67EKPKS2_S5_KPS2_EEvlllT_PT11_llSA_llS8_PT12_llPT13_lli: ; @_ZN12_GLOBAL__N_127rocblas_gemm_batched_kernelI19rocblas_complex_numIfELi16ELi16ELi64ELi64ELi4ELi64ELi4ELi4ELi64ELc67ELc67EKPKS2_S5_KPS2_EEvlllT_PT11_llSA_llS8_PT12_llPT13_lli
; %bb.0:
	s_load_b32 s33, s[0:1], 0x88
	s_lshr_b32 s2, ttmp7, 16
	s_wait_kmcnt 0x0
	s_cmp_ge_i32 s2, s33
	s_cbranch_scc1 .LBB238_10
; %bb.1:
	v_dual_mov_b32 v16, 0 :: v_dual_and_b32 v13, 0x3ff, v0
	v_bfe_u32 v8, v0, 10, 10
	s_load_b128 s[28:31], s[0:1], 0x40
	s_lshl_b32 s3, ttmp7, 6
	v_and_b32_e32 v6, 3, v0
	s_and_b32 s38, s3, 0x3fffc0
	v_lshl_add_u32 v2, v8, 4, v13
	s_clause 0x4
	s_load_b128 s[20:23], s[0:1], 0x10
	s_load_b256 s[4:11], s[0:1], 0x20
	s_load_b128 s[24:27], s[0:1], 0x78
	s_load_b64 s[34:35], s[0:1], 0x50
	s_load_b256 s[12:19], s[0:1], 0x58
	v_add_nc_u32_e32 v12, s38, v8
	s_mov_b32 s36, ttmp9
	v_lshrrev_b32_e32 v3, 2, v2
	v_and_b32_e32 v7, 63, v2
	s_ashr_i32 s37, ttmp9, 31
	v_lshrrev_b32_e32 v14, 6, v2
	s_lshl_b64 s[0:1], s[36:37], 6
	v_add_co_u32 v0, s3, v3, s38
	s_delay_alu instid0(VALU_DEP_1) | instskip(SKIP_3) | instid1(VALU_DEP_2)
	v_add_co_ci_u32_e64 v1, null, 0, 0, s3
	v_lshl_add_u32 v20, v8, 5, 0x800
	s_mov_b32 s3, 0
	s_wait_kmcnt 0x0
	v_mad_co_u64_u32 v[4:5], null, s28, v6, v[0:1]
	v_lshlrev_b32_e32 v1, 3, v6
	s_or_b32 s36, s34, s35
	s_delay_alu instid0(SALU_CYCLE_1) | instskip(NEXT) | instid1(VALU_DEP_2)
	s_bitset0_b32 s36, 31
	v_mov_b32_e32 v0, v5
	s_delay_alu instid0(VALU_DEP_2) | instskip(SKIP_2) | instid1(VALU_DEP_3)
	v_lshl_or_b32 v9, v3, 5, v1
	v_lshlrev_b32_e32 v5, 3, v7
	s_cmp_eq_u32 s36, 0
	v_mad_co_u64_u32 v[2:3], null, s29, v6, v[0:1]
	v_or_b32_e32 v3, s0, v7
	v_mad_co_u64_u32 v[6:7], null, v12, s14, 0
	v_mad_co_u64_u32 v[0:1], null, v12, s24, 0
	v_lshlrev_b32_e32 v17, 3, v13
	v_lshl_or_b32 v18, v14, 9, v5
	v_mov_b32_e32 v5, v2
	v_dual_mov_b32 v2, v7 :: v_dual_add_nc_u32 v19, 0x800, v9
	v_mul_lo_u32 v15, s7, v3
	v_mad_co_u64_u32 v[8:9], null, s6, v3, 0
	s_mul_i32 s6, s6, s1
	v_mad_co_u64_u32 v[10:11], null, v12, s25, v[1:2]
	s_cselect_b32 s36, -1, 0
	v_lshlrev_b64_e32 v[4:5], 3, v[4:5]
	s_lshl_b64 s[24:25], s[24:25], 4
	s_wait_alu 0xfffe
	v_add3_u32 v9, v9, s6, v15
	s_lshl_b64 s[38:39], s[14:15], 4
	s_lshl_b64 s[6:7], s[28:29], 5
	v_mov_b32_e32 v1, v10
	v_mad_co_u64_u32 v[11:12], null, v12, s15, v[2:3]
	v_lshlrev_b64_e32 v[8:9], 3, v[8:9]
	v_add_co_u32 v2, s0, s0, v13
	s_wait_alu 0xf1ff
	v_add_co_ci_u32_e64 v3, null, s1, 0, s0
	s_lshl_b64 s[0:1], s[8:9], 3
	v_dual_mov_b32 v7, v11 :: v_dual_lshlrev_b32 v10, 3, v14
	s_wait_alu 0xfffe
	v_add_co_u32 v8, vcc_lo, v8, s0
	s_delay_alu instid0(VALU_DEP_1)
	v_add_co_ci_u32_e64 v9, null, s1, v9, vcc_lo
	s_lshl_b64 s[0:1], s[30:31], 3
	v_add_co_u32 v21, vcc_lo, v8, v10
	s_wait_alu 0xfffd
	v_add_co_ci_u32_e64 v22, null, 0, v9, vcc_lo
	s_wait_alu 0xfffe
	v_add_co_u32 v4, vcc_lo, s0, v4
	v_cmp_gt_i64_e64 s0, s[20:21], 0
	s_wait_alu 0xfffd
	v_add_co_ci_u32_e64 v23, null, s1, v5, vcc_lo
	s_delay_alu instid0(VALU_DEP_3)
	v_or_b32_e32 v24, 4, v4
	v_lshlrev_b64_e32 v[4:5], 3, v[6:7]
	s_lshl_b64 s[8:9], s[26:27], 3
	s_wait_alu 0xf1ff
	v_cndmask_b32_e64 v8, 0, 1, s0
	s_lshl_b64 s[14:15], s[16:17], 3
	s_lshl_b64 s[16:17], s[38:39], 3
	;; [unrolled: 1-line block ×3, first 2 shown]
	s_delay_alu instid0(VALU_DEP_1)
	v_cmp_ne_u32_e64 s0, 1, v8
	s_branch .LBB238_3
.LBB238_2:                              ;   in Loop: Header=BB238_3 Depth=1
	s_add_co_i32 s2, s2, 0x10000
	flat_store_b32 v[8:9], v12 offset:4
	s_wait_alu 0xfffe
	s_cmp_lt_i32 s2, s33
	s_cbranch_scc0 .LBB238_10
.LBB238_3:                              ; =>This Loop Header: Depth=1
                                        ;     Child Loop BB238_5 Depth 2
	s_lshl_b64 s[26:27], s[2:3], 3
	v_dual_mov_b32 v56, 0 :: v_dual_mov_b32 v55, 0
	s_wait_alu 0xfffe
	s_add_nc_u64 s[28:29], s[12:13], s[26:27]
	s_add_nc_u64 s[30:31], s[18:19], s[26:27]
	s_clause 0x1
	global_load_b64 v[6:7], v16, s[28:29]
	global_load_b64 v[8:9], v16, s[30:31]
	v_dual_mov_b32 v53, 0 :: v_dual_mov_b32 v54, 0
	v_dual_mov_b32 v51, 0 :: v_dual_mov_b32 v52, 0
	;; [unrolled: 1-line block ×15, first 2 shown]
	s_and_b32 vcc_lo, exec_lo, s0
	s_wait_alu 0xfffe
	s_cbranch_vccnz .LBB238_6
; %bb.4:                                ;   in Loop: Header=BB238_3 Depth=1
	s_add_nc_u64 s[28:29], s[4:5], s[26:27]
	s_add_nc_u64 s[26:27], s[10:11], s[26:27]
	s_clause 0x1
	global_load_b64 v[10:11], v16, s[28:29]
	global_load_b64 v[12:13], v16, s[26:27]
	v_dual_mov_b32 v26, 0 :: v_dual_mov_b32 v25, 0
	v_dual_mov_b32 v28, 0 :: v_dual_mov_b32 v27, 0
	;; [unrolled: 1-line block ×16, first 2 shown]
	s_mov_b64 s[26:27], 0
	s_wait_loadcnt 0x1
	v_add_co_u32 v10, vcc_lo, v10, v21
	s_wait_alu 0xfffd
	v_add_co_ci_u32_e64 v11, null, v11, v22, vcc_lo
	s_wait_loadcnt 0x0
	v_add_co_u32 v12, vcc_lo, v12, v24
	s_wait_alu 0xfffd
	v_add_co_ci_u32_e64 v13, null, v13, v23, vcc_lo
.LBB238_5:                              ;   Parent Loop BB238_3 Depth=1
                                        ; =>  This Inner Loop Header: Depth=2
	flat_load_b64 v[14:15], v[10:11]
	s_wait_alu 0xfffe
	s_add_nc_u64 s[26:27], s[26:27], 4
	v_add_co_u32 v10, vcc_lo, v10, 32
	s_wait_alu 0xfffe
	v_cmp_lt_i64_e64 s1, s[26:27], s[20:21]
	s_wait_alu 0xfffd
	v_add_co_ci_u32_e64 v11, null, 0, v11, vcc_lo
	s_and_b32 vcc_lo, exec_lo, s1
	s_wait_loadcnt_dscnt 0x0
	v_xor_b32_e32 v15, 0x80000000, v15
	ds_store_b64 v18, v[14:15]
	flat_load_b64 v[14:15], v[12:13] offset:-4
	v_add_co_u32 v12, s1, v12, s6
	s_wait_alu 0xf1ff
	v_add_co_ci_u32_e64 v13, null, s7, v13, s1
	s_wait_loadcnt_dscnt 0x0
	v_xor_b32_e32 v15, 0x80000000, v15
	ds_store_b64 v19, v[14:15]
	s_wait_dscnt 0x0
	s_barrier_signal -1
	s_barrier_wait -1
	global_inv scope:SCOPE_SE
	ds_load_2addr_b64 v[57:60], v17 offset1:16
	ds_load_b128 v[61:64], v20
	ds_load_b128 v[65:68], v20 offset:16
	ds_load_b128 v[69:72], v20 offset:512
	;; [unrolled: 1-line block ×7, first 2 shown]
	ds_load_2addr_b64 v[93:96], v17 offset0:32 offset1:48
	ds_load_2addr_b64 v[97:100], v17 offset0:64 offset1:80
	ds_load_2addr_b64 v[101:104], v17 offset0:96 offset1:112
	ds_load_2addr_b64 v[105:108], v17 offset0:128 offset1:144
	ds_load_2addr_b64 v[109:112], v17 offset0:160 offset1:176
	ds_load_2addr_b64 v[113:116], v17 offset0:192 offset1:208
	ds_load_2addr_b64 v[117:120], v17 offset0:224 offset1:240
	s_wait_loadcnt_dscnt 0x0
	s_barrier_signal -1
	s_barrier_wait -1
	global_inv scope:SCOPE_SE
	v_mul_f32_e32 v15, v61, v58
	v_dual_mul_f32 v122, v61, v60 :: v_dual_mul_f32 v123, v70, v58
	v_mul_f32_e32 v14, v62, v58
	v_dual_mul_f32 v121, v62, v60 :: v_dual_mul_f32 v124, v69, v58
	v_dual_mul_f32 v125, v70, v60 :: v_dual_mul_f32 v128, v77, v58
	;; [unrolled: 1-line block ×5, first 2 shown]
	v_mul_f32_e32 v129, v78, v60
	v_dual_mul_f32 v130, v77, v60 :: v_dual_mul_f32 v131, v86, v58
	v_mul_f32_e32 v58, v85, v58
	v_mul_f32_e32 v132, v86, v60
	v_dual_mul_f32 v60, v85, v60 :: v_dual_mul_f32 v133, v62, v94
	v_dual_mul_f32 v138, v69, v94 :: v_dual_mul_f32 v139, v70, v96
	;; [unrolled: 1-line block ×9, first 2 shown]
	v_mul_f32_e32 v149, v64, v100
	v_dual_mul_f32 v150, v63, v100 :: v_dual_mul_f32 v155, v72, v98
	v_dual_mul_f32 v152, v63, v102 :: v_dual_mul_f32 v161, v72, v104
	;; [unrolled: 1-line block ×11, first 2 shown]
	v_dual_mul_f32 v176, v65, v106 :: v_dual_fmac_f32 v15, v62, v57
	v_fmac_f32_e32 v122, v62, v59
	v_fma_f32 v123, v69, v57, -v123
	v_dual_fmac_f32 v134, v62, v93 :: v_dual_mul_f32 v197, v84, v116
	v_fmac_f32_e32 v136, v62, v95
	v_fma_f32 v62, v69, v93, -v137
	v_dual_mul_f32 v166, v79, v100 :: v_dual_mul_f32 v171, v88, v98
	v_dual_mul_f32 v98, v87, v98 :: v_dual_mul_f32 v185, v82, v108
	;; [unrolled: 1-line block ×8, first 2 shown]
	v_mul_f32_e32 v182, v73, v108
	v_mul_f32_e32 v186, v81, v108
	;; [unrolled: 1-line block ×6, first 2 shown]
	v_fma_f32 v14, v61, v57, -v14
	v_fma_f32 v121, v61, v59, -v121
	v_fmac_f32_e32 v124, v70, v57
	v_fma_f32 v125, v69, v59, -v125
	v_fmac_f32_e32 v126, v70, v59
	;; [unrolled: 2-line block ×6, first 2 shown]
	v_mul_f32_e32 v59, v74, v110
	v_mul_f32_e32 v132, v73, v110
	v_fma_f32 v133, v61, v93, -v133
	v_fma_f32 v61, v61, v95, -v135
	v_dual_fmac_f32 v138, v70, v93 :: v_dual_mul_f32 v199, v84, v120
	v_fma_f32 v69, v69, v95, -v139
	v_fmac_f32_e32 v140, v70, v95
	v_fma_f32 v70, v77, v93, -v141
	v_fma_f32 v77, v77, v95, -v143
	v_mul_f32_e32 v135, v81, v112
	v_fma_f32 v137, v63, v97, -v147
	v_fmac_f32_e32 v148, v64, v97
	v_fma_f32 v139, v63, v99, -v149
	v_fma_f32 v141, v63, v101, -v151
	v_fmac_f32_e32 v152, v64, v101
	v_fma_f32 v63, v63, v103, -v153
	v_dual_fmac_f32 v154, v64, v103 :: v_dual_add_f32 v53, v53, v121
	v_dual_fmac_f32 v156, v72, v97 :: v_dual_add_f32 v15, v55, v15
	v_fma_f32 v147, v71, v101, -v159
	v_dual_fmac_f32 v160, v72, v101 :: v_dual_add_f32 v47, v47, v123
	v_dual_mul_f32 v149, v67, v114 :: v_dual_fmac_f32 v144, v78, v95
	v_dual_mul_f32 v153, v67, v116 :: v_dual_fmac_f32 v142, v78, v93
	v_fma_f32 v78, v85, v93, -v145
	v_fma_f32 v85, v85, v95, -v146
	;; [unrolled: 1-line block ×6, first 2 shown]
	v_dual_fmac_f32 v164, v80, v97 :: v_dual_add_f32 v43, v43, v62
	v_fma_f32 v157, v79, v99, -v165
	v_fma_f32 v159, v79, v101, -v167
	v_dual_fmac_f32 v168, v80, v101 :: v_dual_add_f32 v39, v39, v127
	v_fma_f32 v79, v79, v103, -v169
	v_dual_mul_f32 v161, v67, v118 :: v_dual_fmac_f32 v96, v86, v95
	v_dual_mul_f32 v165, v67, v120 :: v_dual_fmac_f32 v94, v86, v93
	v_mul_f32_e32 v86, v82, v110
	v_dual_mul_f32 v93, v81, v110 :: v_dual_fmac_f32 v150, v64, v99
	v_mul_f32_e32 v169, v75, v114
	v_mul_f32_e32 v64, v90, v110
	v_fma_f32 v173, v87, v101, -v173
	v_dual_fmac_f32 v102, v88, v101 :: v_dual_add_f32 v31, v31, v131
	v_mul_f32_e32 v101, v75, v118
	v_mul_f32_e32 v110, v89, v110
	v_dual_mul_f32 v184, v81, v106 :: v_dual_mul_f32 v95, v82, v112
	v_dual_mul_f32 v106, v89, v106 :: v_dual_mul_f32 v143, v90, v112
	v_dual_mul_f32 v194, v73, v112 :: v_dual_mul_f32 v195, v84, v114
	v_dual_fmac_f32 v158, v72, v99 :: v_dual_add_f32 v51, v51, v133
	v_dual_fmac_f32 v162, v72, v103 :: v_dual_add_f32 v49, v49, v61
	v_dual_mul_f32 v72, v68, v114 :: v_dual_add_f32 v45, v45, v125
	v_mul_f32_e32 v151, v68, v116
	v_dual_fmac_f32 v166, v80, v99 :: v_dual_add_f32 v41, v41, v69
	v_dual_fmac_f32 v170, v80, v103 :: v_dual_add_f32 v37, v37, v129
	v_dual_mul_f32 v80, v68, v118 :: v_dual_add_f32 v33, v33, v77
	v_fma_f32 v167, v87, v97, -v171
	v_dual_fmac_f32 v98, v88, v97 :: v_dual_add_f32 v35, v35, v70
	v_fma_f32 v97, v87, v99, -v172
	v_dual_fmac_f32 v100, v88, v99 :: v_dual_add_f32 v29, v29, v57
	v_dual_mul_f32 v99, v76, v114 :: v_dual_mul_f32 v172, v75, v116
	v_add_f32_e32 v25, v25, v85
	v_fma_f32 v87, v87, v103, -v174
	v_dual_fmac_f32 v104, v88, v103 :: v_dual_add_f32 v27, v27, v78
	v_dual_mul_f32 v103, v76, v120 :: v_dual_fmac_f32 v176, v66, v105
	v_add_f32_e32 v43, v43, v147
	v_dual_fmac_f32 v178, v66, v107 :: v_dual_add_f32 v51, v51, v141
	v_fma_f32 v179, v73, v105, -v179
	v_fma_f32 v181, v73, v107, -v181
	v_dual_fmac_f32 v182, v74, v107 :: v_dual_add_f32 v47, v47, v145
	v_fma_f32 v189, v65, v109, -v189
	v_dual_fmac_f32 v190, v66, v109 :: v_dual_add_f32 v31, v31, v167
	v_dual_fmac_f32 v192, v66, v111 :: v_dual_add_f32 v27, v27, v173
	v_fma_f32 v59, v73, v109, -v59
	v_fma_f32 v66, v73, v111, -v193
	;; [unrolled: 1-line block ×3, first 2 shown]
	v_fmac_f32_e32 v93, v82, v109
	v_dual_fmac_f32 v135, v82, v111 :: v_dual_mul_f32 v88, v76, v118
	v_dual_add_f32 v15, v15, v148 :: v_dual_fmac_f32 v132, v74, v109
	v_fmac_f32_e32 v169, v76, v113
	v_fma_f32 v64, v89, v109, -v64
	v_fmac_f32_e32 v101, v76, v117
	v_dual_fmac_f32 v110, v90, v109 :: v_dual_add_f32 v47, v47, v179
	v_dual_mul_f32 v109, v91, v118 :: v_dual_mul_f32 v112, v89, v112
	v_mul_f32_e32 v163, v68, v120
	v_mul_f32_e32 v171, v76, v116
	v_dual_mul_f32 v174, v75, v120 :: v_dual_add_f32 v53, v53, v139
	v_dual_mul_f32 v196, v83, v114 :: v_dual_add_f32 v49, v49, v63
	;; [unrolled: 1-line block ×3, first 2 shown]
	v_fma_f32 v175, v65, v105, -v175
	v_fma_f32 v177, v65, v107, -v177
	v_dual_fmac_f32 v180, v74, v105 :: v_dual_add_f32 v41, v41, v71
	v_fma_f32 v183, v81, v105, -v183
	v_dual_fmac_f32 v184, v82, v105 :: v_dual_add_f32 v39, v39, v155
	;; [unrolled: 2-line block ×5, first 2 shown]
	v_mul_f32_e32 v107, v84, v118
	v_dual_mul_f32 v188, v83, v118 :: v_dual_add_f32 v33, v33, v79
	v_dual_mul_f32 v200, v83, v120 :: v_dual_add_f32 v25, v25, v87
	v_fma_f32 v65, v65, v111, -v191
	v_dual_fmac_f32 v194, v74, v111 :: v_dual_add_f32 v53, v53, v177
	v_fma_f32 v74, v81, v111, -v95
	v_fma_f32 v81, v89, v111, -v143
	s_delay_alu instid0(VALU_DEP_4)
	v_dual_mul_f32 v82, v92, v114 :: v_dual_add_f32 v49, v49, v65
	v_mul_f32_e32 v89, v92, v116
	v_fmac_f32_e32 v149, v68, v113
	v_fmac_f32_e32 v153, v68, v115
	;; [unrolled: 1-line block ×4, first 2 shown]
	v_dual_mul_f32 v68, v92, v118 :: v_dual_add_f32 v43, v43, v59
	v_dual_fmac_f32 v109, v92, v117 :: v_dual_fmac_f32 v112, v90, v111
	v_add_f32_e32 v51, v51, v189
	v_dual_mul_f32 v90, v91, v116 :: v_dual_add_f32 v41, v41, v66
	v_dual_mul_f32 v111, v92, v120 :: v_dual_mul_f32 v86, v91, v114
	v_add_f32_e32 v45, v45, v181
	v_fma_f32 v72, v67, v113, -v72
	v_fma_f32 v95, v67, v115, -v151
	v_fma_f32 v80, v67, v117, -v80
	v_fma_f32 v67, v67, v119, -v163
	v_dual_mul_f32 v114, v91, v120 :: v_dual_add_f32 v37, v37, v185
	v_fma_f32 v99, v75, v113, -v99
	v_fma_f32 v116, v75, v115, -v171
	v_dual_fmac_f32 v172, v76, v115 :: v_dual_add_f32 v35, v35, v73
	v_fma_f32 v88, v75, v117, -v88
	v_fma_f32 v75, v75, v119, -v103
	v_dual_fmac_f32 v174, v76, v119 :: v_dual_add_f32 v33, v33, v74
	v_fma_f32 v76, v83, v113, -v195
	v_dual_fmac_f32 v196, v84, v113 :: v_dual_add_f32 v39, v39, v183
	;; [unrolled: 2-line block ×5, first 2 shown]
	v_fma_f32 v82, v91, v113, -v82
	v_fma_f32 v84, v91, v115, -v89
	v_dual_fmac_f32 v90, v92, v115 :: v_dual_add_f32 v25, v25, v81
	v_fma_f32 v68, v91, v117, -v68
	v_fma_f32 v89, v91, v119, -v111
	v_dual_add_f32 v14, v56, v14 :: v_dual_add_f32 v51, v51, v80
	v_dual_add_f32 v54, v54, v122 :: v_dual_add_f32 v49, v49, v67
	;; [unrolled: 1-line block ×14, first 2 shown]
	v_add_f32_e32 v28, v28, v94
	v_add_f32_e32 v26, v26, v96
	;; [unrolled: 1-line block ×18, first 2 shown]
	v_dual_fmac_f32 v86, v92, v113 :: v_dual_add_f32 v53, v53, v95
	v_dual_add_f32 v14, v14, v175 :: v_dual_add_f32 v15, v15, v176
	v_fmac_f32_e32 v114, v92, v119
	v_add_f32_e32 v54, v54, v178
	v_add_f32_e32 v52, v52, v190
	;; [unrolled: 1-line block ×15, first 2 shown]
	v_dual_add_f32 v56, v14, v72 :: v_dual_add_f32 v55, v15, v149
	v_add_f32_e32 v54, v54, v153
	v_add_f32_e32 v52, v52, v161
	;; [unrolled: 1-line block ×15, first 2 shown]
	s_wait_alu 0xfffe
	s_cbranch_vccnz .LBB238_5
.LBB238_6:                              ;   in Loop: Header=BB238_3 Depth=1
	s_wait_loadcnt 0x0
	v_add_co_u32 v10, vcc_lo, v8, s8
	s_wait_alu 0xfffd
	v_add_co_ci_u32_e64 v11, null, s9, v9, vcc_lo
	s_and_not1_b32 vcc_lo, exec_lo, s36
	s_mov_b32 s1, -1
                                        ; implicit-def: $vgpr12
                                        ; implicit-def: $vgpr8_vgpr9
	s_wait_alu 0xfffe
	s_cbranch_vccz .LBB238_8
; %bb.7:                                ;   in Loop: Header=BB238_3 Depth=1
	s_and_not1_b32 vcc_lo, exec_lo, s1
	s_wait_alu 0xfffe
	s_cbranch_vccnz .LBB238_2
	s_branch .LBB238_9
.LBB238_8:                              ;   in Loop: Header=BB238_3 Depth=1
	v_lshlrev_b64_e32 v[8:9], 3, v[0:1]
	v_lshlrev_b64_e32 v[14:15], 3, v[2:3]
	v_dual_mul_f32 v13, s22, v55 :: v_dual_mul_f32 v58, s22, v54
	v_dual_mul_f32 v12, s23, v55 :: v_dual_mul_f32 v57, s23, v54
	v_mul_f32_e32 v60, s22, v52
	v_add_co_u32 v63, vcc_lo, v10, v8
	s_wait_alu 0xfffd
	v_add_co_ci_u32_e64 v64, null, v11, v9, vcc_lo
	v_dual_mul_f32 v59, s23, v52 :: v_dual_mul_f32 v62, s22, v50
	s_delay_alu instid0(VALU_DEP_3)
	v_add_co_u32 v8, vcc_lo, v63, v14
	v_dual_mul_f32 v61, s23, v50 :: v_dual_fmac_f32 v58, s23, v53
	v_fmac_f32_e32 v13, s23, v56
	v_fma_f32 v12, v56, s22, -v12
	s_wait_alu 0xfffd
	v_add_co_ci_u32_e64 v9, null, v64, v15, vcc_lo
	v_add_co_u32 v63, vcc_lo, v63, s24
	v_fma_f32 v57, v53, s22, -v57
	v_fma_f32 v59, v51, s22, -v59
	v_fmac_f32_e32 v60, s23, v51
	s_wait_alu 0xfffd
	v_add_co_ci_u32_e64 v65, null, s25, v64, vcc_lo
	v_fma_f32 v61, v49, s22, -v61
	v_fmac_f32_e32 v62, s23, v49
	s_clause 0x3
	flat_store_b64 v[8:9], v[12:13]
	flat_store_b64 v[8:9], v[57:58] offset:128
	flat_store_b64 v[8:9], v[59:60] offset:256
	;; [unrolled: 1-line block ×3, first 2 shown]
	v_dual_mul_f32 v8, s23, v48 :: v_dual_mul_f32 v57, s23, v46
	v_mul_f32_e32 v9, s22, v48
	v_add_co_u32 v12, vcc_lo, v63, v14
	v_dual_mul_f32 v58, s22, v46 :: v_dual_mul_f32 v59, s23, v44
	v_dual_mul_f32 v60, s22, v44 :: v_dual_mul_f32 v61, s23, v42
	s_wait_alu 0xfffd
	v_add_co_ci_u32_e64 v13, null, v65, v15, vcc_lo
	v_add_co_u32 v73, vcc_lo, v63, s24
	v_dual_mul_f32 v62, s22, v42 :: v_dual_mul_f32 v69, s23, v36
	v_mul_f32_e32 v66, s23, v40
	v_mul_f32_e32 v64, s22, v40
	s_wait_alu 0xfffd
	v_add_co_ci_u32_e64 v74, null, s25, v65, vcc_lo
	v_fma_f32 v8, v47, s22, -v8
	v_dual_fmac_f32 v9, s23, v47 :: v_dual_fmac_f32 v58, s23, v45
	v_dual_mul_f32 v67, s23, v38 :: v_dual_fmac_f32 v60, s23, v43
	v_mul_f32_e32 v71, s23, v34
	v_mul_f32_e32 v68, s22, v38
	;; [unrolled: 1-line block ×4, first 2 shown]
	v_fma_f32 v57, v45, s22, -v57
	v_fma_f32 v59, v43, s22, -v59
	v_add_co_u32 v65, vcc_lo, v73, v14
	v_fma_f32 v61, v41, s22, -v61
	v_fmac_f32_e32 v62, s23, v41
	v_fma_f32 v63, v39, s22, -v66
	v_fmac_f32_e32 v64, s23, v39
	s_wait_alu 0xfffd
	v_add_co_ci_u32_e64 v66, null, v74, v15, vcc_lo
	v_fma_f32 v67, v37, s22, -v67
	v_fmac_f32_e32 v68, s23, v37
	v_fma_f32 v69, v35, s22, -v69
	v_fmac_f32_e32 v70, s23, v35
	;; [unrolled: 2-line block ×3, first 2 shown]
	s_clause 0x7
	flat_store_b64 v[12:13], v[8:9]
	flat_store_b64 v[12:13], v[57:58] offset:128
	flat_store_b64 v[12:13], v[59:60] offset:256
	;; [unrolled: 1-line block ×3, first 2 shown]
	flat_store_b64 v[65:66], v[63:64]
	flat_store_b64 v[65:66], v[67:68] offset:128
	flat_store_b64 v[65:66], v[69:70] offset:256
	;; [unrolled: 1-line block ×3, first 2 shown]
	v_mul_f32_e32 v8, s23, v32
	v_add_co_u32 v9, vcc_lo, v73, s24
	s_wait_alu 0xfffd
	v_add_co_ci_u32_e64 v12, null, s25, v74, vcc_lo
	s_delay_alu instid0(VALU_DEP_3)
	v_fma_f32 v57, v31, s22, -v8
	v_mul_f32_e32 v8, s23, v30
	v_add_co_u32 v13, vcc_lo, v9, v14
	v_mul_f32_e32 v58, s22, v32
	s_wait_alu 0xfffd
	v_add_co_ci_u32_e64 v14, null, v12, v15, vcc_lo
	v_fma_f32 v59, v29, s22, -v8
	v_dual_mul_f32 v8, s23, v28 :: v_dual_mul_f32 v9, s23, v26
	v_mul_f32_e32 v12, s22, v26
	v_mul_f32_e32 v60, s22, v30
	v_mul_f32_e32 v62, s22, v28
	s_delay_alu instid0(VALU_DEP_4)
	v_fma_f32 v61, v27, s22, -v8
	v_add_co_u32 v8, vcc_lo, 0x180, v13
	v_fmac_f32_e32 v58, s23, v31
	v_fma_f32 v15, v25, s22, -v9
	v_fmac_f32_e32 v12, s23, v25
	s_wait_alu 0xfffd
	v_add_co_ci_u32_e64 v9, null, 0, v14, vcc_lo
	v_fmac_f32_e32 v60, s23, v29
	v_fmac_f32_e32 v62, s23, v27
	s_clause 0x3
	flat_store_b64 v[13:14], v[57:58]
	flat_store_b64 v[13:14], v[59:60] offset:128
	flat_store_b64 v[13:14], v[61:62] offset:256
	flat_store_b32 v[13:14], v15 offset:384
	s_cbranch_execnz .LBB238_2
.LBB238_9:                              ;   in Loop: Header=BB238_3 Depth=1
	v_add_co_u32 v8, vcc_lo, v6, s14
	s_wait_alu 0xfffd
	v_add_co_ci_u32_e64 v9, null, s15, v7, vcc_lo
	v_lshlrev_b64_e32 v[6:7], 3, v[2:3]
	s_delay_alu instid0(VALU_DEP_3) | instskip(SKIP_1) | instid1(VALU_DEP_3)
	v_add_co_u32 v57, vcc_lo, v8, v4
	s_wait_alu 0xfffd
	v_add_co_ci_u32_e64 v58, null, v9, v5, vcc_lo
	v_lshlrev_b64_e32 v[14:15], 3, v[0:1]
	s_delay_alu instid0(VALU_DEP_3) | instskip(SKIP_1) | instid1(VALU_DEP_3)
	v_add_co_u32 v8, vcc_lo, v57, v6
	s_wait_alu 0xfffd
	v_add_co_ci_u32_e64 v9, null, v58, v7, vcc_lo
	s_delay_alu instid0(VALU_DEP_3)
	v_add_co_u32 v14, vcc_lo, v10, v14
	flat_load_b64 v[12:13], v[8:9]
	v_mul_f32_e32 v59, s23, v55
	s_wait_alu 0xfffd
	v_add_co_ci_u32_e64 v15, null, v11, v15, vcc_lo
	v_add_co_u32 v10, vcc_lo, v14, v6
	s_delay_alu instid0(VALU_DEP_3) | instskip(SKIP_4) | instid1(VALU_DEP_2)
	v_fma_f32 v59, v56, s22, -v59
	v_mul_f32_e32 v55, s22, v55
	s_wait_alu 0xfffd
	v_add_co_ci_u32_e64 v11, null, v15, v7, vcc_lo
	s_wait_loadcnt_dscnt 0x0
	v_dual_fmac_f32 v55, s23, v56 :: v_dual_mul_f32 v56, s35, v13
	v_mul_f32_e32 v13, s34, v13
	s_delay_alu instid0(VALU_DEP_2) | instskip(NEXT) | instid1(VALU_DEP_2)
	v_fma_f32 v56, v12, s34, -v56
	v_fmac_f32_e32 v13, s35, v12
	s_delay_alu instid0(VALU_DEP_2) | instskip(NEXT) | instid1(VALU_DEP_2)
	v_add_f32_e32 v12, v59, v56
	v_add_f32_e32 v13, v55, v13
	flat_store_b64 v[10:11], v[12:13]
	flat_load_b64 v[12:13], v[8:9] offset:128
	v_mul_f32_e32 v55, s23, v54
	v_mul_f32_e32 v54, s22, v54
	s_delay_alu instid0(VALU_DEP_1) | instskip(SKIP_4) | instid1(VALU_DEP_3)
	v_fmac_f32_e32 v54, s23, v53
	s_wait_loadcnt_dscnt 0x0
	v_mul_f32_e32 v56, s35, v13
	v_mul_f32_e32 v13, s34, v13
	v_fma_f32 v55, v53, s22, -v55
	v_fma_f32 v53, v12, s34, -v56
	s_delay_alu instid0(VALU_DEP_1) | instskip(NEXT) | instid1(VALU_DEP_1)
	v_dual_fmac_f32 v13, s35, v12 :: v_dual_add_f32 v12, v55, v53
	v_add_f32_e32 v13, v54, v13
	flat_store_b64 v[10:11], v[12:13] offset:128
	flat_load_b64 v[12:13], v[8:9] offset:256
	v_mul_f32_e32 v53, s23, v52
	v_mul_f32_e32 v52, s22, v52
	s_delay_alu instid0(VALU_DEP_1) | instskip(SKIP_4) | instid1(VALU_DEP_3)
	v_fmac_f32_e32 v52, s23, v51
	s_wait_loadcnt_dscnt 0x0
	v_mul_f32_e32 v54, s35, v13
	v_mul_f32_e32 v13, s34, v13
	v_fma_f32 v53, v51, s22, -v53
	v_fma_f32 v51, v12, s34, -v54
	s_delay_alu instid0(VALU_DEP_1) | instskip(NEXT) | instid1(VALU_DEP_1)
	v_dual_fmac_f32 v13, s35, v12 :: v_dual_add_f32 v12, v53, v51
	v_add_f32_e32 v13, v52, v13
	flat_store_b64 v[10:11], v[12:13] offset:256
	flat_load_b64 v[8:9], v[8:9] offset:384
	v_mul_f32_e32 v12, s23, v50
	s_delay_alu instid0(VALU_DEP_1) | instskip(SKIP_1) | instid1(VALU_DEP_1)
	v_fma_f32 v12, v49, s22, -v12
	v_mul_f32_e32 v13, s22, v50
	v_fmac_f32_e32 v13, s23, v49
	s_wait_loadcnt_dscnt 0x0
	v_mul_f32_e32 v50, s35, v9
	v_mul_f32_e32 v9, s34, v9
	s_delay_alu instid0(VALU_DEP_2) | instskip(SKIP_1) | instid1(VALU_DEP_3)
	v_fma_f32 v49, v8, s34, -v50
	v_add_co_u32 v50, vcc_lo, v57, s16
	v_fmac_f32_e32 v9, s35, v8
	s_wait_alu 0xfffd
	v_add_co_ci_u32_e64 v51, null, s17, v58, vcc_lo
	v_add_f32_e32 v8, v12, v49
	v_add_co_u32 v12, vcc_lo, v50, v6
	v_add_f32_e32 v9, v13, v9
	s_wait_alu 0xfffd
	v_add_co_ci_u32_e64 v13, null, v51, v7, vcc_lo
	v_add_co_u32 v14, vcc_lo, v14, s24
	flat_store_b64 v[10:11], v[8:9] offset:384
	flat_load_b64 v[8:9], v[12:13]
	v_mul_f32_e32 v10, s23, v48
	v_mul_f32_e32 v11, s22, v48
	s_wait_alu 0xfffd
	v_add_co_ci_u32_e64 v15, null, s25, v15, vcc_lo
	s_delay_alu instid0(VALU_DEP_3) | instskip(SKIP_2) | instid1(VALU_DEP_1)
	v_fma_f32 v10, v47, s22, -v10
	s_wait_loadcnt_dscnt 0x0
	v_dual_mul_f32 v48, s34, v9 :: v_dual_fmac_f32 v11, s23, v47
	v_dual_mul_f32 v47, s35, v9 :: v_dual_fmac_f32 v48, s35, v8
	s_delay_alu instid0(VALU_DEP_1) | instskip(SKIP_3) | instid1(VALU_DEP_3)
	v_fma_f32 v47, v8, s34, -v47
	v_add_co_u32 v8, vcc_lo, v14, v6
	s_wait_alu 0xfffd
	v_add_co_ci_u32_e64 v9, null, v15, v7, vcc_lo
	v_dual_add_f32 v10, v10, v47 :: v_dual_mul_f32 v47, s23, v46
	v_mul_f32_e32 v46, s22, v46
	s_delay_alu instid0(VALU_DEP_2) | instskip(NEXT) | instid1(VALU_DEP_2)
	v_fma_f32 v47, v45, s22, -v47
	v_dual_fmac_f32 v46, s23, v45 :: v_dual_add_f32 v11, v11, v48
	flat_store_b64 v[8:9], v[10:11]
	flat_load_b64 v[10:11], v[12:13] offset:128
	s_wait_loadcnt_dscnt 0x0
	v_mul_f32_e32 v48, s35, v11
	s_delay_alu instid0(VALU_DEP_1) | instskip(SKIP_1) | instid1(VALU_DEP_1)
	v_fma_f32 v45, v10, s34, -v48
	v_mul_f32_e32 v11, s34, v11
	v_dual_fmac_f32 v11, s35, v10 :: v_dual_add_f32 v10, v47, v45
	v_mul_f32_e32 v45, s23, v44
	s_delay_alu instid0(VALU_DEP_2) | instskip(NEXT) | instid1(VALU_DEP_2)
	v_dual_mul_f32 v44, s22, v44 :: v_dual_add_f32 v11, v46, v11
	v_fma_f32 v45, v43, s22, -v45
	s_delay_alu instid0(VALU_DEP_2)
	v_fmac_f32_e32 v44, s23, v43
	flat_store_b64 v[8:9], v[10:11] offset:128
	flat_load_b64 v[10:11], v[12:13] offset:256
	s_wait_loadcnt_dscnt 0x0
	v_mul_f32_e32 v46, s35, v11
	v_mul_f32_e32 v11, s34, v11
	s_delay_alu instid0(VALU_DEP_2) | instskip(NEXT) | instid1(VALU_DEP_1)
	v_fma_f32 v43, v10, s34, -v46
	v_dual_fmac_f32 v11, s35, v10 :: v_dual_add_f32 v10, v45, v43
	s_delay_alu instid0(VALU_DEP_1) | instskip(SKIP_4) | instid1(VALU_DEP_2)
	v_add_f32_e32 v11, v44, v11
	flat_store_b64 v[8:9], v[10:11] offset:256
	flat_load_b64 v[10:11], v[12:13] offset:384
	v_mul_f32_e32 v12, s23, v42
	v_mul_f32_e32 v13, s22, v42
	v_fma_f32 v12, v41, s22, -v12
	s_wait_loadcnt_dscnt 0x0
	s_delay_alu instid0(VALU_DEP_2) | instskip(SKIP_1) | instid1(VALU_DEP_2)
	v_dual_fmac_f32 v13, s23, v41 :: v_dual_mul_f32 v42, s35, v11
	v_mul_f32_e32 v11, s34, v11
	v_fma_f32 v41, v10, s34, -v42
	v_add_co_u32 v42, vcc_lo, v50, s16
	s_delay_alu instid0(VALU_DEP_3)
	v_fmac_f32_e32 v11, s35, v10
	s_wait_alu 0xfffd
	v_add_co_ci_u32_e64 v43, null, s17, v51, vcc_lo
	v_add_f32_e32 v10, v12, v41
	v_add_co_u32 v12, vcc_lo, v42, v6
	v_add_f32_e32 v11, v13, v11
	s_wait_alu 0xfffd
	v_add_co_ci_u32_e64 v13, null, v43, v7, vcc_lo
	v_add_co_u32 v14, vcc_lo, v14, s24
	flat_store_b64 v[8:9], v[10:11] offset:384
	flat_load_b64 v[8:9], v[12:13]
	v_mul_f32_e32 v10, s23, v40
	v_mul_f32_e32 v11, s22, v40
	s_wait_alu 0xfffd
	v_add_co_ci_u32_e64 v15, null, s25, v15, vcc_lo
	s_delay_alu instid0(VALU_DEP_3) | instskip(NEXT) | instid1(VALU_DEP_3)
	v_fma_f32 v10, v39, s22, -v10
	v_fmac_f32_e32 v11, s23, v39
	s_wait_loadcnt_dscnt 0x0
	v_mul_f32_e32 v39, s35, v9
	v_mul_f32_e32 v40, s34, v9
	s_delay_alu instid0(VALU_DEP_2) | instskip(NEXT) | instid1(VALU_DEP_2)
	v_fma_f32 v39, v8, s34, -v39
	v_fmac_f32_e32 v40, s35, v8
	v_add_co_u32 v8, vcc_lo, v14, v6
	s_wait_alu 0xfffd
	v_add_co_ci_u32_e64 v9, null, v15, v7, vcc_lo
	s_delay_alu instid0(VALU_DEP_3)
	v_dual_add_f32 v10, v10, v39 :: v_dual_add_f32 v11, v11, v40
	v_mul_f32_e32 v39, s23, v38
	v_mul_f32_e32 v38, s22, v38
	flat_store_b64 v[8:9], v[10:11]
	flat_load_b64 v[10:11], v[12:13] offset:128
	v_fma_f32 v39, v37, s22, -v39
	v_fmac_f32_e32 v38, s23, v37
	s_wait_loadcnt_dscnt 0x0
	v_mul_f32_e32 v40, s35, v11
	v_mul_f32_e32 v11, s34, v11
	s_delay_alu instid0(VALU_DEP_2) | instskip(NEXT) | instid1(VALU_DEP_1)
	v_fma_f32 v37, v10, s34, -v40
	v_dual_fmac_f32 v11, s35, v10 :: v_dual_add_f32 v10, v39, v37
	s_delay_alu instid0(VALU_DEP_1)
	v_add_f32_e32 v11, v38, v11
	v_mul_f32_e32 v37, s23, v36
	v_mul_f32_e32 v36, s22, v36
	flat_store_b64 v[8:9], v[10:11] offset:128
	flat_load_b64 v[10:11], v[12:13] offset:256
	v_fma_f32 v37, v35, s22, -v37
	v_fmac_f32_e32 v36, s23, v35
	s_wait_loadcnt_dscnt 0x0
	v_mul_f32_e32 v38, s35, v11
	v_mul_f32_e32 v11, s34, v11
	s_delay_alu instid0(VALU_DEP_2) | instskip(NEXT) | instid1(VALU_DEP_1)
	v_fma_f32 v35, v10, s34, -v38
	v_dual_fmac_f32 v11, s35, v10 :: v_dual_add_f32 v10, v37, v35
	s_delay_alu instid0(VALU_DEP_1) | instskip(SKIP_4) | instid1(VALU_DEP_2)
	v_add_f32_e32 v11, v36, v11
	flat_store_b64 v[8:9], v[10:11] offset:256
	flat_load_b64 v[10:11], v[12:13] offset:384
	v_mul_f32_e32 v12, s23, v34
	v_mul_f32_e32 v13, s22, v34
	v_fma_f32 v12, v33, s22, -v12
	s_wait_loadcnt_dscnt 0x0
	s_delay_alu instid0(VALU_DEP_2) | instskip(SKIP_1) | instid1(VALU_DEP_2)
	v_dual_fmac_f32 v13, s23, v33 :: v_dual_mul_f32 v34, s35, v11
	v_mul_f32_e32 v11, s34, v11
	v_fma_f32 v33, v10, s34, -v34
	v_add_co_u32 v34, vcc_lo, v42, s16
	s_delay_alu instid0(VALU_DEP_3)
	v_fmac_f32_e32 v11, s35, v10
	s_wait_alu 0xfffd
	v_add_co_ci_u32_e64 v35, null, s17, v43, vcc_lo
	v_add_f32_e32 v10, v12, v33
	v_add_co_u32 v12, vcc_lo, v34, v6
	v_add_f32_e32 v11, v13, v11
	s_wait_alu 0xfffd
	v_add_co_ci_u32_e64 v13, null, v35, v7, vcc_lo
	v_add_co_u32 v14, vcc_lo, v14, s24
	flat_store_b64 v[8:9], v[10:11] offset:384
	flat_load_b64 v[8:9], v[12:13]
	v_mul_f32_e32 v10, s23, v32
	v_mul_f32_e32 v11, s22, v32
	s_wait_alu 0xfffd
	v_add_co_ci_u32_e64 v15, null, s25, v15, vcc_lo
	v_add_co_u32 v6, vcc_lo, v14, v6
	v_fma_f32 v10, v31, s22, -v10
	v_fmac_f32_e32 v11, s23, v31
	s_wait_alu 0xfffd
	v_add_co_ci_u32_e64 v7, null, v15, v7, vcc_lo
	s_wait_loadcnt_dscnt 0x0
	v_mul_f32_e32 v31, s35, v9
	v_mul_f32_e32 v9, s34, v9
	s_delay_alu instid0(VALU_DEP_2) | instskip(NEXT) | instid1(VALU_DEP_1)
	v_fma_f32 v31, v8, s34, -v31
	v_dual_fmac_f32 v9, s35, v8 :: v_dual_add_f32 v8, v10, v31
	s_delay_alu instid0(VALU_DEP_1)
	v_dual_add_f32 v9, v11, v9 :: v_dual_mul_f32 v10, s23, v30
	v_mul_f32_e32 v11, s22, v30
	flat_store_b64 v[6:7], v[8:9]
	flat_load_b64 v[8:9], v[12:13] offset:128
	v_fma_f32 v10, v29, s22, -v10
	v_fmac_f32_e32 v11, s23, v29
	s_wait_loadcnt_dscnt 0x0
	v_mul_f32_e32 v14, s35, v9
	v_mul_f32_e32 v9, s34, v9
	s_delay_alu instid0(VALU_DEP_2) | instskip(NEXT) | instid1(VALU_DEP_1)
	v_fma_f32 v14, v8, s34, -v14
	v_dual_fmac_f32 v9, s35, v8 :: v_dual_add_f32 v8, v10, v14
	s_delay_alu instid0(VALU_DEP_1)
	v_dual_add_f32 v9, v11, v9 :: v_dual_mul_f32 v10, s23, v28
	v_mul_f32_e32 v11, s22, v28
	flat_store_b64 v[6:7], v[8:9] offset:128
	flat_load_b64 v[8:9], v[12:13] offset:256
	v_fma_f32 v10, v27, s22, -v10
	s_wait_loadcnt_dscnt 0x0
	v_dual_fmac_f32 v11, s23, v27 :: v_dual_mul_f32 v14, s35, v9
	v_mul_f32_e32 v9, s34, v9
	s_delay_alu instid0(VALU_DEP_2) | instskip(NEXT) | instid1(VALU_DEP_1)
	v_fma_f32 v14, v8, s34, -v14
	v_dual_fmac_f32 v9, s35, v8 :: v_dual_add_f32 v8, v10, v14
	s_delay_alu instid0(VALU_DEP_1)
	v_dual_add_f32 v9, v11, v9 :: v_dual_mul_f32 v10, s23, v26
	v_mul_f32_e32 v11, s22, v26
	flat_store_b64 v[6:7], v[8:9] offset:256
	flat_load_b64 v[8:9], v[12:13] offset:384
	v_fma_f32 v10, v25, s22, -v10
	v_fmac_f32_e32 v11, s23, v25
	s_wait_loadcnt_dscnt 0x0
	v_mul_f32_e32 v12, s35, v9
	v_mul_f32_e32 v9, s34, v9
	s_delay_alu instid0(VALU_DEP_2) | instskip(NEXT) | instid1(VALU_DEP_2)
	v_fma_f32 v12, v8, s34, -v12
	v_fmac_f32_e32 v9, s35, v8
	v_add_co_u32 v8, vcc_lo, 0x180, v6
	s_delay_alu instid0(VALU_DEP_3) | instskip(NEXT) | instid1(VALU_DEP_3)
	v_add_f32_e32 v10, v10, v12
	v_add_f32_e32 v12, v11, v9
	s_wait_alu 0xfffd
	v_add_co_ci_u32_e64 v9, null, 0, v7, vcc_lo
	flat_store_b32 v[6:7], v10 offset:384
	s_branch .LBB238_2
.LBB238_10:
	s_nop 0
	s_sendmsg sendmsg(MSG_DEALLOC_VGPRS)
	s_endpgm
	.section	.rodata,"a",@progbits
	.p2align	6, 0x0
	.amdhsa_kernel _ZN12_GLOBAL__N_127rocblas_gemm_batched_kernelI19rocblas_complex_numIfELi16ELi16ELi64ELi64ELi4ELi64ELi4ELi4ELi64ELc67ELc67EKPKS2_S5_KPS2_EEvlllT_PT11_llSA_llS8_PT12_llPT13_lli
		.amdhsa_group_segment_fixed_size 4096
		.amdhsa_private_segment_fixed_size 0
		.amdhsa_kernarg_size 140
		.amdhsa_user_sgpr_count 2
		.amdhsa_user_sgpr_dispatch_ptr 0
		.amdhsa_user_sgpr_queue_ptr 0
		.amdhsa_user_sgpr_kernarg_segment_ptr 1
		.amdhsa_user_sgpr_dispatch_id 0
		.amdhsa_user_sgpr_private_segment_size 0
		.amdhsa_wavefront_size32 1
		.amdhsa_uses_dynamic_stack 0
		.amdhsa_enable_private_segment 0
		.amdhsa_system_sgpr_workgroup_id_x 1
		.amdhsa_system_sgpr_workgroup_id_y 1
		.amdhsa_system_sgpr_workgroup_id_z 1
		.amdhsa_system_sgpr_workgroup_info 0
		.amdhsa_system_vgpr_workitem_id 1
		.amdhsa_next_free_vgpr 201
		.amdhsa_next_free_sgpr 40
		.amdhsa_reserve_vcc 1
		.amdhsa_float_round_mode_32 0
		.amdhsa_float_round_mode_16_64 0
		.amdhsa_float_denorm_mode_32 3
		.amdhsa_float_denorm_mode_16_64 3
		.amdhsa_fp16_overflow 0
		.amdhsa_workgroup_processor_mode 1
		.amdhsa_memory_ordered 1
		.amdhsa_forward_progress 1
		.amdhsa_inst_pref_size 44
		.amdhsa_round_robin_scheduling 0
		.amdhsa_exception_fp_ieee_invalid_op 0
		.amdhsa_exception_fp_denorm_src 0
		.amdhsa_exception_fp_ieee_div_zero 0
		.amdhsa_exception_fp_ieee_overflow 0
		.amdhsa_exception_fp_ieee_underflow 0
		.amdhsa_exception_fp_ieee_inexact 0
		.amdhsa_exception_int_div_zero 0
	.end_amdhsa_kernel
	.section	.text._ZN12_GLOBAL__N_127rocblas_gemm_batched_kernelI19rocblas_complex_numIfELi16ELi16ELi64ELi64ELi4ELi64ELi4ELi4ELi64ELc67ELc67EKPKS2_S5_KPS2_EEvlllT_PT11_llSA_llS8_PT12_llPT13_lli,"axG",@progbits,_ZN12_GLOBAL__N_127rocblas_gemm_batched_kernelI19rocblas_complex_numIfELi16ELi16ELi64ELi64ELi4ELi64ELi4ELi4ELi64ELc67ELc67EKPKS2_S5_KPS2_EEvlllT_PT11_llSA_llS8_PT12_llPT13_lli,comdat
.Lfunc_end238:
	.size	_ZN12_GLOBAL__N_127rocblas_gemm_batched_kernelI19rocblas_complex_numIfELi16ELi16ELi64ELi64ELi4ELi64ELi4ELi4ELi64ELc67ELc67EKPKS2_S5_KPS2_EEvlllT_PT11_llSA_llS8_PT12_llPT13_lli, .Lfunc_end238-_ZN12_GLOBAL__N_127rocblas_gemm_batched_kernelI19rocblas_complex_numIfELi16ELi16ELi64ELi64ELi4ELi64ELi4ELi4ELi64ELc67ELc67EKPKS2_S5_KPS2_EEvlllT_PT11_llSA_llS8_PT12_llPT13_lli
                                        ; -- End function
	.set _ZN12_GLOBAL__N_127rocblas_gemm_batched_kernelI19rocblas_complex_numIfELi16ELi16ELi64ELi64ELi4ELi64ELi4ELi4ELi64ELc67ELc67EKPKS2_S5_KPS2_EEvlllT_PT11_llSA_llS8_PT12_llPT13_lli.num_vgpr, 201
	.set _ZN12_GLOBAL__N_127rocblas_gemm_batched_kernelI19rocblas_complex_numIfELi16ELi16ELi64ELi64ELi4ELi64ELi4ELi4ELi64ELc67ELc67EKPKS2_S5_KPS2_EEvlllT_PT11_llSA_llS8_PT12_llPT13_lli.num_agpr, 0
	.set _ZN12_GLOBAL__N_127rocblas_gemm_batched_kernelI19rocblas_complex_numIfELi16ELi16ELi64ELi64ELi4ELi64ELi4ELi4ELi64ELc67ELc67EKPKS2_S5_KPS2_EEvlllT_PT11_llSA_llS8_PT12_llPT13_lli.numbered_sgpr, 40
	.set _ZN12_GLOBAL__N_127rocblas_gemm_batched_kernelI19rocblas_complex_numIfELi16ELi16ELi64ELi64ELi4ELi64ELi4ELi4ELi64ELc67ELc67EKPKS2_S5_KPS2_EEvlllT_PT11_llSA_llS8_PT12_llPT13_lli.num_named_barrier, 0
	.set _ZN12_GLOBAL__N_127rocblas_gemm_batched_kernelI19rocblas_complex_numIfELi16ELi16ELi64ELi64ELi4ELi64ELi4ELi4ELi64ELc67ELc67EKPKS2_S5_KPS2_EEvlllT_PT11_llSA_llS8_PT12_llPT13_lli.private_seg_size, 0
	.set _ZN12_GLOBAL__N_127rocblas_gemm_batched_kernelI19rocblas_complex_numIfELi16ELi16ELi64ELi64ELi4ELi64ELi4ELi4ELi64ELc67ELc67EKPKS2_S5_KPS2_EEvlllT_PT11_llSA_llS8_PT12_llPT13_lli.uses_vcc, 1
	.set _ZN12_GLOBAL__N_127rocblas_gemm_batched_kernelI19rocblas_complex_numIfELi16ELi16ELi64ELi64ELi4ELi64ELi4ELi4ELi64ELc67ELc67EKPKS2_S5_KPS2_EEvlllT_PT11_llSA_llS8_PT12_llPT13_lli.uses_flat_scratch, 1
	.set _ZN12_GLOBAL__N_127rocblas_gemm_batched_kernelI19rocblas_complex_numIfELi16ELi16ELi64ELi64ELi4ELi64ELi4ELi4ELi64ELc67ELc67EKPKS2_S5_KPS2_EEvlllT_PT11_llSA_llS8_PT12_llPT13_lli.has_dyn_sized_stack, 0
	.set _ZN12_GLOBAL__N_127rocblas_gemm_batched_kernelI19rocblas_complex_numIfELi16ELi16ELi64ELi64ELi4ELi64ELi4ELi4ELi64ELc67ELc67EKPKS2_S5_KPS2_EEvlllT_PT11_llSA_llS8_PT12_llPT13_lli.has_recursion, 0
	.set _ZN12_GLOBAL__N_127rocblas_gemm_batched_kernelI19rocblas_complex_numIfELi16ELi16ELi64ELi64ELi4ELi64ELi4ELi4ELi64ELc67ELc67EKPKS2_S5_KPS2_EEvlllT_PT11_llSA_llS8_PT12_llPT13_lli.has_indirect_call, 0
	.section	.AMDGPU.csdata,"",@progbits
; Kernel info:
; codeLenInByte = 5624
; TotalNumSgprs: 42
; NumVgprs: 201
; ScratchSize: 0
; MemoryBound: 0
; FloatMode: 240
; IeeeMode: 1
; LDSByteSize: 4096 bytes/workgroup (compile time only)
; SGPRBlocks: 0
; VGPRBlocks: 25
; NumSGPRsForWavesPerEU: 42
; NumVGPRsForWavesPerEU: 201
; Occupancy: 7
; WaveLimiterHint : 1
; COMPUTE_PGM_RSRC2:SCRATCH_EN: 0
; COMPUTE_PGM_RSRC2:USER_SGPR: 2
; COMPUTE_PGM_RSRC2:TRAP_HANDLER: 0
; COMPUTE_PGM_RSRC2:TGID_X_EN: 1
; COMPUTE_PGM_RSRC2:TGID_Y_EN: 1
; COMPUTE_PGM_RSRC2:TGID_Z_EN: 1
; COMPUTE_PGM_RSRC2:TIDIG_COMP_CNT: 1
	.section	.text._ZN12_GLOBAL__N_127rocblas_gemm_batched_kernelI19rocblas_complex_numIfELi16ELi16ELi64ELi64ELi4ELi64ELi4ELi4ELi64ELc67ELc78EKPKS2_S5_KPS2_EEvlllT_PT11_llSA_llS8_PT12_llPT13_lli,"axG",@progbits,_ZN12_GLOBAL__N_127rocblas_gemm_batched_kernelI19rocblas_complex_numIfELi16ELi16ELi64ELi64ELi4ELi64ELi4ELi4ELi64ELc67ELc78EKPKS2_S5_KPS2_EEvlllT_PT11_llSA_llS8_PT12_llPT13_lli,comdat
	.globl	_ZN12_GLOBAL__N_127rocblas_gemm_batched_kernelI19rocblas_complex_numIfELi16ELi16ELi64ELi64ELi4ELi64ELi4ELi4ELi64ELc67ELc78EKPKS2_S5_KPS2_EEvlllT_PT11_llSA_llS8_PT12_llPT13_lli ; -- Begin function _ZN12_GLOBAL__N_127rocblas_gemm_batched_kernelI19rocblas_complex_numIfELi16ELi16ELi64ELi64ELi4ELi64ELi4ELi4ELi64ELc67ELc78EKPKS2_S5_KPS2_EEvlllT_PT11_llSA_llS8_PT12_llPT13_lli
	.p2align	8
	.type	_ZN12_GLOBAL__N_127rocblas_gemm_batched_kernelI19rocblas_complex_numIfELi16ELi16ELi64ELi64ELi4ELi64ELi4ELi4ELi64ELc67ELc78EKPKS2_S5_KPS2_EEvlllT_PT11_llSA_llS8_PT12_llPT13_lli,@function
_ZN12_GLOBAL__N_127rocblas_gemm_batched_kernelI19rocblas_complex_numIfELi16ELi16ELi64ELi64ELi4ELi64ELi4ELi4ELi64ELc67ELc78EKPKS2_S5_KPS2_EEvlllT_PT11_llSA_llS8_PT12_llPT13_lli: ; @_ZN12_GLOBAL__N_127rocblas_gemm_batched_kernelI19rocblas_complex_numIfELi16ELi16ELi64ELi64ELi4ELi64ELi4ELi4ELi64ELc67ELc78EKPKS2_S5_KPS2_EEvlllT_PT11_llSA_llS8_PT12_llPT13_lli
; %bb.0:
	s_load_b32 s33, s[0:1], 0x88
	s_lshr_b32 s2, ttmp7, 16
	s_wait_kmcnt 0x0
	s_cmp_ge_i32 s2, s33
	s_cbranch_scc1 .LBB239_10
; %bb.1:
	v_dual_mov_b32 v16, 0 :: v_dual_and_b32 v3, 0x3ff, v0
	v_bfe_u32 v1, v0, 10, 10
	s_clause 0x5
	s_load_b128 s[20:23], s[0:1], 0x10
	s_load_b256 s[4:11], s[0:1], 0x20
	s_load_b128 s[24:27], s[0:1], 0x78
	s_load_b128 s[28:31], s[0:1], 0x40
	s_load_b64 s[34:35], s[0:1], 0x50
	s_load_b256 s[12:19], s[0:1], 0x58
	s_lshl_b32 s0, ttmp7, 6
	v_lshl_add_u32 v2, v1, 4, v3
	s_and_b32 s3, s0, 0x3fffc0
	s_mov_b32 s36, ttmp9
	v_add_nc_u32_e32 v12, s3, v1
	s_ashr_i32 s37, ttmp9, 31
	v_lshrrev_b32_e32 v5, 2, v2
	v_and_b32_e32 v4, 63, v2
	v_lshrrev_b32_e32 v15, 6, v2
	s_lshl_b64 s[0:1], s[36:37], 6
	v_lshl_add_u32 v20, v1, 5, 0x800
	v_add_nc_u32_e32 v13, s3, v5
	v_lshlrev_b32_e32 v19, 3, v3
	s_wait_kmcnt 0x0
	s_delay_alu instid0(VALU_DEP_2)
	v_mad_co_u64_u32 v[8:9], null, s28, v13, 0
	v_lshlrev_b32_e32 v0, 3, v0
	s_or_b32 s3, s34, s35
	s_wait_alu 0xfffe
	s_and_b32 s36, s3, 0x7fffffff
	s_mov_b32 s3, 0
	v_and_b32_e32 v14, 24, v0
	v_lshlrev_b32_e32 v0, 3, v4
	s_cmp_eq_u32 s36, 0
	s_cselect_b32 s36, -1, 0
	s_delay_alu instid0(VALU_DEP_2) | instskip(NEXT) | instid1(VALU_DEP_2)
	v_lshl_or_b32 v2, v5, 5, v14
	v_lshl_or_b32 v17, v15, 9, v0
	v_mad_co_u64_u32 v[0:1], null, v12, s24, 0
	s_delay_alu instid0(VALU_DEP_3) | instskip(SKIP_2) | instid1(VALU_DEP_2)
	v_add_nc_u32_e32 v18, 0x800, v2
	v_or_b32_e32 v2, s0, v4
	v_mad_co_u64_u32 v[4:5], null, v12, s14, 0
	v_mul_lo_u32 v21, s7, v2
	v_mad_co_u64_u32 v[6:7], null, s6, v2, 0
	s_mul_i32 s6, s6, s1
	v_mov_b32_e32 v2, v5
	s_delay_alu instid0(VALU_DEP_1)
	v_mad_co_u64_u32 v[10:11], null, v12, s25, v[1:2]
	v_mad_co_u64_u32 v[11:12], null, v12, s15, v[2:3]
	v_mov_b32_e32 v1, v9
	v_add_co_u32 v2, s0, s0, v3
	s_wait_alu 0xfffe
	v_add3_u32 v7, v7, s6, v21
	s_wait_alu 0xf1ff
	v_add_co_ci_u32_e64 v3, null, s1, 0, s0
	v_mad_co_u64_u32 v[12:13], null, s29, v13, v[1:2]
	s_delay_alu instid0(VALU_DEP_3)
	v_lshlrev_b64_e32 v[6:7], 3, v[6:7]
	s_lshl_b64 s[0:1], s[8:9], 3
	v_dual_mov_b32 v1, v10 :: v_dual_lshlrev_b32 v10, 3, v15
	v_mov_b32_e32 v5, v11
	s_lshl_b64 s[24:25], s[24:25], 4
	s_wait_alu 0xfffe
	v_add_co_u32 v6, vcc_lo, v6, s0
	v_mov_b32_e32 v9, v12
	v_add_co_ci_u32_e64 v11, null, s1, v7, vcc_lo
	s_delay_alu instid0(VALU_DEP_3) | instskip(NEXT) | instid1(VALU_DEP_3)
	v_add_co_u32 v10, vcc_lo, v6, v10
	v_lshlrev_b64_e32 v[6:7], 3, v[8:9]
	s_lshl_b64 s[0:1], s[30:31], 3
	s_wait_alu 0xfffd
	v_add_co_ci_u32_e64 v21, null, 0, v11, vcc_lo
	v_lshlrev_b64_e32 v[4:5], 3, v[4:5]
	v_or_b32_e32 v22, 4, v10
	s_wait_alu 0xfffe
	v_add_co_u32 v6, vcc_lo, v6, s0
	v_cmp_gt_i64_e64 s0, s[20:21], 0
	s_wait_alu 0xfffd
	v_add_co_ci_u32_e64 v7, null, s1, v7, vcc_lo
	s_delay_alu instid0(VALU_DEP_3)
	v_add_co_u32 v23, vcc_lo, v6, v14
	s_lshl_b64 s[14:15], s[14:15], 4
	v_cndmask_b32_e64 v8, 0, 1, s0
	s_wait_alu 0xfffd
	v_add_co_ci_u32_e64 v24, null, 0, v7, vcc_lo
	s_lshl_b64 s[6:7], s[26:27], 3
	s_lshl_b64 s[8:9], s[16:17], 3
	v_cmp_ne_u32_e64 s0, 1, v8
	s_wait_alu 0xfffe
	s_lshl_b64 s[14:15], s[14:15], 3
	s_lshl_b64 s[16:17], s[24:25], 3
	s_branch .LBB239_3
.LBB239_2:                              ;   in Loop: Header=BB239_3 Depth=1
	s_add_co_i32 s2, s2, 0x10000
	flat_store_b32 v[8:9], v12 offset:4
	s_wait_alu 0xfffe
	s_cmp_lt_i32 s2, s33
	s_cbranch_scc0 .LBB239_10
.LBB239_3:                              ; =>This Loop Header: Depth=1
                                        ;     Child Loop BB239_5 Depth 2
	s_lshl_b64 s[24:25], s[2:3], 3
	v_dual_mov_b32 v56, 0 :: v_dual_mov_b32 v55, 0
	s_wait_alu 0xfffe
	s_add_nc_u64 s[26:27], s[12:13], s[24:25]
	s_add_nc_u64 s[28:29], s[18:19], s[24:25]
	s_clause 0x1
	global_load_b64 v[6:7], v16, s[26:27]
	global_load_b64 v[8:9], v16, s[28:29]
	v_dual_mov_b32 v53, 0 :: v_dual_mov_b32 v54, 0
	v_dual_mov_b32 v51, 0 :: v_dual_mov_b32 v52, 0
	;; [unrolled: 1-line block ×15, first 2 shown]
	s_and_b32 vcc_lo, exec_lo, s0
	s_wait_alu 0xfffe
	s_cbranch_vccnz .LBB239_6
; %bb.4:                                ;   in Loop: Header=BB239_3 Depth=1
	s_add_nc_u64 s[26:27], s[4:5], s[24:25]
	s_add_nc_u64 s[24:25], s[10:11], s[24:25]
	s_clause 0x1
	global_load_b64 v[10:11], v16, s[26:27]
	global_load_b64 v[12:13], v16, s[24:25]
	v_dual_mov_b32 v26, 0 :: v_dual_mov_b32 v25, 0
	v_dual_mov_b32 v28, 0 :: v_dual_mov_b32 v27, 0
	;; [unrolled: 1-line block ×16, first 2 shown]
	s_mov_b64 s[24:25], 0
	s_wait_loadcnt 0x1
	v_add_co_u32 v10, vcc_lo, v10, v22
	s_wait_alu 0xfffd
	v_add_co_ci_u32_e64 v11, null, v11, v21, vcc_lo
	s_wait_loadcnt 0x0
	v_add_co_u32 v12, vcc_lo, v12, v23
	s_wait_alu 0xfffd
	v_add_co_ci_u32_e64 v13, null, v13, v24, vcc_lo
.LBB239_5:                              ;   Parent Loop BB239_3 Depth=1
                                        ; =>  This Inner Loop Header: Depth=2
	flat_load_b64 v[14:15], v[10:11] offset:-4
	s_wait_alu 0xfffe
	s_add_nc_u64 s[24:25], s[24:25], 4
	v_add_co_u32 v10, vcc_lo, v10, 32
	s_wait_alu 0xfffe
	v_cmp_lt_i64_e64 s1, s[24:25], s[20:21]
	s_wait_alu 0xfffd
	v_add_co_ci_u32_e64 v11, null, 0, v11, vcc_lo
	s_and_b32 vcc_lo, exec_lo, s1
	s_wait_loadcnt_dscnt 0x0
	v_xor_b32_e32 v15, 0x80000000, v15
	ds_store_b64 v17, v[14:15]
	flat_load_b64 v[14:15], v[12:13]
	v_add_co_u32 v12, s1, v12, 32
	s_wait_alu 0xf1ff
	v_add_co_ci_u32_e64 v13, null, 0, v13, s1
	s_wait_loadcnt_dscnt 0x0
	ds_store_b64 v18, v[14:15]
	s_wait_dscnt 0x0
	s_barrier_signal -1
	s_barrier_wait -1
	global_inv scope:SCOPE_SE
	ds_load_2addr_b64 v[57:60], v19 offset1:16
	ds_load_b128 v[61:64], v20
	ds_load_b128 v[65:68], v20 offset:16
	ds_load_b128 v[69:72], v20 offset:512
	;; [unrolled: 1-line block ×7, first 2 shown]
	ds_load_2addr_b64 v[93:96], v19 offset0:32 offset1:48
	ds_load_2addr_b64 v[97:100], v19 offset0:64 offset1:80
	;; [unrolled: 1-line block ×7, first 2 shown]
	s_wait_loadcnt_dscnt 0x0
	s_barrier_signal -1
	s_barrier_wait -1
	global_inv scope:SCOPE_SE
	v_mul_f32_e32 v15, v61, v58
	v_dual_mul_f32 v122, v61, v60 :: v_dual_mul_f32 v123, v70, v58
	v_mul_f32_e32 v14, v62, v58
	v_dual_mul_f32 v121, v62, v60 :: v_dual_mul_f32 v124, v69, v58
	v_dual_mul_f32 v125, v70, v60 :: v_dual_mul_f32 v128, v77, v58
	;; [unrolled: 1-line block ×5, first 2 shown]
	v_mul_f32_e32 v129, v78, v60
	v_dual_mul_f32 v130, v77, v60 :: v_dual_mul_f32 v131, v86, v58
	v_mul_f32_e32 v58, v85, v58
	v_mul_f32_e32 v132, v86, v60
	v_dual_mul_f32 v60, v85, v60 :: v_dual_mul_f32 v133, v62, v94
	v_dual_mul_f32 v138, v69, v94 :: v_dual_mul_f32 v139, v70, v96
	;; [unrolled: 1-line block ×9, first 2 shown]
	v_mul_f32_e32 v149, v64, v100
	v_dual_mul_f32 v150, v63, v100 :: v_dual_mul_f32 v155, v72, v98
	v_dual_mul_f32 v152, v63, v102 :: v_dual_mul_f32 v161, v72, v104
	;; [unrolled: 1-line block ×11, first 2 shown]
	v_dual_mul_f32 v176, v65, v106 :: v_dual_fmac_f32 v15, v62, v57
	v_fmac_f32_e32 v122, v62, v59
	v_fma_f32 v123, v69, v57, -v123
	v_dual_fmac_f32 v134, v62, v93 :: v_dual_mul_f32 v197, v84, v116
	v_fmac_f32_e32 v136, v62, v95
	v_fma_f32 v62, v69, v93, -v137
	v_dual_mul_f32 v166, v79, v100 :: v_dual_mul_f32 v171, v88, v98
	v_dual_mul_f32 v98, v87, v98 :: v_dual_mul_f32 v185, v82, v108
	;; [unrolled: 1-line block ×8, first 2 shown]
	v_mul_f32_e32 v182, v73, v108
	v_mul_f32_e32 v186, v81, v108
	;; [unrolled: 1-line block ×6, first 2 shown]
	v_fma_f32 v14, v61, v57, -v14
	v_fma_f32 v121, v61, v59, -v121
	v_fmac_f32_e32 v124, v70, v57
	v_fma_f32 v125, v69, v59, -v125
	v_fmac_f32_e32 v126, v70, v59
	;; [unrolled: 2-line block ×6, first 2 shown]
	v_mul_f32_e32 v59, v74, v110
	v_mul_f32_e32 v132, v73, v110
	v_fma_f32 v133, v61, v93, -v133
	v_fma_f32 v61, v61, v95, -v135
	v_dual_fmac_f32 v138, v70, v93 :: v_dual_mul_f32 v199, v84, v120
	v_fma_f32 v69, v69, v95, -v139
	v_fmac_f32_e32 v140, v70, v95
	v_fma_f32 v70, v77, v93, -v141
	v_fma_f32 v77, v77, v95, -v143
	v_mul_f32_e32 v135, v81, v112
	v_fma_f32 v137, v63, v97, -v147
	v_fmac_f32_e32 v148, v64, v97
	v_fma_f32 v139, v63, v99, -v149
	v_fma_f32 v141, v63, v101, -v151
	v_fmac_f32_e32 v152, v64, v101
	v_fma_f32 v63, v63, v103, -v153
	v_dual_fmac_f32 v154, v64, v103 :: v_dual_add_f32 v53, v53, v121
	v_dual_fmac_f32 v156, v72, v97 :: v_dual_add_f32 v15, v55, v15
	v_fma_f32 v147, v71, v101, -v159
	v_dual_fmac_f32 v160, v72, v101 :: v_dual_add_f32 v47, v47, v123
	v_dual_mul_f32 v149, v67, v114 :: v_dual_fmac_f32 v144, v78, v95
	v_dual_mul_f32 v153, v67, v116 :: v_dual_fmac_f32 v142, v78, v93
	v_fma_f32 v78, v85, v93, -v145
	v_fma_f32 v85, v85, v95, -v146
	;; [unrolled: 1-line block ×6, first 2 shown]
	v_dual_fmac_f32 v164, v80, v97 :: v_dual_add_f32 v43, v43, v62
	v_fma_f32 v157, v79, v99, -v165
	v_fma_f32 v159, v79, v101, -v167
	v_dual_fmac_f32 v168, v80, v101 :: v_dual_add_f32 v39, v39, v127
	v_fma_f32 v79, v79, v103, -v169
	v_dual_mul_f32 v161, v67, v118 :: v_dual_fmac_f32 v96, v86, v95
	v_dual_mul_f32 v165, v67, v120 :: v_dual_fmac_f32 v94, v86, v93
	v_mul_f32_e32 v86, v82, v110
	v_dual_mul_f32 v93, v81, v110 :: v_dual_fmac_f32 v150, v64, v99
	v_mul_f32_e32 v169, v75, v114
	v_mul_f32_e32 v64, v90, v110
	v_fma_f32 v173, v87, v101, -v173
	v_dual_fmac_f32 v102, v88, v101 :: v_dual_add_f32 v31, v31, v131
	v_mul_f32_e32 v101, v75, v118
	v_mul_f32_e32 v110, v89, v110
	v_dual_mul_f32 v184, v81, v106 :: v_dual_mul_f32 v95, v82, v112
	v_dual_mul_f32 v106, v89, v106 :: v_dual_mul_f32 v143, v90, v112
	;; [unrolled: 1-line block ×3, first 2 shown]
	v_dual_fmac_f32 v158, v72, v99 :: v_dual_add_f32 v51, v51, v133
	v_dual_fmac_f32 v162, v72, v103 :: v_dual_add_f32 v49, v49, v61
	v_dual_mul_f32 v72, v68, v114 :: v_dual_add_f32 v45, v45, v125
	v_mul_f32_e32 v151, v68, v116
	v_dual_fmac_f32 v166, v80, v99 :: v_dual_add_f32 v41, v41, v69
	v_dual_fmac_f32 v170, v80, v103 :: v_dual_add_f32 v37, v37, v129
	v_dual_mul_f32 v80, v68, v118 :: v_dual_add_f32 v33, v33, v77
	v_fma_f32 v167, v87, v97, -v171
	v_dual_fmac_f32 v98, v88, v97 :: v_dual_add_f32 v35, v35, v70
	v_fma_f32 v97, v87, v99, -v172
	v_dual_fmac_f32 v100, v88, v99 :: v_dual_add_f32 v29, v29, v57
	v_dual_mul_f32 v99, v76, v114 :: v_dual_mul_f32 v172, v75, v116
	v_add_f32_e32 v25, v25, v85
	v_fma_f32 v87, v87, v103, -v174
	v_dual_fmac_f32 v104, v88, v103 :: v_dual_add_f32 v27, v27, v78
	v_dual_mul_f32 v103, v76, v120 :: v_dual_fmac_f32 v176, v66, v105
	v_add_f32_e32 v43, v43, v147
	v_dual_fmac_f32 v178, v66, v107 :: v_dual_add_f32 v51, v51, v141
	v_fma_f32 v179, v73, v105, -v179
	v_fma_f32 v181, v73, v107, -v181
	v_dual_fmac_f32 v182, v74, v107 :: v_dual_add_f32 v47, v47, v145
	v_fma_f32 v189, v65, v109, -v189
	v_dual_fmac_f32 v190, v66, v109 :: v_dual_add_f32 v31, v31, v167
	v_dual_fmac_f32 v192, v66, v111 :: v_dual_add_f32 v27, v27, v173
	v_fma_f32 v59, v73, v109, -v59
	v_fma_f32 v66, v73, v111, -v193
	;; [unrolled: 1-line block ×3, first 2 shown]
	v_fmac_f32_e32 v93, v82, v109
	v_dual_fmac_f32 v135, v82, v111 :: v_dual_mul_f32 v88, v76, v118
	v_dual_add_f32 v15, v15, v148 :: v_dual_fmac_f32 v132, v74, v109
	v_fmac_f32_e32 v169, v76, v113
	v_fma_f32 v64, v89, v109, -v64
	v_fmac_f32_e32 v101, v76, v117
	v_dual_fmac_f32 v110, v90, v109 :: v_dual_add_f32 v47, v47, v179
	v_dual_mul_f32 v109, v91, v118 :: v_dual_mul_f32 v112, v89, v112
	v_mul_f32_e32 v163, v68, v120
	v_mul_f32_e32 v171, v76, v116
	v_dual_mul_f32 v174, v75, v120 :: v_dual_add_f32 v53, v53, v139
	v_dual_mul_f32 v196, v83, v114 :: v_dual_add_f32 v49, v49, v63
	;; [unrolled: 1-line block ×3, first 2 shown]
	v_fma_f32 v175, v65, v105, -v175
	v_fma_f32 v177, v65, v107, -v177
	v_dual_fmac_f32 v180, v74, v105 :: v_dual_add_f32 v41, v41, v71
	v_fma_f32 v183, v81, v105, -v183
	v_dual_fmac_f32 v184, v82, v105 :: v_dual_add_f32 v39, v39, v155
	v_fma_f32 v185, v81, v107, -v185
	v_dual_fmac_f32 v186, v82, v107 :: v_dual_add_f32 v37, v37, v157
	v_fma_f32 v187, v89, v105, -v187
	v_dual_fmac_f32 v106, v90, v105 :: v_dual_add_f32 v35, v35, v159
	v_fma_f32 v105, v89, v107, -v188
	v_dual_fmac_f32 v108, v90, v107 :: v_dual_add_f32 v29, v29, v97
	v_mul_f32_e32 v107, v84, v118
	v_dual_mul_f32 v188, v83, v118 :: v_dual_add_f32 v33, v33, v79
	v_dual_mul_f32 v200, v83, v120 :: v_dual_add_f32 v25, v25, v87
	v_fma_f32 v65, v65, v111, -v191
	v_dual_fmac_f32 v194, v74, v111 :: v_dual_add_f32 v53, v53, v177
	v_fma_f32 v74, v81, v111, -v95
	v_fma_f32 v81, v89, v111, -v143
	s_delay_alu instid0(VALU_DEP_4)
	v_dual_mul_f32 v82, v92, v114 :: v_dual_add_f32 v49, v49, v65
	v_mul_f32_e32 v89, v92, v116
	v_fmac_f32_e32 v149, v68, v113
	v_fmac_f32_e32 v153, v68, v115
	;; [unrolled: 1-line block ×4, first 2 shown]
	v_dual_mul_f32 v68, v92, v118 :: v_dual_add_f32 v43, v43, v59
	v_dual_fmac_f32 v109, v92, v117 :: v_dual_fmac_f32 v112, v90, v111
	v_add_f32_e32 v51, v51, v189
	v_dual_mul_f32 v90, v91, v116 :: v_dual_add_f32 v41, v41, v66
	v_dual_mul_f32 v111, v92, v120 :: v_dual_mul_f32 v86, v91, v114
	v_add_f32_e32 v45, v45, v181
	v_fma_f32 v72, v67, v113, -v72
	v_fma_f32 v95, v67, v115, -v151
	;; [unrolled: 1-line block ×4, first 2 shown]
	v_dual_mul_f32 v114, v91, v120 :: v_dual_add_f32 v37, v37, v185
	v_fma_f32 v99, v75, v113, -v99
	v_fma_f32 v116, v75, v115, -v171
	v_dual_fmac_f32 v172, v76, v115 :: v_dual_add_f32 v35, v35, v73
	v_fma_f32 v88, v75, v117, -v88
	v_fma_f32 v75, v75, v119, -v103
	v_dual_fmac_f32 v174, v76, v119 :: v_dual_add_f32 v33, v33, v74
	v_fma_f32 v76, v83, v113, -v195
	v_dual_fmac_f32 v196, v84, v113 :: v_dual_add_f32 v39, v39, v183
	;; [unrolled: 2-line block ×5, first 2 shown]
	v_fma_f32 v82, v91, v113, -v82
	v_fma_f32 v84, v91, v115, -v89
	v_dual_fmac_f32 v90, v92, v115 :: v_dual_add_f32 v25, v25, v81
	v_fma_f32 v68, v91, v117, -v68
	v_fma_f32 v89, v91, v119, -v111
	v_dual_add_f32 v14, v56, v14 :: v_dual_add_f32 v51, v51, v80
	v_dual_add_f32 v54, v54, v122 :: v_dual_add_f32 v49, v49, v67
	;; [unrolled: 1-line block ×14, first 2 shown]
	v_add_f32_e32 v28, v28, v94
	v_add_f32_e32 v26, v26, v96
	;; [unrolled: 1-line block ×18, first 2 shown]
	v_dual_fmac_f32 v86, v92, v113 :: v_dual_add_f32 v53, v53, v95
	v_dual_add_f32 v14, v14, v175 :: v_dual_add_f32 v15, v15, v176
	v_fmac_f32_e32 v114, v92, v119
	v_add_f32_e32 v54, v54, v178
	v_add_f32_e32 v52, v52, v190
	;; [unrolled: 1-line block ×15, first 2 shown]
	v_dual_add_f32 v56, v14, v72 :: v_dual_add_f32 v55, v15, v149
	v_add_f32_e32 v54, v54, v153
	v_add_f32_e32 v52, v52, v161
	;; [unrolled: 1-line block ×15, first 2 shown]
	s_wait_alu 0xfffe
	s_cbranch_vccnz .LBB239_5
.LBB239_6:                              ;   in Loop: Header=BB239_3 Depth=1
	s_wait_loadcnt 0x0
	v_add_co_u32 v10, vcc_lo, v8, s6
	s_wait_alu 0xfffd
	v_add_co_ci_u32_e64 v11, null, s7, v9, vcc_lo
	s_and_not1_b32 vcc_lo, exec_lo, s36
	s_mov_b32 s1, -1
                                        ; implicit-def: $vgpr12
                                        ; implicit-def: $vgpr8_vgpr9
	s_wait_alu 0xfffe
	s_cbranch_vccz .LBB239_8
; %bb.7:                                ;   in Loop: Header=BB239_3 Depth=1
	s_and_not1_b32 vcc_lo, exec_lo, s1
	s_wait_alu 0xfffe
	s_cbranch_vccnz .LBB239_2
	s_branch .LBB239_9
.LBB239_8:                              ;   in Loop: Header=BB239_3 Depth=1
	v_lshlrev_b64_e32 v[8:9], 3, v[0:1]
	v_lshlrev_b64_e32 v[14:15], 3, v[2:3]
	v_dual_mul_f32 v13, s22, v55 :: v_dual_mul_f32 v58, s22, v54
	v_dual_mul_f32 v12, s23, v55 :: v_dual_mul_f32 v57, s23, v54
	v_mul_f32_e32 v60, s22, v52
	v_add_co_u32 v63, vcc_lo, v10, v8
	s_wait_alu 0xfffd
	v_add_co_ci_u32_e64 v64, null, v11, v9, vcc_lo
	v_dual_mul_f32 v59, s23, v52 :: v_dual_mul_f32 v62, s22, v50
	s_delay_alu instid0(VALU_DEP_3)
	v_add_co_u32 v8, vcc_lo, v63, v14
	v_dual_mul_f32 v61, s23, v50 :: v_dual_fmac_f32 v58, s23, v53
	v_fmac_f32_e32 v13, s23, v56
	v_fma_f32 v12, v56, s22, -v12
	s_wait_alu 0xfffd
	v_add_co_ci_u32_e64 v9, null, v64, v15, vcc_lo
	v_add_co_u32 v63, vcc_lo, v63, s16
	v_fma_f32 v57, v53, s22, -v57
	v_fma_f32 v59, v51, s22, -v59
	v_fmac_f32_e32 v60, s23, v51
	s_wait_alu 0xfffd
	v_add_co_ci_u32_e64 v65, null, s17, v64, vcc_lo
	v_fma_f32 v61, v49, s22, -v61
	v_fmac_f32_e32 v62, s23, v49
	s_clause 0x3
	flat_store_b64 v[8:9], v[12:13]
	flat_store_b64 v[8:9], v[57:58] offset:128
	flat_store_b64 v[8:9], v[59:60] offset:256
	;; [unrolled: 1-line block ×3, first 2 shown]
	v_dual_mul_f32 v8, s23, v48 :: v_dual_mul_f32 v57, s23, v46
	v_mul_f32_e32 v9, s22, v48
	v_add_co_u32 v12, vcc_lo, v63, v14
	v_dual_mul_f32 v58, s22, v46 :: v_dual_mul_f32 v59, s23, v44
	v_dual_mul_f32 v60, s22, v44 :: v_dual_mul_f32 v61, s23, v42
	s_wait_alu 0xfffd
	v_add_co_ci_u32_e64 v13, null, v65, v15, vcc_lo
	v_add_co_u32 v73, vcc_lo, v63, s16
	v_dual_mul_f32 v62, s22, v42 :: v_dual_mul_f32 v69, s23, v36
	v_mul_f32_e32 v66, s23, v40
	v_mul_f32_e32 v64, s22, v40
	s_wait_alu 0xfffd
	v_add_co_ci_u32_e64 v74, null, s17, v65, vcc_lo
	v_fma_f32 v8, v47, s22, -v8
	v_dual_fmac_f32 v9, s23, v47 :: v_dual_fmac_f32 v58, s23, v45
	v_dual_mul_f32 v67, s23, v38 :: v_dual_fmac_f32 v60, s23, v43
	v_mul_f32_e32 v71, s23, v34
	v_mul_f32_e32 v68, s22, v38
	;; [unrolled: 1-line block ×4, first 2 shown]
	v_fma_f32 v57, v45, s22, -v57
	v_fma_f32 v59, v43, s22, -v59
	v_add_co_u32 v65, vcc_lo, v73, v14
	v_fma_f32 v61, v41, s22, -v61
	v_fmac_f32_e32 v62, s23, v41
	v_fma_f32 v63, v39, s22, -v66
	v_fmac_f32_e32 v64, s23, v39
	s_wait_alu 0xfffd
	v_add_co_ci_u32_e64 v66, null, v74, v15, vcc_lo
	v_fma_f32 v67, v37, s22, -v67
	v_fmac_f32_e32 v68, s23, v37
	v_fma_f32 v69, v35, s22, -v69
	v_fmac_f32_e32 v70, s23, v35
	;; [unrolled: 2-line block ×3, first 2 shown]
	s_clause 0x7
	flat_store_b64 v[12:13], v[8:9]
	flat_store_b64 v[12:13], v[57:58] offset:128
	flat_store_b64 v[12:13], v[59:60] offset:256
	;; [unrolled: 1-line block ×3, first 2 shown]
	flat_store_b64 v[65:66], v[63:64]
	flat_store_b64 v[65:66], v[67:68] offset:128
	flat_store_b64 v[65:66], v[69:70] offset:256
	;; [unrolled: 1-line block ×3, first 2 shown]
	v_mul_f32_e32 v8, s23, v32
	v_add_co_u32 v9, vcc_lo, v73, s16
	s_wait_alu 0xfffd
	v_add_co_ci_u32_e64 v12, null, s17, v74, vcc_lo
	s_delay_alu instid0(VALU_DEP_3)
	v_fma_f32 v57, v31, s22, -v8
	v_mul_f32_e32 v8, s23, v30
	v_add_co_u32 v13, vcc_lo, v9, v14
	v_mul_f32_e32 v58, s22, v32
	s_wait_alu 0xfffd
	v_add_co_ci_u32_e64 v14, null, v12, v15, vcc_lo
	v_fma_f32 v59, v29, s22, -v8
	v_dual_mul_f32 v8, s23, v28 :: v_dual_mul_f32 v9, s23, v26
	v_mul_f32_e32 v12, s22, v26
	v_mul_f32_e32 v60, s22, v30
	;; [unrolled: 1-line block ×3, first 2 shown]
	s_delay_alu instid0(VALU_DEP_4)
	v_fma_f32 v61, v27, s22, -v8
	v_add_co_u32 v8, vcc_lo, 0x180, v13
	v_fmac_f32_e32 v58, s23, v31
	v_fma_f32 v15, v25, s22, -v9
	v_fmac_f32_e32 v12, s23, v25
	s_wait_alu 0xfffd
	v_add_co_ci_u32_e64 v9, null, 0, v14, vcc_lo
	v_fmac_f32_e32 v60, s23, v29
	v_fmac_f32_e32 v62, s23, v27
	s_clause 0x3
	flat_store_b64 v[13:14], v[57:58]
	flat_store_b64 v[13:14], v[59:60] offset:128
	flat_store_b64 v[13:14], v[61:62] offset:256
	flat_store_b32 v[13:14], v15 offset:384
	s_cbranch_execnz .LBB239_2
.LBB239_9:                              ;   in Loop: Header=BB239_3 Depth=1
	v_add_co_u32 v8, vcc_lo, v6, s8
	s_wait_alu 0xfffd
	v_add_co_ci_u32_e64 v9, null, s9, v7, vcc_lo
	v_lshlrev_b64_e32 v[6:7], 3, v[2:3]
	s_delay_alu instid0(VALU_DEP_3) | instskip(SKIP_1) | instid1(VALU_DEP_3)
	v_add_co_u32 v57, vcc_lo, v8, v4
	s_wait_alu 0xfffd
	v_add_co_ci_u32_e64 v58, null, v9, v5, vcc_lo
	v_lshlrev_b64_e32 v[14:15], 3, v[0:1]
	s_delay_alu instid0(VALU_DEP_3) | instskip(SKIP_1) | instid1(VALU_DEP_3)
	v_add_co_u32 v8, vcc_lo, v57, v6
	s_wait_alu 0xfffd
	v_add_co_ci_u32_e64 v9, null, v58, v7, vcc_lo
	s_delay_alu instid0(VALU_DEP_3)
	v_add_co_u32 v14, vcc_lo, v10, v14
	flat_load_b64 v[12:13], v[8:9]
	v_mul_f32_e32 v59, s23, v55
	s_wait_alu 0xfffd
	v_add_co_ci_u32_e64 v15, null, v11, v15, vcc_lo
	v_add_co_u32 v10, vcc_lo, v14, v6
	s_delay_alu instid0(VALU_DEP_3) | instskip(SKIP_4) | instid1(VALU_DEP_2)
	v_fma_f32 v59, v56, s22, -v59
	v_mul_f32_e32 v55, s22, v55
	s_wait_alu 0xfffd
	v_add_co_ci_u32_e64 v11, null, v15, v7, vcc_lo
	s_wait_loadcnt_dscnt 0x0
	v_dual_fmac_f32 v55, s23, v56 :: v_dual_mul_f32 v56, s35, v13
	v_mul_f32_e32 v13, s34, v13
	s_delay_alu instid0(VALU_DEP_2) | instskip(NEXT) | instid1(VALU_DEP_2)
	v_fma_f32 v56, v12, s34, -v56
	v_fmac_f32_e32 v13, s35, v12
	s_delay_alu instid0(VALU_DEP_2) | instskip(NEXT) | instid1(VALU_DEP_2)
	v_add_f32_e32 v12, v59, v56
	v_add_f32_e32 v13, v55, v13
	flat_store_b64 v[10:11], v[12:13]
	flat_load_b64 v[12:13], v[8:9] offset:128
	v_mul_f32_e32 v55, s23, v54
	v_mul_f32_e32 v54, s22, v54
	s_delay_alu instid0(VALU_DEP_1) | instskip(SKIP_4) | instid1(VALU_DEP_3)
	v_fmac_f32_e32 v54, s23, v53
	s_wait_loadcnt_dscnt 0x0
	v_mul_f32_e32 v56, s35, v13
	v_mul_f32_e32 v13, s34, v13
	v_fma_f32 v55, v53, s22, -v55
	v_fma_f32 v53, v12, s34, -v56
	s_delay_alu instid0(VALU_DEP_1) | instskip(NEXT) | instid1(VALU_DEP_1)
	v_dual_fmac_f32 v13, s35, v12 :: v_dual_add_f32 v12, v55, v53
	v_add_f32_e32 v13, v54, v13
	flat_store_b64 v[10:11], v[12:13] offset:128
	flat_load_b64 v[12:13], v[8:9] offset:256
	v_mul_f32_e32 v53, s23, v52
	v_mul_f32_e32 v52, s22, v52
	s_delay_alu instid0(VALU_DEP_1) | instskip(SKIP_4) | instid1(VALU_DEP_3)
	v_fmac_f32_e32 v52, s23, v51
	s_wait_loadcnt_dscnt 0x0
	v_mul_f32_e32 v54, s35, v13
	v_mul_f32_e32 v13, s34, v13
	v_fma_f32 v53, v51, s22, -v53
	v_fma_f32 v51, v12, s34, -v54
	s_delay_alu instid0(VALU_DEP_1) | instskip(NEXT) | instid1(VALU_DEP_1)
	v_dual_fmac_f32 v13, s35, v12 :: v_dual_add_f32 v12, v53, v51
	v_add_f32_e32 v13, v52, v13
	flat_store_b64 v[10:11], v[12:13] offset:256
	flat_load_b64 v[8:9], v[8:9] offset:384
	v_mul_f32_e32 v12, s23, v50
	s_delay_alu instid0(VALU_DEP_1) | instskip(SKIP_1) | instid1(VALU_DEP_1)
	v_fma_f32 v12, v49, s22, -v12
	v_mul_f32_e32 v13, s22, v50
	v_fmac_f32_e32 v13, s23, v49
	s_wait_loadcnt_dscnt 0x0
	v_mul_f32_e32 v50, s35, v9
	v_mul_f32_e32 v9, s34, v9
	s_delay_alu instid0(VALU_DEP_2) | instskip(SKIP_1) | instid1(VALU_DEP_3)
	v_fma_f32 v49, v8, s34, -v50
	v_add_co_u32 v50, vcc_lo, v57, s14
	v_fmac_f32_e32 v9, s35, v8
	s_wait_alu 0xfffd
	v_add_co_ci_u32_e64 v51, null, s15, v58, vcc_lo
	v_add_f32_e32 v8, v12, v49
	v_add_co_u32 v12, vcc_lo, v50, v6
	v_add_f32_e32 v9, v13, v9
	s_wait_alu 0xfffd
	v_add_co_ci_u32_e64 v13, null, v51, v7, vcc_lo
	v_add_co_u32 v14, vcc_lo, v14, s16
	flat_store_b64 v[10:11], v[8:9] offset:384
	flat_load_b64 v[8:9], v[12:13]
	v_mul_f32_e32 v10, s23, v48
	v_mul_f32_e32 v11, s22, v48
	s_wait_alu 0xfffd
	v_add_co_ci_u32_e64 v15, null, s17, v15, vcc_lo
	s_delay_alu instid0(VALU_DEP_3) | instskip(SKIP_2) | instid1(VALU_DEP_1)
	v_fma_f32 v10, v47, s22, -v10
	s_wait_loadcnt_dscnt 0x0
	v_dual_mul_f32 v48, s34, v9 :: v_dual_fmac_f32 v11, s23, v47
	v_dual_mul_f32 v47, s35, v9 :: v_dual_fmac_f32 v48, s35, v8
	s_delay_alu instid0(VALU_DEP_1) | instskip(SKIP_3) | instid1(VALU_DEP_3)
	v_fma_f32 v47, v8, s34, -v47
	v_add_co_u32 v8, vcc_lo, v14, v6
	s_wait_alu 0xfffd
	v_add_co_ci_u32_e64 v9, null, v15, v7, vcc_lo
	v_dual_add_f32 v10, v10, v47 :: v_dual_mul_f32 v47, s23, v46
	v_mul_f32_e32 v46, s22, v46
	s_delay_alu instid0(VALU_DEP_2) | instskip(NEXT) | instid1(VALU_DEP_2)
	v_fma_f32 v47, v45, s22, -v47
	v_dual_fmac_f32 v46, s23, v45 :: v_dual_add_f32 v11, v11, v48
	flat_store_b64 v[8:9], v[10:11]
	flat_load_b64 v[10:11], v[12:13] offset:128
	s_wait_loadcnt_dscnt 0x0
	v_mul_f32_e32 v48, s35, v11
	s_delay_alu instid0(VALU_DEP_1) | instskip(SKIP_1) | instid1(VALU_DEP_1)
	v_fma_f32 v45, v10, s34, -v48
	v_mul_f32_e32 v11, s34, v11
	v_dual_fmac_f32 v11, s35, v10 :: v_dual_add_f32 v10, v47, v45
	v_mul_f32_e32 v45, s23, v44
	s_delay_alu instid0(VALU_DEP_2) | instskip(NEXT) | instid1(VALU_DEP_2)
	v_dual_mul_f32 v44, s22, v44 :: v_dual_add_f32 v11, v46, v11
	v_fma_f32 v45, v43, s22, -v45
	s_delay_alu instid0(VALU_DEP_2)
	v_fmac_f32_e32 v44, s23, v43
	flat_store_b64 v[8:9], v[10:11] offset:128
	flat_load_b64 v[10:11], v[12:13] offset:256
	s_wait_loadcnt_dscnt 0x0
	v_mul_f32_e32 v46, s35, v11
	v_mul_f32_e32 v11, s34, v11
	s_delay_alu instid0(VALU_DEP_2) | instskip(NEXT) | instid1(VALU_DEP_1)
	v_fma_f32 v43, v10, s34, -v46
	v_dual_fmac_f32 v11, s35, v10 :: v_dual_add_f32 v10, v45, v43
	s_delay_alu instid0(VALU_DEP_1) | instskip(SKIP_4) | instid1(VALU_DEP_2)
	v_add_f32_e32 v11, v44, v11
	flat_store_b64 v[8:9], v[10:11] offset:256
	flat_load_b64 v[10:11], v[12:13] offset:384
	v_mul_f32_e32 v12, s23, v42
	v_mul_f32_e32 v13, s22, v42
	v_fma_f32 v12, v41, s22, -v12
	s_wait_loadcnt_dscnt 0x0
	s_delay_alu instid0(VALU_DEP_2) | instskip(SKIP_1) | instid1(VALU_DEP_2)
	v_dual_fmac_f32 v13, s23, v41 :: v_dual_mul_f32 v42, s35, v11
	v_mul_f32_e32 v11, s34, v11
	v_fma_f32 v41, v10, s34, -v42
	v_add_co_u32 v42, vcc_lo, v50, s14
	s_delay_alu instid0(VALU_DEP_3)
	v_fmac_f32_e32 v11, s35, v10
	s_wait_alu 0xfffd
	v_add_co_ci_u32_e64 v43, null, s15, v51, vcc_lo
	v_add_f32_e32 v10, v12, v41
	v_add_co_u32 v12, vcc_lo, v42, v6
	v_add_f32_e32 v11, v13, v11
	s_wait_alu 0xfffd
	v_add_co_ci_u32_e64 v13, null, v43, v7, vcc_lo
	v_add_co_u32 v14, vcc_lo, v14, s16
	flat_store_b64 v[8:9], v[10:11] offset:384
	flat_load_b64 v[8:9], v[12:13]
	v_mul_f32_e32 v10, s23, v40
	v_mul_f32_e32 v11, s22, v40
	s_wait_alu 0xfffd
	v_add_co_ci_u32_e64 v15, null, s17, v15, vcc_lo
	s_delay_alu instid0(VALU_DEP_3) | instskip(NEXT) | instid1(VALU_DEP_3)
	v_fma_f32 v10, v39, s22, -v10
	v_fmac_f32_e32 v11, s23, v39
	s_wait_loadcnt_dscnt 0x0
	v_mul_f32_e32 v39, s35, v9
	v_mul_f32_e32 v40, s34, v9
	s_delay_alu instid0(VALU_DEP_2) | instskip(NEXT) | instid1(VALU_DEP_2)
	v_fma_f32 v39, v8, s34, -v39
	v_fmac_f32_e32 v40, s35, v8
	v_add_co_u32 v8, vcc_lo, v14, v6
	s_wait_alu 0xfffd
	v_add_co_ci_u32_e64 v9, null, v15, v7, vcc_lo
	s_delay_alu instid0(VALU_DEP_3)
	v_dual_add_f32 v10, v10, v39 :: v_dual_add_f32 v11, v11, v40
	v_mul_f32_e32 v39, s23, v38
	v_mul_f32_e32 v38, s22, v38
	flat_store_b64 v[8:9], v[10:11]
	flat_load_b64 v[10:11], v[12:13] offset:128
	v_fma_f32 v39, v37, s22, -v39
	v_fmac_f32_e32 v38, s23, v37
	s_wait_loadcnt_dscnt 0x0
	v_mul_f32_e32 v40, s35, v11
	v_mul_f32_e32 v11, s34, v11
	s_delay_alu instid0(VALU_DEP_2) | instskip(NEXT) | instid1(VALU_DEP_1)
	v_fma_f32 v37, v10, s34, -v40
	v_dual_fmac_f32 v11, s35, v10 :: v_dual_add_f32 v10, v39, v37
	s_delay_alu instid0(VALU_DEP_1)
	v_add_f32_e32 v11, v38, v11
	v_mul_f32_e32 v37, s23, v36
	v_mul_f32_e32 v36, s22, v36
	flat_store_b64 v[8:9], v[10:11] offset:128
	flat_load_b64 v[10:11], v[12:13] offset:256
	v_fma_f32 v37, v35, s22, -v37
	v_fmac_f32_e32 v36, s23, v35
	s_wait_loadcnt_dscnt 0x0
	v_mul_f32_e32 v38, s35, v11
	v_mul_f32_e32 v11, s34, v11
	s_delay_alu instid0(VALU_DEP_2) | instskip(NEXT) | instid1(VALU_DEP_1)
	v_fma_f32 v35, v10, s34, -v38
	v_dual_fmac_f32 v11, s35, v10 :: v_dual_add_f32 v10, v37, v35
	s_delay_alu instid0(VALU_DEP_1) | instskip(SKIP_4) | instid1(VALU_DEP_2)
	v_add_f32_e32 v11, v36, v11
	flat_store_b64 v[8:9], v[10:11] offset:256
	flat_load_b64 v[10:11], v[12:13] offset:384
	v_mul_f32_e32 v12, s23, v34
	v_mul_f32_e32 v13, s22, v34
	v_fma_f32 v12, v33, s22, -v12
	s_wait_loadcnt_dscnt 0x0
	s_delay_alu instid0(VALU_DEP_2) | instskip(SKIP_1) | instid1(VALU_DEP_2)
	v_dual_fmac_f32 v13, s23, v33 :: v_dual_mul_f32 v34, s35, v11
	v_mul_f32_e32 v11, s34, v11
	v_fma_f32 v33, v10, s34, -v34
	v_add_co_u32 v34, vcc_lo, v42, s14
	s_delay_alu instid0(VALU_DEP_3)
	v_fmac_f32_e32 v11, s35, v10
	s_wait_alu 0xfffd
	v_add_co_ci_u32_e64 v35, null, s15, v43, vcc_lo
	v_add_f32_e32 v10, v12, v33
	v_add_co_u32 v12, vcc_lo, v34, v6
	v_add_f32_e32 v11, v13, v11
	s_wait_alu 0xfffd
	v_add_co_ci_u32_e64 v13, null, v35, v7, vcc_lo
	v_add_co_u32 v14, vcc_lo, v14, s16
	flat_store_b64 v[8:9], v[10:11] offset:384
	flat_load_b64 v[8:9], v[12:13]
	v_mul_f32_e32 v10, s23, v32
	v_mul_f32_e32 v11, s22, v32
	s_wait_alu 0xfffd
	v_add_co_ci_u32_e64 v15, null, s17, v15, vcc_lo
	v_add_co_u32 v6, vcc_lo, v14, v6
	v_fma_f32 v10, v31, s22, -v10
	v_fmac_f32_e32 v11, s23, v31
	s_wait_alu 0xfffd
	v_add_co_ci_u32_e64 v7, null, v15, v7, vcc_lo
	s_wait_loadcnt_dscnt 0x0
	v_mul_f32_e32 v31, s35, v9
	v_mul_f32_e32 v9, s34, v9
	s_delay_alu instid0(VALU_DEP_2) | instskip(NEXT) | instid1(VALU_DEP_1)
	v_fma_f32 v31, v8, s34, -v31
	v_dual_fmac_f32 v9, s35, v8 :: v_dual_add_f32 v8, v10, v31
	s_delay_alu instid0(VALU_DEP_1)
	v_dual_add_f32 v9, v11, v9 :: v_dual_mul_f32 v10, s23, v30
	v_mul_f32_e32 v11, s22, v30
	flat_store_b64 v[6:7], v[8:9]
	flat_load_b64 v[8:9], v[12:13] offset:128
	v_fma_f32 v10, v29, s22, -v10
	v_fmac_f32_e32 v11, s23, v29
	s_wait_loadcnt_dscnt 0x0
	v_mul_f32_e32 v14, s35, v9
	v_mul_f32_e32 v9, s34, v9
	s_delay_alu instid0(VALU_DEP_2) | instskip(NEXT) | instid1(VALU_DEP_1)
	v_fma_f32 v14, v8, s34, -v14
	v_dual_fmac_f32 v9, s35, v8 :: v_dual_add_f32 v8, v10, v14
	s_delay_alu instid0(VALU_DEP_1)
	v_dual_add_f32 v9, v11, v9 :: v_dual_mul_f32 v10, s23, v28
	v_mul_f32_e32 v11, s22, v28
	flat_store_b64 v[6:7], v[8:9] offset:128
	flat_load_b64 v[8:9], v[12:13] offset:256
	v_fma_f32 v10, v27, s22, -v10
	s_wait_loadcnt_dscnt 0x0
	v_dual_fmac_f32 v11, s23, v27 :: v_dual_mul_f32 v14, s35, v9
	v_mul_f32_e32 v9, s34, v9
	s_delay_alu instid0(VALU_DEP_2) | instskip(NEXT) | instid1(VALU_DEP_1)
	v_fma_f32 v14, v8, s34, -v14
	v_dual_fmac_f32 v9, s35, v8 :: v_dual_add_f32 v8, v10, v14
	s_delay_alu instid0(VALU_DEP_1)
	v_dual_add_f32 v9, v11, v9 :: v_dual_mul_f32 v10, s23, v26
	v_mul_f32_e32 v11, s22, v26
	flat_store_b64 v[6:7], v[8:9] offset:256
	flat_load_b64 v[8:9], v[12:13] offset:384
	v_fma_f32 v10, v25, s22, -v10
	v_fmac_f32_e32 v11, s23, v25
	s_wait_loadcnt_dscnt 0x0
	v_mul_f32_e32 v12, s35, v9
	v_mul_f32_e32 v9, s34, v9
	s_delay_alu instid0(VALU_DEP_2) | instskip(NEXT) | instid1(VALU_DEP_2)
	v_fma_f32 v12, v8, s34, -v12
	v_fmac_f32_e32 v9, s35, v8
	v_add_co_u32 v8, vcc_lo, 0x180, v6
	s_delay_alu instid0(VALU_DEP_3) | instskip(NEXT) | instid1(VALU_DEP_3)
	v_add_f32_e32 v10, v10, v12
	v_add_f32_e32 v12, v11, v9
	s_wait_alu 0xfffd
	v_add_co_ci_u32_e64 v9, null, 0, v7, vcc_lo
	flat_store_b32 v[6:7], v10 offset:384
	s_branch .LBB239_2
.LBB239_10:
	s_nop 0
	s_sendmsg sendmsg(MSG_DEALLOC_VGPRS)
	s_endpgm
	.section	.rodata,"a",@progbits
	.p2align	6, 0x0
	.amdhsa_kernel _ZN12_GLOBAL__N_127rocblas_gemm_batched_kernelI19rocblas_complex_numIfELi16ELi16ELi64ELi64ELi4ELi64ELi4ELi4ELi64ELc67ELc78EKPKS2_S5_KPS2_EEvlllT_PT11_llSA_llS8_PT12_llPT13_lli
		.amdhsa_group_segment_fixed_size 4096
		.amdhsa_private_segment_fixed_size 0
		.amdhsa_kernarg_size 140
		.amdhsa_user_sgpr_count 2
		.amdhsa_user_sgpr_dispatch_ptr 0
		.amdhsa_user_sgpr_queue_ptr 0
		.amdhsa_user_sgpr_kernarg_segment_ptr 1
		.amdhsa_user_sgpr_dispatch_id 0
		.amdhsa_user_sgpr_private_segment_size 0
		.amdhsa_wavefront_size32 1
		.amdhsa_uses_dynamic_stack 0
		.amdhsa_enable_private_segment 0
		.amdhsa_system_sgpr_workgroup_id_x 1
		.amdhsa_system_sgpr_workgroup_id_y 1
		.amdhsa_system_sgpr_workgroup_id_z 1
		.amdhsa_system_sgpr_workgroup_info 0
		.amdhsa_system_vgpr_workitem_id 1
		.amdhsa_next_free_vgpr 201
		.amdhsa_next_free_sgpr 38
		.amdhsa_reserve_vcc 1
		.amdhsa_float_round_mode_32 0
		.amdhsa_float_round_mode_16_64 0
		.amdhsa_float_denorm_mode_32 3
		.amdhsa_float_denorm_mode_16_64 3
		.amdhsa_fp16_overflow 0
		.amdhsa_workgroup_processor_mode 1
		.amdhsa_memory_ordered 1
		.amdhsa_forward_progress 1
		.amdhsa_inst_pref_size 44
		.amdhsa_round_robin_scheduling 0
		.amdhsa_exception_fp_ieee_invalid_op 0
		.amdhsa_exception_fp_denorm_src 0
		.amdhsa_exception_fp_ieee_div_zero 0
		.amdhsa_exception_fp_ieee_overflow 0
		.amdhsa_exception_fp_ieee_underflow 0
		.amdhsa_exception_fp_ieee_inexact 0
		.amdhsa_exception_int_div_zero 0
	.end_amdhsa_kernel
	.section	.text._ZN12_GLOBAL__N_127rocblas_gemm_batched_kernelI19rocblas_complex_numIfELi16ELi16ELi64ELi64ELi4ELi64ELi4ELi4ELi64ELc67ELc78EKPKS2_S5_KPS2_EEvlllT_PT11_llSA_llS8_PT12_llPT13_lli,"axG",@progbits,_ZN12_GLOBAL__N_127rocblas_gemm_batched_kernelI19rocblas_complex_numIfELi16ELi16ELi64ELi64ELi4ELi64ELi4ELi4ELi64ELc67ELc78EKPKS2_S5_KPS2_EEvlllT_PT11_llSA_llS8_PT12_llPT13_lli,comdat
.Lfunc_end239:
	.size	_ZN12_GLOBAL__N_127rocblas_gemm_batched_kernelI19rocblas_complex_numIfELi16ELi16ELi64ELi64ELi4ELi64ELi4ELi4ELi64ELc67ELc78EKPKS2_S5_KPS2_EEvlllT_PT11_llSA_llS8_PT12_llPT13_lli, .Lfunc_end239-_ZN12_GLOBAL__N_127rocblas_gemm_batched_kernelI19rocblas_complex_numIfELi16ELi16ELi64ELi64ELi4ELi64ELi4ELi4ELi64ELc67ELc78EKPKS2_S5_KPS2_EEvlllT_PT11_llSA_llS8_PT12_llPT13_lli
                                        ; -- End function
	.set _ZN12_GLOBAL__N_127rocblas_gemm_batched_kernelI19rocblas_complex_numIfELi16ELi16ELi64ELi64ELi4ELi64ELi4ELi4ELi64ELc67ELc78EKPKS2_S5_KPS2_EEvlllT_PT11_llSA_llS8_PT12_llPT13_lli.num_vgpr, 201
	.set _ZN12_GLOBAL__N_127rocblas_gemm_batched_kernelI19rocblas_complex_numIfELi16ELi16ELi64ELi64ELi4ELi64ELi4ELi4ELi64ELc67ELc78EKPKS2_S5_KPS2_EEvlllT_PT11_llSA_llS8_PT12_llPT13_lli.num_agpr, 0
	.set _ZN12_GLOBAL__N_127rocblas_gemm_batched_kernelI19rocblas_complex_numIfELi16ELi16ELi64ELi64ELi4ELi64ELi4ELi4ELi64ELc67ELc78EKPKS2_S5_KPS2_EEvlllT_PT11_llSA_llS8_PT12_llPT13_lli.numbered_sgpr, 38
	.set _ZN12_GLOBAL__N_127rocblas_gemm_batched_kernelI19rocblas_complex_numIfELi16ELi16ELi64ELi64ELi4ELi64ELi4ELi4ELi64ELc67ELc78EKPKS2_S5_KPS2_EEvlllT_PT11_llSA_llS8_PT12_llPT13_lli.num_named_barrier, 0
	.set _ZN12_GLOBAL__N_127rocblas_gemm_batched_kernelI19rocblas_complex_numIfELi16ELi16ELi64ELi64ELi4ELi64ELi4ELi4ELi64ELc67ELc78EKPKS2_S5_KPS2_EEvlllT_PT11_llSA_llS8_PT12_llPT13_lli.private_seg_size, 0
	.set _ZN12_GLOBAL__N_127rocblas_gemm_batched_kernelI19rocblas_complex_numIfELi16ELi16ELi64ELi64ELi4ELi64ELi4ELi4ELi64ELc67ELc78EKPKS2_S5_KPS2_EEvlllT_PT11_llSA_llS8_PT12_llPT13_lli.uses_vcc, 1
	.set _ZN12_GLOBAL__N_127rocblas_gemm_batched_kernelI19rocblas_complex_numIfELi16ELi16ELi64ELi64ELi4ELi64ELi4ELi4ELi64ELc67ELc78EKPKS2_S5_KPS2_EEvlllT_PT11_llSA_llS8_PT12_llPT13_lli.uses_flat_scratch, 1
	.set _ZN12_GLOBAL__N_127rocblas_gemm_batched_kernelI19rocblas_complex_numIfELi16ELi16ELi64ELi64ELi4ELi64ELi4ELi4ELi64ELc67ELc78EKPKS2_S5_KPS2_EEvlllT_PT11_llSA_llS8_PT12_llPT13_lli.has_dyn_sized_stack, 0
	.set _ZN12_GLOBAL__N_127rocblas_gemm_batched_kernelI19rocblas_complex_numIfELi16ELi16ELi64ELi64ELi4ELi64ELi4ELi4ELi64ELc67ELc78EKPKS2_S5_KPS2_EEvlllT_PT11_llSA_llS8_PT12_llPT13_lli.has_recursion, 0
	.set _ZN12_GLOBAL__N_127rocblas_gemm_batched_kernelI19rocblas_complex_numIfELi16ELi16ELi64ELi64ELi4ELi64ELi4ELi4ELi64ELc67ELc78EKPKS2_S5_KPS2_EEvlllT_PT11_llSA_llS8_PT12_llPT13_lli.has_indirect_call, 0
	.section	.AMDGPU.csdata,"",@progbits
; Kernel info:
; codeLenInByte = 5632
; TotalNumSgprs: 40
; NumVgprs: 201
; ScratchSize: 0
; MemoryBound: 0
; FloatMode: 240
; IeeeMode: 1
; LDSByteSize: 4096 bytes/workgroup (compile time only)
; SGPRBlocks: 0
; VGPRBlocks: 25
; NumSGPRsForWavesPerEU: 40
; NumVGPRsForWavesPerEU: 201
; Occupancy: 7
; WaveLimiterHint : 1
; COMPUTE_PGM_RSRC2:SCRATCH_EN: 0
; COMPUTE_PGM_RSRC2:USER_SGPR: 2
; COMPUTE_PGM_RSRC2:TRAP_HANDLER: 0
; COMPUTE_PGM_RSRC2:TGID_X_EN: 1
; COMPUTE_PGM_RSRC2:TGID_Y_EN: 1
; COMPUTE_PGM_RSRC2:TGID_Z_EN: 1
; COMPUTE_PGM_RSRC2:TIDIG_COMP_CNT: 1
	.section	.text._ZN12_GLOBAL__N_127rocblas_gemm_batched_kernelI19rocblas_complex_numIfELi16ELi16ELi64ELi64ELi4ELi64ELi4ELi4ELi64ELc67ELc84EKPKS2_S5_KPS2_EEvlllT_PT11_llSA_llS8_PT12_llPT13_lli,"axG",@progbits,_ZN12_GLOBAL__N_127rocblas_gemm_batched_kernelI19rocblas_complex_numIfELi16ELi16ELi64ELi64ELi4ELi64ELi4ELi4ELi64ELc67ELc84EKPKS2_S5_KPS2_EEvlllT_PT11_llSA_llS8_PT12_llPT13_lli,comdat
	.globl	_ZN12_GLOBAL__N_127rocblas_gemm_batched_kernelI19rocblas_complex_numIfELi16ELi16ELi64ELi64ELi4ELi64ELi4ELi4ELi64ELc67ELc84EKPKS2_S5_KPS2_EEvlllT_PT11_llSA_llS8_PT12_llPT13_lli ; -- Begin function _ZN12_GLOBAL__N_127rocblas_gemm_batched_kernelI19rocblas_complex_numIfELi16ELi16ELi64ELi64ELi4ELi64ELi4ELi4ELi64ELc67ELc84EKPKS2_S5_KPS2_EEvlllT_PT11_llSA_llS8_PT12_llPT13_lli
	.p2align	8
	.type	_ZN12_GLOBAL__N_127rocblas_gemm_batched_kernelI19rocblas_complex_numIfELi16ELi16ELi64ELi64ELi4ELi64ELi4ELi4ELi64ELc67ELc84EKPKS2_S5_KPS2_EEvlllT_PT11_llSA_llS8_PT12_llPT13_lli,@function
_ZN12_GLOBAL__N_127rocblas_gemm_batched_kernelI19rocblas_complex_numIfELi16ELi16ELi64ELi64ELi4ELi64ELi4ELi4ELi64ELc67ELc84EKPKS2_S5_KPS2_EEvlllT_PT11_llSA_llS8_PT12_llPT13_lli: ; @_ZN12_GLOBAL__N_127rocblas_gemm_batched_kernelI19rocblas_complex_numIfELi16ELi16ELi64ELi64ELi4ELi64ELi4ELi4ELi64ELc67ELc84EKPKS2_S5_KPS2_EEvlllT_PT11_llSA_llS8_PT12_llPT13_lli
; %bb.0:
	s_load_b32 s33, s[0:1], 0x88
	s_lshr_b32 s2, ttmp7, 16
	s_wait_kmcnt 0x0
	s_cmp_ge_i32 s2, s33
	s_cbranch_scc1 .LBB240_10
; %bb.1:
	v_and_b32_e32 v12, 0x3ff, v0
	v_bfe_u32 v8, v0, 10, 10
	s_load_b128 s[24:27], s[0:1], 0x40
	s_lshl_b32 s3, ttmp7, 6
	v_and_b32_e32 v6, 3, v0
	s_and_b32 s38, s3, 0x3fffc0
	v_lshl_add_u32 v2, v8, 4, v12
	s_clause 0x4
	s_load_b128 s[20:23], s[0:1], 0x10
	s_load_b256 s[4:11], s[0:1], 0x20
	s_load_b128 s[28:31], s[0:1], 0x78
	s_load_b64 s[34:35], s[0:1], 0x50
	s_load_b256 s[12:19], s[0:1], 0x58
	v_mov_b32_e32 v16, 0
	s_mov_b32 s36, ttmp9
	v_lshrrev_b32_e32 v3, 2, v2
	s_ashr_i32 s37, ttmp9, 31
	v_lshrrev_b32_e32 v13, 6, v2
	s_lshl_b64 s[0:1], s[36:37], 6
	v_add_nc_u32_e32 v10, s38, v8
	v_add_co_u32 v0, s3, v3, s38
	s_delay_alu instid0(VALU_DEP_1) | instskip(SKIP_3) | instid1(VALU_DEP_2)
	v_add_co_ci_u32_e64 v1, null, 0, 0, s3
	v_lshl_add_u32 v20, v8, 5, 0x800
	s_mov_b32 s3, 0
	s_wait_kmcnt 0x0
	v_mad_co_u64_u32 v[4:5], null, s24, v6, v[0:1]
	v_and_b32_e32 v1, 63, v2
	v_lshlrev_b32_e32 v7, 3, v6
	s_or_b32 s36, s34, s35
	s_delay_alu instid0(SALU_CYCLE_1) | instskip(NEXT) | instid1(VALU_DEP_3)
	s_bitset0_b32 s36, 31
	v_mov_b32_e32 v0, v5
	s_delay_alu instid0(VALU_DEP_2) | instskip(SKIP_2) | instid1(VALU_DEP_3)
	v_lshl_or_b32 v7, v3, 5, v7
	v_lshlrev_b32_e32 v5, 3, v1
	s_cmp_eq_u32 s36, 0
	v_mad_co_u64_u32 v[2:3], null, s25, v6, v[0:1]
	v_or_b32_e32 v3, s0, v1
	s_delay_alu instid0(VALU_DEP_3) | instskip(SKIP_2) | instid1(VALU_DEP_4)
	v_lshl_or_b32 v17, v13, 9, v5
	v_mad_co_u64_u32 v[0:1], null, v10, s28, 0
	v_add_nc_u32_e32 v18, 0x800, v7
	v_mul_lo_u32 v9, s7, v3
	v_mov_b32_e32 v5, v2
	v_mad_co_u64_u32 v[2:3], null, s6, v3, 0
	s_mul_i32 s6, s6, s1
	v_mad_co_u64_u32 v[6:7], null, v10, s14, 0
	s_cselect_b32 s36, -1, 0
	v_lshlrev_b64_e32 v[4:5], 3, v[4:5]
	v_lshlrev_b32_e32 v19, 3, v12
	s_wait_alu 0xfffe
	v_add3_u32 v3, v3, s6, v9
	v_mad_co_u64_u32 v[8:9], null, v10, s29, v[1:2]
	v_cmp_gt_i64_e64 s6, s[20:21], 0
	s_lshl_b64 s[28:29], s[28:29], 4
	s_lshl_b64 s[38:39], s[14:15], 4
	v_mad_co_u64_u32 v[9:10], null, v10, s15, v[7:8]
	v_lshlrev_b64_e32 v[10:11], 3, v[2:3]
	v_add_co_u32 v2, s0, s0, v12
	s_wait_alu 0xf1ff
	v_add_co_ci_u32_e64 v3, null, s1, 0, s0
	s_lshl_b64 s[0:1], s[8:9], 3
	v_mov_b32_e32 v1, v8
	s_wait_alu 0xfffe
	v_add_co_u32 v8, vcc_lo, v10, s0
	v_dual_mov_b32 v7, v9 :: v_dual_lshlrev_b32 v10, 3, v13
	v_add_co_ci_u32_e64 v9, null, s1, v11, vcc_lo
	s_lshl_b64 s[0:1], s[26:27], 3
	v_add_co_u32 v8, vcc_lo, v8, v10
	s_wait_alu 0xfffd
	v_add_co_ci_u32_e64 v21, null, 0, v9, vcc_lo
	s_wait_alu 0xfffe
	v_add_co_u32 v23, vcc_lo, s0, v4
	v_or_b32_e32 v22, 4, v8
	v_cndmask_b32_e64 v8, 0, 1, s6
	s_wait_alu 0xfffd
	v_add_co_ci_u32_e64 v24, null, s1, v5, vcc_lo
	v_lshlrev_b64_e32 v[4:5], 3, v[6:7]
	s_lshl_b64 s[6:7], s[24:25], 5
	v_cmp_ne_u32_e64 s0, 1, v8
	s_lshl_b64 s[8:9], s[30:31], 3
	s_lshl_b64 s[14:15], s[16:17], 3
	;; [unrolled: 1-line block ×4, first 2 shown]
	s_branch .LBB240_3
.LBB240_2:                              ;   in Loop: Header=BB240_3 Depth=1
	s_add_co_i32 s2, s2, 0x10000
	flat_store_b32 v[8:9], v12 offset:4
	s_wait_alu 0xfffe
	s_cmp_lt_i32 s2, s33
	s_cbranch_scc0 .LBB240_10
.LBB240_3:                              ; =>This Loop Header: Depth=1
                                        ;     Child Loop BB240_5 Depth 2
	s_lshl_b64 s[26:27], s[2:3], 3
	v_dual_mov_b32 v56, 0 :: v_dual_mov_b32 v55, 0
	s_wait_alu 0xfffe
	s_add_nc_u64 s[28:29], s[12:13], s[26:27]
	s_add_nc_u64 s[30:31], s[18:19], s[26:27]
	s_clause 0x1
	global_load_b64 v[6:7], v16, s[28:29]
	global_load_b64 v[8:9], v16, s[30:31]
	v_dual_mov_b32 v53, 0 :: v_dual_mov_b32 v54, 0
	v_dual_mov_b32 v51, 0 :: v_dual_mov_b32 v52, 0
	;; [unrolled: 1-line block ×15, first 2 shown]
	s_and_b32 vcc_lo, exec_lo, s0
	s_wait_alu 0xfffe
	s_cbranch_vccnz .LBB240_6
; %bb.4:                                ;   in Loop: Header=BB240_3 Depth=1
	s_add_nc_u64 s[28:29], s[4:5], s[26:27]
	s_add_nc_u64 s[26:27], s[10:11], s[26:27]
	s_clause 0x1
	global_load_b64 v[10:11], v16, s[28:29]
	global_load_b64 v[12:13], v16, s[26:27]
	v_dual_mov_b32 v26, 0 :: v_dual_mov_b32 v25, 0
	v_dual_mov_b32 v28, 0 :: v_dual_mov_b32 v27, 0
	;; [unrolled: 1-line block ×16, first 2 shown]
	s_mov_b64 s[26:27], 0
	s_wait_loadcnt 0x1
	v_add_co_u32 v10, vcc_lo, v10, v22
	s_wait_alu 0xfffd
	v_add_co_ci_u32_e64 v11, null, v11, v21, vcc_lo
	s_wait_loadcnt 0x0
	v_add_co_u32 v12, vcc_lo, v12, v23
	s_wait_alu 0xfffd
	v_add_co_ci_u32_e64 v13, null, v13, v24, vcc_lo
.LBB240_5:                              ;   Parent Loop BB240_3 Depth=1
                                        ; =>  This Inner Loop Header: Depth=2
	flat_load_b64 v[14:15], v[10:11] offset:-4
	s_wait_alu 0xfffe
	s_add_nc_u64 s[26:27], s[26:27], 4
	v_add_co_u32 v10, vcc_lo, v10, 32
	s_wait_alu 0xfffe
	v_cmp_lt_i64_e64 s1, s[26:27], s[20:21]
	s_wait_alu 0xfffd
	v_add_co_ci_u32_e64 v11, null, 0, v11, vcc_lo
	s_and_b32 vcc_lo, exec_lo, s1
	s_wait_loadcnt_dscnt 0x0
	v_xor_b32_e32 v15, 0x80000000, v15
	ds_store_b64 v17, v[14:15]
	flat_load_b64 v[14:15], v[12:13]
	v_add_co_u32 v12, s1, v12, s6
	s_wait_alu 0xf1ff
	v_add_co_ci_u32_e64 v13, null, s7, v13, s1
	s_wait_loadcnt_dscnt 0x0
	ds_store_b64 v18, v[14:15]
	s_wait_dscnt 0x0
	s_barrier_signal -1
	s_barrier_wait -1
	global_inv scope:SCOPE_SE
	ds_load_2addr_b64 v[57:60], v19 offset1:16
	ds_load_b128 v[61:64], v20
	ds_load_b128 v[65:68], v20 offset:16
	ds_load_b128 v[69:72], v20 offset:512
	;; [unrolled: 1-line block ×7, first 2 shown]
	ds_load_2addr_b64 v[93:96], v19 offset0:32 offset1:48
	ds_load_2addr_b64 v[97:100], v19 offset0:64 offset1:80
	;; [unrolled: 1-line block ×7, first 2 shown]
	s_wait_loadcnt_dscnt 0x0
	s_barrier_signal -1
	s_barrier_wait -1
	global_inv scope:SCOPE_SE
	v_mul_f32_e32 v15, v61, v58
	v_dual_mul_f32 v122, v61, v60 :: v_dual_mul_f32 v123, v70, v58
	v_mul_f32_e32 v14, v62, v58
	v_dual_mul_f32 v121, v62, v60 :: v_dual_mul_f32 v124, v69, v58
	v_dual_mul_f32 v125, v70, v60 :: v_dual_mul_f32 v128, v77, v58
	;; [unrolled: 1-line block ×5, first 2 shown]
	v_mul_f32_e32 v129, v78, v60
	v_dual_mul_f32 v130, v77, v60 :: v_dual_mul_f32 v131, v86, v58
	v_mul_f32_e32 v58, v85, v58
	v_mul_f32_e32 v132, v86, v60
	v_dual_mul_f32 v60, v85, v60 :: v_dual_mul_f32 v133, v62, v94
	v_dual_mul_f32 v138, v69, v94 :: v_dual_mul_f32 v139, v70, v96
	;; [unrolled: 1-line block ×9, first 2 shown]
	v_mul_f32_e32 v149, v64, v100
	v_dual_mul_f32 v150, v63, v100 :: v_dual_mul_f32 v155, v72, v98
	v_dual_mul_f32 v152, v63, v102 :: v_dual_mul_f32 v161, v72, v104
	;; [unrolled: 1-line block ×11, first 2 shown]
	v_dual_mul_f32 v176, v65, v106 :: v_dual_fmac_f32 v15, v62, v57
	v_fmac_f32_e32 v122, v62, v59
	v_fma_f32 v123, v69, v57, -v123
	v_dual_fmac_f32 v134, v62, v93 :: v_dual_mul_f32 v197, v84, v116
	v_fmac_f32_e32 v136, v62, v95
	v_fma_f32 v62, v69, v93, -v137
	v_dual_mul_f32 v166, v79, v100 :: v_dual_mul_f32 v171, v88, v98
	v_dual_mul_f32 v98, v87, v98 :: v_dual_mul_f32 v185, v82, v108
	;; [unrolled: 1-line block ×8, first 2 shown]
	v_mul_f32_e32 v182, v73, v108
	v_mul_f32_e32 v186, v81, v108
	;; [unrolled: 1-line block ×6, first 2 shown]
	v_fma_f32 v14, v61, v57, -v14
	v_fma_f32 v121, v61, v59, -v121
	v_fmac_f32_e32 v124, v70, v57
	v_fma_f32 v125, v69, v59, -v125
	v_fmac_f32_e32 v126, v70, v59
	;; [unrolled: 2-line block ×6, first 2 shown]
	v_mul_f32_e32 v59, v74, v110
	v_mul_f32_e32 v132, v73, v110
	v_fma_f32 v133, v61, v93, -v133
	v_fma_f32 v61, v61, v95, -v135
	v_dual_fmac_f32 v138, v70, v93 :: v_dual_mul_f32 v199, v84, v120
	v_fma_f32 v69, v69, v95, -v139
	v_fmac_f32_e32 v140, v70, v95
	v_fma_f32 v70, v77, v93, -v141
	v_fma_f32 v77, v77, v95, -v143
	v_mul_f32_e32 v135, v81, v112
	v_fma_f32 v137, v63, v97, -v147
	v_fmac_f32_e32 v148, v64, v97
	v_fma_f32 v139, v63, v99, -v149
	v_fma_f32 v141, v63, v101, -v151
	v_fmac_f32_e32 v152, v64, v101
	v_fma_f32 v63, v63, v103, -v153
	v_dual_fmac_f32 v154, v64, v103 :: v_dual_add_f32 v53, v53, v121
	v_dual_fmac_f32 v156, v72, v97 :: v_dual_add_f32 v15, v55, v15
	v_fma_f32 v147, v71, v101, -v159
	v_dual_fmac_f32 v160, v72, v101 :: v_dual_add_f32 v47, v47, v123
	v_dual_mul_f32 v149, v67, v114 :: v_dual_fmac_f32 v144, v78, v95
	v_dual_mul_f32 v153, v67, v116 :: v_dual_fmac_f32 v142, v78, v93
	v_fma_f32 v78, v85, v93, -v145
	v_fma_f32 v85, v85, v95, -v146
	v_fma_f32 v145, v71, v97, -v155
	v_fma_f32 v146, v71, v99, -v157
	v_fma_f32 v71, v71, v103, -v161
	v_fma_f32 v155, v79, v97, -v163
	v_dual_fmac_f32 v164, v80, v97 :: v_dual_add_f32 v43, v43, v62
	v_fma_f32 v157, v79, v99, -v165
	v_fma_f32 v159, v79, v101, -v167
	v_dual_fmac_f32 v168, v80, v101 :: v_dual_add_f32 v39, v39, v127
	v_fma_f32 v79, v79, v103, -v169
	v_dual_mul_f32 v161, v67, v118 :: v_dual_fmac_f32 v96, v86, v95
	v_dual_mul_f32 v165, v67, v120 :: v_dual_fmac_f32 v94, v86, v93
	v_mul_f32_e32 v86, v82, v110
	v_dual_mul_f32 v93, v81, v110 :: v_dual_fmac_f32 v150, v64, v99
	v_mul_f32_e32 v169, v75, v114
	v_mul_f32_e32 v64, v90, v110
	v_fma_f32 v173, v87, v101, -v173
	v_dual_fmac_f32 v102, v88, v101 :: v_dual_add_f32 v31, v31, v131
	v_mul_f32_e32 v101, v75, v118
	v_mul_f32_e32 v110, v89, v110
	v_dual_mul_f32 v184, v81, v106 :: v_dual_mul_f32 v95, v82, v112
	v_dual_mul_f32 v106, v89, v106 :: v_dual_mul_f32 v143, v90, v112
	;; [unrolled: 1-line block ×3, first 2 shown]
	v_dual_fmac_f32 v158, v72, v99 :: v_dual_add_f32 v51, v51, v133
	v_dual_fmac_f32 v162, v72, v103 :: v_dual_add_f32 v49, v49, v61
	v_dual_mul_f32 v72, v68, v114 :: v_dual_add_f32 v45, v45, v125
	v_mul_f32_e32 v151, v68, v116
	v_dual_fmac_f32 v166, v80, v99 :: v_dual_add_f32 v41, v41, v69
	v_dual_fmac_f32 v170, v80, v103 :: v_dual_add_f32 v37, v37, v129
	v_dual_mul_f32 v80, v68, v118 :: v_dual_add_f32 v33, v33, v77
	v_fma_f32 v167, v87, v97, -v171
	v_dual_fmac_f32 v98, v88, v97 :: v_dual_add_f32 v35, v35, v70
	v_fma_f32 v97, v87, v99, -v172
	v_dual_fmac_f32 v100, v88, v99 :: v_dual_add_f32 v29, v29, v57
	v_dual_mul_f32 v99, v76, v114 :: v_dual_mul_f32 v172, v75, v116
	v_add_f32_e32 v25, v25, v85
	v_fma_f32 v87, v87, v103, -v174
	v_dual_fmac_f32 v104, v88, v103 :: v_dual_add_f32 v27, v27, v78
	v_dual_mul_f32 v103, v76, v120 :: v_dual_fmac_f32 v176, v66, v105
	v_add_f32_e32 v43, v43, v147
	v_dual_fmac_f32 v178, v66, v107 :: v_dual_add_f32 v51, v51, v141
	v_fma_f32 v179, v73, v105, -v179
	v_fma_f32 v181, v73, v107, -v181
	v_dual_fmac_f32 v182, v74, v107 :: v_dual_add_f32 v47, v47, v145
	v_fma_f32 v189, v65, v109, -v189
	v_dual_fmac_f32 v190, v66, v109 :: v_dual_add_f32 v31, v31, v167
	v_dual_fmac_f32 v192, v66, v111 :: v_dual_add_f32 v27, v27, v173
	v_fma_f32 v59, v73, v109, -v59
	v_fma_f32 v66, v73, v111, -v193
	;; [unrolled: 1-line block ×3, first 2 shown]
	v_fmac_f32_e32 v93, v82, v109
	v_dual_fmac_f32 v135, v82, v111 :: v_dual_mul_f32 v88, v76, v118
	v_dual_add_f32 v15, v15, v148 :: v_dual_fmac_f32 v132, v74, v109
	v_fmac_f32_e32 v169, v76, v113
	v_fma_f32 v64, v89, v109, -v64
	v_fmac_f32_e32 v101, v76, v117
	v_dual_fmac_f32 v110, v90, v109 :: v_dual_add_f32 v47, v47, v179
	v_dual_mul_f32 v109, v91, v118 :: v_dual_mul_f32 v112, v89, v112
	v_mul_f32_e32 v163, v68, v120
	v_mul_f32_e32 v171, v76, v116
	v_dual_mul_f32 v174, v75, v120 :: v_dual_add_f32 v53, v53, v139
	v_dual_mul_f32 v196, v83, v114 :: v_dual_add_f32 v49, v49, v63
	;; [unrolled: 1-line block ×3, first 2 shown]
	v_fma_f32 v175, v65, v105, -v175
	v_fma_f32 v177, v65, v107, -v177
	v_dual_fmac_f32 v180, v74, v105 :: v_dual_add_f32 v41, v41, v71
	v_fma_f32 v183, v81, v105, -v183
	v_dual_fmac_f32 v184, v82, v105 :: v_dual_add_f32 v39, v39, v155
	v_fma_f32 v185, v81, v107, -v185
	v_dual_fmac_f32 v186, v82, v107 :: v_dual_add_f32 v37, v37, v157
	v_fma_f32 v187, v89, v105, -v187
	v_dual_fmac_f32 v106, v90, v105 :: v_dual_add_f32 v35, v35, v159
	v_fma_f32 v105, v89, v107, -v188
	v_dual_fmac_f32 v108, v90, v107 :: v_dual_add_f32 v29, v29, v97
	v_mul_f32_e32 v107, v84, v118
	v_dual_mul_f32 v188, v83, v118 :: v_dual_add_f32 v33, v33, v79
	v_dual_mul_f32 v200, v83, v120 :: v_dual_add_f32 v25, v25, v87
	v_fma_f32 v65, v65, v111, -v191
	v_dual_fmac_f32 v194, v74, v111 :: v_dual_add_f32 v53, v53, v177
	v_fma_f32 v74, v81, v111, -v95
	v_fma_f32 v81, v89, v111, -v143
	s_delay_alu instid0(VALU_DEP_4)
	v_dual_mul_f32 v82, v92, v114 :: v_dual_add_f32 v49, v49, v65
	v_mul_f32_e32 v89, v92, v116
	v_fmac_f32_e32 v149, v68, v113
	v_fmac_f32_e32 v153, v68, v115
	;; [unrolled: 1-line block ×4, first 2 shown]
	v_dual_mul_f32 v68, v92, v118 :: v_dual_add_f32 v43, v43, v59
	v_dual_fmac_f32 v109, v92, v117 :: v_dual_fmac_f32 v112, v90, v111
	v_add_f32_e32 v51, v51, v189
	v_dual_mul_f32 v90, v91, v116 :: v_dual_add_f32 v41, v41, v66
	v_dual_mul_f32 v111, v92, v120 :: v_dual_mul_f32 v86, v91, v114
	v_add_f32_e32 v45, v45, v181
	v_fma_f32 v72, v67, v113, -v72
	v_fma_f32 v95, v67, v115, -v151
	v_fma_f32 v80, v67, v117, -v80
	v_fma_f32 v67, v67, v119, -v163
	v_dual_mul_f32 v114, v91, v120 :: v_dual_add_f32 v37, v37, v185
	v_fma_f32 v99, v75, v113, -v99
	v_fma_f32 v116, v75, v115, -v171
	v_dual_fmac_f32 v172, v76, v115 :: v_dual_add_f32 v35, v35, v73
	v_fma_f32 v88, v75, v117, -v88
	v_fma_f32 v75, v75, v119, -v103
	v_dual_fmac_f32 v174, v76, v119 :: v_dual_add_f32 v33, v33, v74
	v_fma_f32 v76, v83, v113, -v195
	v_dual_fmac_f32 v196, v84, v113 :: v_dual_add_f32 v39, v39, v183
	;; [unrolled: 2-line block ×5, first 2 shown]
	v_fma_f32 v82, v91, v113, -v82
	v_fma_f32 v84, v91, v115, -v89
	v_dual_fmac_f32 v90, v92, v115 :: v_dual_add_f32 v25, v25, v81
	v_fma_f32 v68, v91, v117, -v68
	v_fma_f32 v89, v91, v119, -v111
	v_dual_add_f32 v14, v56, v14 :: v_dual_add_f32 v51, v51, v80
	v_dual_add_f32 v54, v54, v122 :: v_dual_add_f32 v49, v49, v67
	;; [unrolled: 1-line block ×14, first 2 shown]
	v_add_f32_e32 v28, v28, v94
	v_add_f32_e32 v26, v26, v96
	v_add_f32_e32 v14, v14, v137
	v_add_f32_e32 v54, v54, v150
	v_add_f32_e32 v52, v52, v152
	v_add_f32_e32 v50, v50, v154
	v_add_f32_e32 v48, v48, v156
	v_add_f32_e32 v46, v46, v158
	v_add_f32_e32 v44, v44, v160
	v_add_f32_e32 v42, v42, v162
	v_add_f32_e32 v40, v40, v164
	v_add_f32_e32 v38, v38, v166
	v_add_f32_e32 v36, v36, v168
	v_add_f32_e32 v34, v34, v170
	v_add_f32_e32 v32, v32, v98
	v_add_f32_e32 v30, v30, v100
	v_add_f32_e32 v28, v28, v102
	v_add_f32_e32 v26, v26, v104
	v_dual_fmac_f32 v86, v92, v113 :: v_dual_add_f32 v53, v53, v95
	v_dual_add_f32 v14, v14, v175 :: v_dual_add_f32 v15, v15, v176
	v_fmac_f32_e32 v114, v92, v119
	v_add_f32_e32 v54, v54, v178
	v_add_f32_e32 v52, v52, v190
	;; [unrolled: 1-line block ×15, first 2 shown]
	v_dual_add_f32 v56, v14, v72 :: v_dual_add_f32 v55, v15, v149
	v_add_f32_e32 v54, v54, v153
	v_add_f32_e32 v52, v52, v161
	;; [unrolled: 1-line block ×15, first 2 shown]
	s_wait_alu 0xfffe
	s_cbranch_vccnz .LBB240_5
.LBB240_6:                              ;   in Loop: Header=BB240_3 Depth=1
	s_wait_loadcnt 0x0
	v_add_co_u32 v10, vcc_lo, v8, s8
	s_wait_alu 0xfffd
	v_add_co_ci_u32_e64 v11, null, s9, v9, vcc_lo
	s_and_not1_b32 vcc_lo, exec_lo, s36
	s_mov_b32 s1, -1
                                        ; implicit-def: $vgpr12
                                        ; implicit-def: $vgpr8_vgpr9
	s_wait_alu 0xfffe
	s_cbranch_vccz .LBB240_8
; %bb.7:                                ;   in Loop: Header=BB240_3 Depth=1
	s_and_not1_b32 vcc_lo, exec_lo, s1
	s_wait_alu 0xfffe
	s_cbranch_vccnz .LBB240_2
	s_branch .LBB240_9
.LBB240_8:                              ;   in Loop: Header=BB240_3 Depth=1
	v_lshlrev_b64_e32 v[8:9], 3, v[0:1]
	v_lshlrev_b64_e32 v[14:15], 3, v[2:3]
	v_dual_mul_f32 v13, s22, v55 :: v_dual_mul_f32 v58, s22, v54
	v_dual_mul_f32 v12, s23, v55 :: v_dual_mul_f32 v57, s23, v54
	v_mul_f32_e32 v60, s22, v52
	v_add_co_u32 v63, vcc_lo, v10, v8
	s_wait_alu 0xfffd
	v_add_co_ci_u32_e64 v64, null, v11, v9, vcc_lo
	v_dual_mul_f32 v59, s23, v52 :: v_dual_mul_f32 v62, s22, v50
	s_delay_alu instid0(VALU_DEP_3)
	v_add_co_u32 v8, vcc_lo, v63, v14
	v_dual_mul_f32 v61, s23, v50 :: v_dual_fmac_f32 v58, s23, v53
	v_fmac_f32_e32 v13, s23, v56
	v_fma_f32 v12, v56, s22, -v12
	s_wait_alu 0xfffd
	v_add_co_ci_u32_e64 v9, null, v64, v15, vcc_lo
	v_add_co_u32 v63, vcc_lo, v63, s24
	v_fma_f32 v57, v53, s22, -v57
	v_fma_f32 v59, v51, s22, -v59
	v_fmac_f32_e32 v60, s23, v51
	s_wait_alu 0xfffd
	v_add_co_ci_u32_e64 v65, null, s25, v64, vcc_lo
	v_fma_f32 v61, v49, s22, -v61
	v_fmac_f32_e32 v62, s23, v49
	s_clause 0x3
	flat_store_b64 v[8:9], v[12:13]
	flat_store_b64 v[8:9], v[57:58] offset:128
	flat_store_b64 v[8:9], v[59:60] offset:256
	;; [unrolled: 1-line block ×3, first 2 shown]
	v_dual_mul_f32 v8, s23, v48 :: v_dual_mul_f32 v57, s23, v46
	v_mul_f32_e32 v9, s22, v48
	v_add_co_u32 v12, vcc_lo, v63, v14
	v_dual_mul_f32 v58, s22, v46 :: v_dual_mul_f32 v59, s23, v44
	v_dual_mul_f32 v60, s22, v44 :: v_dual_mul_f32 v61, s23, v42
	s_wait_alu 0xfffd
	v_add_co_ci_u32_e64 v13, null, v65, v15, vcc_lo
	v_add_co_u32 v73, vcc_lo, v63, s24
	v_dual_mul_f32 v62, s22, v42 :: v_dual_mul_f32 v69, s23, v36
	v_mul_f32_e32 v66, s23, v40
	v_mul_f32_e32 v64, s22, v40
	s_wait_alu 0xfffd
	v_add_co_ci_u32_e64 v74, null, s25, v65, vcc_lo
	v_fma_f32 v8, v47, s22, -v8
	v_dual_fmac_f32 v9, s23, v47 :: v_dual_fmac_f32 v58, s23, v45
	v_dual_mul_f32 v67, s23, v38 :: v_dual_fmac_f32 v60, s23, v43
	v_mul_f32_e32 v71, s23, v34
	v_mul_f32_e32 v68, s22, v38
	;; [unrolled: 1-line block ×4, first 2 shown]
	v_fma_f32 v57, v45, s22, -v57
	v_fma_f32 v59, v43, s22, -v59
	v_add_co_u32 v65, vcc_lo, v73, v14
	v_fma_f32 v61, v41, s22, -v61
	v_fmac_f32_e32 v62, s23, v41
	v_fma_f32 v63, v39, s22, -v66
	v_fmac_f32_e32 v64, s23, v39
	s_wait_alu 0xfffd
	v_add_co_ci_u32_e64 v66, null, v74, v15, vcc_lo
	v_fma_f32 v67, v37, s22, -v67
	v_fmac_f32_e32 v68, s23, v37
	v_fma_f32 v69, v35, s22, -v69
	v_fmac_f32_e32 v70, s23, v35
	;; [unrolled: 2-line block ×3, first 2 shown]
	s_clause 0x7
	flat_store_b64 v[12:13], v[8:9]
	flat_store_b64 v[12:13], v[57:58] offset:128
	flat_store_b64 v[12:13], v[59:60] offset:256
	;; [unrolled: 1-line block ×3, first 2 shown]
	flat_store_b64 v[65:66], v[63:64]
	flat_store_b64 v[65:66], v[67:68] offset:128
	flat_store_b64 v[65:66], v[69:70] offset:256
	;; [unrolled: 1-line block ×3, first 2 shown]
	v_mul_f32_e32 v8, s23, v32
	v_add_co_u32 v9, vcc_lo, v73, s24
	s_wait_alu 0xfffd
	v_add_co_ci_u32_e64 v12, null, s25, v74, vcc_lo
	s_delay_alu instid0(VALU_DEP_3)
	v_fma_f32 v57, v31, s22, -v8
	v_mul_f32_e32 v8, s23, v30
	v_add_co_u32 v13, vcc_lo, v9, v14
	v_mul_f32_e32 v58, s22, v32
	s_wait_alu 0xfffd
	v_add_co_ci_u32_e64 v14, null, v12, v15, vcc_lo
	v_fma_f32 v59, v29, s22, -v8
	v_dual_mul_f32 v8, s23, v28 :: v_dual_mul_f32 v9, s23, v26
	v_mul_f32_e32 v12, s22, v26
	v_mul_f32_e32 v60, s22, v30
	;; [unrolled: 1-line block ×3, first 2 shown]
	s_delay_alu instid0(VALU_DEP_4)
	v_fma_f32 v61, v27, s22, -v8
	v_add_co_u32 v8, vcc_lo, 0x180, v13
	v_fmac_f32_e32 v58, s23, v31
	v_fma_f32 v15, v25, s22, -v9
	v_fmac_f32_e32 v12, s23, v25
	s_wait_alu 0xfffd
	v_add_co_ci_u32_e64 v9, null, 0, v14, vcc_lo
	v_fmac_f32_e32 v60, s23, v29
	v_fmac_f32_e32 v62, s23, v27
	s_clause 0x3
	flat_store_b64 v[13:14], v[57:58]
	flat_store_b64 v[13:14], v[59:60] offset:128
	flat_store_b64 v[13:14], v[61:62] offset:256
	flat_store_b32 v[13:14], v15 offset:384
	s_cbranch_execnz .LBB240_2
.LBB240_9:                              ;   in Loop: Header=BB240_3 Depth=1
	v_add_co_u32 v8, vcc_lo, v6, s14
	s_wait_alu 0xfffd
	v_add_co_ci_u32_e64 v9, null, s15, v7, vcc_lo
	v_lshlrev_b64_e32 v[6:7], 3, v[2:3]
	s_delay_alu instid0(VALU_DEP_3) | instskip(SKIP_1) | instid1(VALU_DEP_3)
	v_add_co_u32 v57, vcc_lo, v8, v4
	s_wait_alu 0xfffd
	v_add_co_ci_u32_e64 v58, null, v9, v5, vcc_lo
	v_lshlrev_b64_e32 v[14:15], 3, v[0:1]
	s_delay_alu instid0(VALU_DEP_3) | instskip(SKIP_1) | instid1(VALU_DEP_3)
	v_add_co_u32 v8, vcc_lo, v57, v6
	s_wait_alu 0xfffd
	v_add_co_ci_u32_e64 v9, null, v58, v7, vcc_lo
	s_delay_alu instid0(VALU_DEP_3)
	v_add_co_u32 v14, vcc_lo, v10, v14
	flat_load_b64 v[12:13], v[8:9]
	v_mul_f32_e32 v59, s23, v55
	s_wait_alu 0xfffd
	v_add_co_ci_u32_e64 v15, null, v11, v15, vcc_lo
	v_add_co_u32 v10, vcc_lo, v14, v6
	s_delay_alu instid0(VALU_DEP_3) | instskip(SKIP_4) | instid1(VALU_DEP_2)
	v_fma_f32 v59, v56, s22, -v59
	v_mul_f32_e32 v55, s22, v55
	s_wait_alu 0xfffd
	v_add_co_ci_u32_e64 v11, null, v15, v7, vcc_lo
	s_wait_loadcnt_dscnt 0x0
	v_dual_fmac_f32 v55, s23, v56 :: v_dual_mul_f32 v56, s35, v13
	v_mul_f32_e32 v13, s34, v13
	s_delay_alu instid0(VALU_DEP_2) | instskip(NEXT) | instid1(VALU_DEP_2)
	v_fma_f32 v56, v12, s34, -v56
	v_fmac_f32_e32 v13, s35, v12
	s_delay_alu instid0(VALU_DEP_2) | instskip(NEXT) | instid1(VALU_DEP_2)
	v_add_f32_e32 v12, v59, v56
	v_add_f32_e32 v13, v55, v13
	flat_store_b64 v[10:11], v[12:13]
	flat_load_b64 v[12:13], v[8:9] offset:128
	v_mul_f32_e32 v55, s23, v54
	v_mul_f32_e32 v54, s22, v54
	s_delay_alu instid0(VALU_DEP_1) | instskip(SKIP_4) | instid1(VALU_DEP_3)
	v_fmac_f32_e32 v54, s23, v53
	s_wait_loadcnt_dscnt 0x0
	v_mul_f32_e32 v56, s35, v13
	v_mul_f32_e32 v13, s34, v13
	v_fma_f32 v55, v53, s22, -v55
	v_fma_f32 v53, v12, s34, -v56
	s_delay_alu instid0(VALU_DEP_1) | instskip(NEXT) | instid1(VALU_DEP_1)
	v_dual_fmac_f32 v13, s35, v12 :: v_dual_add_f32 v12, v55, v53
	v_add_f32_e32 v13, v54, v13
	flat_store_b64 v[10:11], v[12:13] offset:128
	flat_load_b64 v[12:13], v[8:9] offset:256
	v_mul_f32_e32 v53, s23, v52
	v_mul_f32_e32 v52, s22, v52
	s_delay_alu instid0(VALU_DEP_1) | instskip(SKIP_4) | instid1(VALU_DEP_3)
	v_fmac_f32_e32 v52, s23, v51
	s_wait_loadcnt_dscnt 0x0
	v_mul_f32_e32 v54, s35, v13
	v_mul_f32_e32 v13, s34, v13
	v_fma_f32 v53, v51, s22, -v53
	v_fma_f32 v51, v12, s34, -v54
	s_delay_alu instid0(VALU_DEP_1) | instskip(NEXT) | instid1(VALU_DEP_1)
	v_dual_fmac_f32 v13, s35, v12 :: v_dual_add_f32 v12, v53, v51
	v_add_f32_e32 v13, v52, v13
	flat_store_b64 v[10:11], v[12:13] offset:256
	flat_load_b64 v[8:9], v[8:9] offset:384
	v_mul_f32_e32 v12, s23, v50
	s_delay_alu instid0(VALU_DEP_1) | instskip(SKIP_1) | instid1(VALU_DEP_1)
	v_fma_f32 v12, v49, s22, -v12
	v_mul_f32_e32 v13, s22, v50
	v_fmac_f32_e32 v13, s23, v49
	s_wait_loadcnt_dscnt 0x0
	v_mul_f32_e32 v50, s35, v9
	v_mul_f32_e32 v9, s34, v9
	s_delay_alu instid0(VALU_DEP_2) | instskip(SKIP_1) | instid1(VALU_DEP_3)
	v_fma_f32 v49, v8, s34, -v50
	v_add_co_u32 v50, vcc_lo, v57, s16
	v_fmac_f32_e32 v9, s35, v8
	s_wait_alu 0xfffd
	v_add_co_ci_u32_e64 v51, null, s17, v58, vcc_lo
	v_add_f32_e32 v8, v12, v49
	v_add_co_u32 v12, vcc_lo, v50, v6
	v_add_f32_e32 v9, v13, v9
	s_wait_alu 0xfffd
	v_add_co_ci_u32_e64 v13, null, v51, v7, vcc_lo
	v_add_co_u32 v14, vcc_lo, v14, s24
	flat_store_b64 v[10:11], v[8:9] offset:384
	flat_load_b64 v[8:9], v[12:13]
	v_mul_f32_e32 v10, s23, v48
	v_mul_f32_e32 v11, s22, v48
	s_wait_alu 0xfffd
	v_add_co_ci_u32_e64 v15, null, s25, v15, vcc_lo
	s_delay_alu instid0(VALU_DEP_3) | instskip(SKIP_2) | instid1(VALU_DEP_1)
	v_fma_f32 v10, v47, s22, -v10
	s_wait_loadcnt_dscnt 0x0
	v_dual_mul_f32 v48, s34, v9 :: v_dual_fmac_f32 v11, s23, v47
	v_dual_mul_f32 v47, s35, v9 :: v_dual_fmac_f32 v48, s35, v8
	s_delay_alu instid0(VALU_DEP_1) | instskip(SKIP_3) | instid1(VALU_DEP_3)
	v_fma_f32 v47, v8, s34, -v47
	v_add_co_u32 v8, vcc_lo, v14, v6
	s_wait_alu 0xfffd
	v_add_co_ci_u32_e64 v9, null, v15, v7, vcc_lo
	v_dual_add_f32 v10, v10, v47 :: v_dual_mul_f32 v47, s23, v46
	v_mul_f32_e32 v46, s22, v46
	s_delay_alu instid0(VALU_DEP_2) | instskip(NEXT) | instid1(VALU_DEP_2)
	v_fma_f32 v47, v45, s22, -v47
	v_dual_fmac_f32 v46, s23, v45 :: v_dual_add_f32 v11, v11, v48
	flat_store_b64 v[8:9], v[10:11]
	flat_load_b64 v[10:11], v[12:13] offset:128
	s_wait_loadcnt_dscnt 0x0
	v_mul_f32_e32 v48, s35, v11
	s_delay_alu instid0(VALU_DEP_1) | instskip(SKIP_1) | instid1(VALU_DEP_1)
	v_fma_f32 v45, v10, s34, -v48
	v_mul_f32_e32 v11, s34, v11
	v_dual_fmac_f32 v11, s35, v10 :: v_dual_add_f32 v10, v47, v45
	v_mul_f32_e32 v45, s23, v44
	s_delay_alu instid0(VALU_DEP_2) | instskip(NEXT) | instid1(VALU_DEP_2)
	v_dual_mul_f32 v44, s22, v44 :: v_dual_add_f32 v11, v46, v11
	v_fma_f32 v45, v43, s22, -v45
	s_delay_alu instid0(VALU_DEP_2)
	v_fmac_f32_e32 v44, s23, v43
	flat_store_b64 v[8:9], v[10:11] offset:128
	flat_load_b64 v[10:11], v[12:13] offset:256
	s_wait_loadcnt_dscnt 0x0
	v_mul_f32_e32 v46, s35, v11
	v_mul_f32_e32 v11, s34, v11
	s_delay_alu instid0(VALU_DEP_2) | instskip(NEXT) | instid1(VALU_DEP_1)
	v_fma_f32 v43, v10, s34, -v46
	v_dual_fmac_f32 v11, s35, v10 :: v_dual_add_f32 v10, v45, v43
	s_delay_alu instid0(VALU_DEP_1) | instskip(SKIP_4) | instid1(VALU_DEP_2)
	v_add_f32_e32 v11, v44, v11
	flat_store_b64 v[8:9], v[10:11] offset:256
	flat_load_b64 v[10:11], v[12:13] offset:384
	v_mul_f32_e32 v12, s23, v42
	v_mul_f32_e32 v13, s22, v42
	v_fma_f32 v12, v41, s22, -v12
	s_wait_loadcnt_dscnt 0x0
	s_delay_alu instid0(VALU_DEP_2) | instskip(SKIP_1) | instid1(VALU_DEP_2)
	v_dual_fmac_f32 v13, s23, v41 :: v_dual_mul_f32 v42, s35, v11
	v_mul_f32_e32 v11, s34, v11
	v_fma_f32 v41, v10, s34, -v42
	v_add_co_u32 v42, vcc_lo, v50, s16
	s_delay_alu instid0(VALU_DEP_3)
	v_fmac_f32_e32 v11, s35, v10
	s_wait_alu 0xfffd
	v_add_co_ci_u32_e64 v43, null, s17, v51, vcc_lo
	v_add_f32_e32 v10, v12, v41
	v_add_co_u32 v12, vcc_lo, v42, v6
	v_add_f32_e32 v11, v13, v11
	s_wait_alu 0xfffd
	v_add_co_ci_u32_e64 v13, null, v43, v7, vcc_lo
	v_add_co_u32 v14, vcc_lo, v14, s24
	flat_store_b64 v[8:9], v[10:11] offset:384
	flat_load_b64 v[8:9], v[12:13]
	v_mul_f32_e32 v10, s23, v40
	v_mul_f32_e32 v11, s22, v40
	s_wait_alu 0xfffd
	v_add_co_ci_u32_e64 v15, null, s25, v15, vcc_lo
	s_delay_alu instid0(VALU_DEP_3) | instskip(NEXT) | instid1(VALU_DEP_3)
	v_fma_f32 v10, v39, s22, -v10
	v_fmac_f32_e32 v11, s23, v39
	s_wait_loadcnt_dscnt 0x0
	v_mul_f32_e32 v39, s35, v9
	v_mul_f32_e32 v40, s34, v9
	s_delay_alu instid0(VALU_DEP_2) | instskip(NEXT) | instid1(VALU_DEP_2)
	v_fma_f32 v39, v8, s34, -v39
	v_fmac_f32_e32 v40, s35, v8
	v_add_co_u32 v8, vcc_lo, v14, v6
	s_wait_alu 0xfffd
	v_add_co_ci_u32_e64 v9, null, v15, v7, vcc_lo
	s_delay_alu instid0(VALU_DEP_3)
	v_dual_add_f32 v10, v10, v39 :: v_dual_add_f32 v11, v11, v40
	v_mul_f32_e32 v39, s23, v38
	v_mul_f32_e32 v38, s22, v38
	flat_store_b64 v[8:9], v[10:11]
	flat_load_b64 v[10:11], v[12:13] offset:128
	v_fma_f32 v39, v37, s22, -v39
	v_fmac_f32_e32 v38, s23, v37
	s_wait_loadcnt_dscnt 0x0
	v_mul_f32_e32 v40, s35, v11
	v_mul_f32_e32 v11, s34, v11
	s_delay_alu instid0(VALU_DEP_2) | instskip(NEXT) | instid1(VALU_DEP_1)
	v_fma_f32 v37, v10, s34, -v40
	v_dual_fmac_f32 v11, s35, v10 :: v_dual_add_f32 v10, v39, v37
	s_delay_alu instid0(VALU_DEP_1)
	v_add_f32_e32 v11, v38, v11
	v_mul_f32_e32 v37, s23, v36
	v_mul_f32_e32 v36, s22, v36
	flat_store_b64 v[8:9], v[10:11] offset:128
	flat_load_b64 v[10:11], v[12:13] offset:256
	v_fma_f32 v37, v35, s22, -v37
	v_fmac_f32_e32 v36, s23, v35
	s_wait_loadcnt_dscnt 0x0
	v_mul_f32_e32 v38, s35, v11
	v_mul_f32_e32 v11, s34, v11
	s_delay_alu instid0(VALU_DEP_2) | instskip(NEXT) | instid1(VALU_DEP_1)
	v_fma_f32 v35, v10, s34, -v38
	v_dual_fmac_f32 v11, s35, v10 :: v_dual_add_f32 v10, v37, v35
	s_delay_alu instid0(VALU_DEP_1) | instskip(SKIP_4) | instid1(VALU_DEP_2)
	v_add_f32_e32 v11, v36, v11
	flat_store_b64 v[8:9], v[10:11] offset:256
	flat_load_b64 v[10:11], v[12:13] offset:384
	v_mul_f32_e32 v12, s23, v34
	v_mul_f32_e32 v13, s22, v34
	v_fma_f32 v12, v33, s22, -v12
	s_wait_loadcnt_dscnt 0x0
	s_delay_alu instid0(VALU_DEP_2) | instskip(SKIP_1) | instid1(VALU_DEP_2)
	v_dual_fmac_f32 v13, s23, v33 :: v_dual_mul_f32 v34, s35, v11
	v_mul_f32_e32 v11, s34, v11
	v_fma_f32 v33, v10, s34, -v34
	v_add_co_u32 v34, vcc_lo, v42, s16
	s_delay_alu instid0(VALU_DEP_3)
	v_fmac_f32_e32 v11, s35, v10
	s_wait_alu 0xfffd
	v_add_co_ci_u32_e64 v35, null, s17, v43, vcc_lo
	v_add_f32_e32 v10, v12, v33
	v_add_co_u32 v12, vcc_lo, v34, v6
	v_add_f32_e32 v11, v13, v11
	s_wait_alu 0xfffd
	v_add_co_ci_u32_e64 v13, null, v35, v7, vcc_lo
	v_add_co_u32 v14, vcc_lo, v14, s24
	flat_store_b64 v[8:9], v[10:11] offset:384
	flat_load_b64 v[8:9], v[12:13]
	v_mul_f32_e32 v10, s23, v32
	v_mul_f32_e32 v11, s22, v32
	s_wait_alu 0xfffd
	v_add_co_ci_u32_e64 v15, null, s25, v15, vcc_lo
	v_add_co_u32 v6, vcc_lo, v14, v6
	v_fma_f32 v10, v31, s22, -v10
	v_fmac_f32_e32 v11, s23, v31
	s_wait_alu 0xfffd
	v_add_co_ci_u32_e64 v7, null, v15, v7, vcc_lo
	s_wait_loadcnt_dscnt 0x0
	v_mul_f32_e32 v31, s35, v9
	v_mul_f32_e32 v9, s34, v9
	s_delay_alu instid0(VALU_DEP_2) | instskip(NEXT) | instid1(VALU_DEP_1)
	v_fma_f32 v31, v8, s34, -v31
	v_dual_fmac_f32 v9, s35, v8 :: v_dual_add_f32 v8, v10, v31
	s_delay_alu instid0(VALU_DEP_1)
	v_dual_add_f32 v9, v11, v9 :: v_dual_mul_f32 v10, s23, v30
	v_mul_f32_e32 v11, s22, v30
	flat_store_b64 v[6:7], v[8:9]
	flat_load_b64 v[8:9], v[12:13] offset:128
	v_fma_f32 v10, v29, s22, -v10
	v_fmac_f32_e32 v11, s23, v29
	s_wait_loadcnt_dscnt 0x0
	v_mul_f32_e32 v14, s35, v9
	v_mul_f32_e32 v9, s34, v9
	s_delay_alu instid0(VALU_DEP_2) | instskip(NEXT) | instid1(VALU_DEP_1)
	v_fma_f32 v14, v8, s34, -v14
	v_dual_fmac_f32 v9, s35, v8 :: v_dual_add_f32 v8, v10, v14
	s_delay_alu instid0(VALU_DEP_1)
	v_dual_add_f32 v9, v11, v9 :: v_dual_mul_f32 v10, s23, v28
	v_mul_f32_e32 v11, s22, v28
	flat_store_b64 v[6:7], v[8:9] offset:128
	flat_load_b64 v[8:9], v[12:13] offset:256
	v_fma_f32 v10, v27, s22, -v10
	s_wait_loadcnt_dscnt 0x0
	v_dual_fmac_f32 v11, s23, v27 :: v_dual_mul_f32 v14, s35, v9
	v_mul_f32_e32 v9, s34, v9
	s_delay_alu instid0(VALU_DEP_2) | instskip(NEXT) | instid1(VALU_DEP_1)
	v_fma_f32 v14, v8, s34, -v14
	v_dual_fmac_f32 v9, s35, v8 :: v_dual_add_f32 v8, v10, v14
	s_delay_alu instid0(VALU_DEP_1)
	v_dual_add_f32 v9, v11, v9 :: v_dual_mul_f32 v10, s23, v26
	v_mul_f32_e32 v11, s22, v26
	flat_store_b64 v[6:7], v[8:9] offset:256
	flat_load_b64 v[8:9], v[12:13] offset:384
	v_fma_f32 v10, v25, s22, -v10
	v_fmac_f32_e32 v11, s23, v25
	s_wait_loadcnt_dscnt 0x0
	v_mul_f32_e32 v12, s35, v9
	v_mul_f32_e32 v9, s34, v9
	s_delay_alu instid0(VALU_DEP_2) | instskip(NEXT) | instid1(VALU_DEP_2)
	v_fma_f32 v12, v8, s34, -v12
	v_fmac_f32_e32 v9, s35, v8
	v_add_co_u32 v8, vcc_lo, 0x180, v6
	s_delay_alu instid0(VALU_DEP_3) | instskip(NEXT) | instid1(VALU_DEP_3)
	v_add_f32_e32 v10, v10, v12
	v_add_f32_e32 v12, v11, v9
	s_wait_alu 0xfffd
	v_add_co_ci_u32_e64 v9, null, 0, v7, vcc_lo
	flat_store_b32 v[6:7], v10 offset:384
	s_branch .LBB240_2
.LBB240_10:
	s_nop 0
	s_sendmsg sendmsg(MSG_DEALLOC_VGPRS)
	s_endpgm
	.section	.rodata,"a",@progbits
	.p2align	6, 0x0
	.amdhsa_kernel _ZN12_GLOBAL__N_127rocblas_gemm_batched_kernelI19rocblas_complex_numIfELi16ELi16ELi64ELi64ELi4ELi64ELi4ELi4ELi64ELc67ELc84EKPKS2_S5_KPS2_EEvlllT_PT11_llSA_llS8_PT12_llPT13_lli
		.amdhsa_group_segment_fixed_size 4096
		.amdhsa_private_segment_fixed_size 0
		.amdhsa_kernarg_size 140
		.amdhsa_user_sgpr_count 2
		.amdhsa_user_sgpr_dispatch_ptr 0
		.amdhsa_user_sgpr_queue_ptr 0
		.amdhsa_user_sgpr_kernarg_segment_ptr 1
		.amdhsa_user_sgpr_dispatch_id 0
		.amdhsa_user_sgpr_private_segment_size 0
		.amdhsa_wavefront_size32 1
		.amdhsa_uses_dynamic_stack 0
		.amdhsa_enable_private_segment 0
		.amdhsa_system_sgpr_workgroup_id_x 1
		.amdhsa_system_sgpr_workgroup_id_y 1
		.amdhsa_system_sgpr_workgroup_id_z 1
		.amdhsa_system_sgpr_workgroup_info 0
		.amdhsa_system_vgpr_workitem_id 1
		.amdhsa_next_free_vgpr 201
		.amdhsa_next_free_sgpr 40
		.amdhsa_reserve_vcc 1
		.amdhsa_float_round_mode_32 0
		.amdhsa_float_round_mode_16_64 0
		.amdhsa_float_denorm_mode_32 3
		.amdhsa_float_denorm_mode_16_64 3
		.amdhsa_fp16_overflow 0
		.amdhsa_workgroup_processor_mode 1
		.amdhsa_memory_ordered 1
		.amdhsa_forward_progress 1
		.amdhsa_inst_pref_size 44
		.amdhsa_round_robin_scheduling 0
		.amdhsa_exception_fp_ieee_invalid_op 0
		.amdhsa_exception_fp_denorm_src 0
		.amdhsa_exception_fp_ieee_div_zero 0
		.amdhsa_exception_fp_ieee_overflow 0
		.amdhsa_exception_fp_ieee_underflow 0
		.amdhsa_exception_fp_ieee_inexact 0
		.amdhsa_exception_int_div_zero 0
	.end_amdhsa_kernel
	.section	.text._ZN12_GLOBAL__N_127rocblas_gemm_batched_kernelI19rocblas_complex_numIfELi16ELi16ELi64ELi64ELi4ELi64ELi4ELi4ELi64ELc67ELc84EKPKS2_S5_KPS2_EEvlllT_PT11_llSA_llS8_PT12_llPT13_lli,"axG",@progbits,_ZN12_GLOBAL__N_127rocblas_gemm_batched_kernelI19rocblas_complex_numIfELi16ELi16ELi64ELi64ELi4ELi64ELi4ELi4ELi64ELc67ELc84EKPKS2_S5_KPS2_EEvlllT_PT11_llSA_llS8_PT12_llPT13_lli,comdat
.Lfunc_end240:
	.size	_ZN12_GLOBAL__N_127rocblas_gemm_batched_kernelI19rocblas_complex_numIfELi16ELi16ELi64ELi64ELi4ELi64ELi4ELi4ELi64ELc67ELc84EKPKS2_S5_KPS2_EEvlllT_PT11_llSA_llS8_PT12_llPT13_lli, .Lfunc_end240-_ZN12_GLOBAL__N_127rocblas_gemm_batched_kernelI19rocblas_complex_numIfELi16ELi16ELi64ELi64ELi4ELi64ELi4ELi4ELi64ELc67ELc84EKPKS2_S5_KPS2_EEvlllT_PT11_llSA_llS8_PT12_llPT13_lli
                                        ; -- End function
	.set _ZN12_GLOBAL__N_127rocblas_gemm_batched_kernelI19rocblas_complex_numIfELi16ELi16ELi64ELi64ELi4ELi64ELi4ELi4ELi64ELc67ELc84EKPKS2_S5_KPS2_EEvlllT_PT11_llSA_llS8_PT12_llPT13_lli.num_vgpr, 201
	.set _ZN12_GLOBAL__N_127rocblas_gemm_batched_kernelI19rocblas_complex_numIfELi16ELi16ELi64ELi64ELi4ELi64ELi4ELi4ELi64ELc67ELc84EKPKS2_S5_KPS2_EEvlllT_PT11_llSA_llS8_PT12_llPT13_lli.num_agpr, 0
	.set _ZN12_GLOBAL__N_127rocblas_gemm_batched_kernelI19rocblas_complex_numIfELi16ELi16ELi64ELi64ELi4ELi64ELi4ELi4ELi64ELc67ELc84EKPKS2_S5_KPS2_EEvlllT_PT11_llSA_llS8_PT12_llPT13_lli.numbered_sgpr, 40
	.set _ZN12_GLOBAL__N_127rocblas_gemm_batched_kernelI19rocblas_complex_numIfELi16ELi16ELi64ELi64ELi4ELi64ELi4ELi4ELi64ELc67ELc84EKPKS2_S5_KPS2_EEvlllT_PT11_llSA_llS8_PT12_llPT13_lli.num_named_barrier, 0
	.set _ZN12_GLOBAL__N_127rocblas_gemm_batched_kernelI19rocblas_complex_numIfELi16ELi16ELi64ELi64ELi4ELi64ELi4ELi4ELi64ELc67ELc84EKPKS2_S5_KPS2_EEvlllT_PT11_llSA_llS8_PT12_llPT13_lli.private_seg_size, 0
	.set _ZN12_GLOBAL__N_127rocblas_gemm_batched_kernelI19rocblas_complex_numIfELi16ELi16ELi64ELi64ELi4ELi64ELi4ELi4ELi64ELc67ELc84EKPKS2_S5_KPS2_EEvlllT_PT11_llSA_llS8_PT12_llPT13_lli.uses_vcc, 1
	.set _ZN12_GLOBAL__N_127rocblas_gemm_batched_kernelI19rocblas_complex_numIfELi16ELi16ELi64ELi64ELi4ELi64ELi4ELi4ELi64ELc67ELc84EKPKS2_S5_KPS2_EEvlllT_PT11_llSA_llS8_PT12_llPT13_lli.uses_flat_scratch, 1
	.set _ZN12_GLOBAL__N_127rocblas_gemm_batched_kernelI19rocblas_complex_numIfELi16ELi16ELi64ELi64ELi4ELi64ELi4ELi4ELi64ELc67ELc84EKPKS2_S5_KPS2_EEvlllT_PT11_llSA_llS8_PT12_llPT13_lli.has_dyn_sized_stack, 0
	.set _ZN12_GLOBAL__N_127rocblas_gemm_batched_kernelI19rocblas_complex_numIfELi16ELi16ELi64ELi64ELi4ELi64ELi4ELi4ELi64ELc67ELc84EKPKS2_S5_KPS2_EEvlllT_PT11_llSA_llS8_PT12_llPT13_lli.has_recursion, 0
	.set _ZN12_GLOBAL__N_127rocblas_gemm_batched_kernelI19rocblas_complex_numIfELi16ELi16ELi64ELi64ELi4ELi64ELi4ELi4ELi64ELc67ELc84EKPKS2_S5_KPS2_EEvlllT_PT11_llSA_llS8_PT12_llPT13_lli.has_indirect_call, 0
	.section	.AMDGPU.csdata,"",@progbits
; Kernel info:
; codeLenInByte = 5600
; TotalNumSgprs: 42
; NumVgprs: 201
; ScratchSize: 0
; MemoryBound: 0
; FloatMode: 240
; IeeeMode: 1
; LDSByteSize: 4096 bytes/workgroup (compile time only)
; SGPRBlocks: 0
; VGPRBlocks: 25
; NumSGPRsForWavesPerEU: 42
; NumVGPRsForWavesPerEU: 201
; Occupancy: 7
; WaveLimiterHint : 1
; COMPUTE_PGM_RSRC2:SCRATCH_EN: 0
; COMPUTE_PGM_RSRC2:USER_SGPR: 2
; COMPUTE_PGM_RSRC2:TRAP_HANDLER: 0
; COMPUTE_PGM_RSRC2:TGID_X_EN: 1
; COMPUTE_PGM_RSRC2:TGID_Y_EN: 1
; COMPUTE_PGM_RSRC2:TGID_Z_EN: 1
; COMPUTE_PGM_RSRC2:TIDIG_COMP_CNT: 1
	.section	.text._ZN12_GLOBAL__N_127rocblas_gemm_batched_kernelI19rocblas_complex_numIfELi16ELi16ELi64ELi64ELi4ELi64ELi4ELi4ELi64ELc78ELc67EKPKS2_S5_KPS2_EEvlllT_PT11_llSA_llS8_PT12_llPT13_lli,"axG",@progbits,_ZN12_GLOBAL__N_127rocblas_gemm_batched_kernelI19rocblas_complex_numIfELi16ELi16ELi64ELi64ELi4ELi64ELi4ELi4ELi64ELc78ELc67EKPKS2_S5_KPS2_EEvlllT_PT11_llSA_llS8_PT12_llPT13_lli,comdat
	.globl	_ZN12_GLOBAL__N_127rocblas_gemm_batched_kernelI19rocblas_complex_numIfELi16ELi16ELi64ELi64ELi4ELi64ELi4ELi4ELi64ELc78ELc67EKPKS2_S5_KPS2_EEvlllT_PT11_llSA_llS8_PT12_llPT13_lli ; -- Begin function _ZN12_GLOBAL__N_127rocblas_gemm_batched_kernelI19rocblas_complex_numIfELi16ELi16ELi64ELi64ELi4ELi64ELi4ELi4ELi64ELc78ELc67EKPKS2_S5_KPS2_EEvlllT_PT11_llSA_llS8_PT12_llPT13_lli
	.p2align	8
	.type	_ZN12_GLOBAL__N_127rocblas_gemm_batched_kernelI19rocblas_complex_numIfELi16ELi16ELi64ELi64ELi4ELi64ELi4ELi4ELi64ELc78ELc67EKPKS2_S5_KPS2_EEvlllT_PT11_llSA_llS8_PT12_llPT13_lli,@function
_ZN12_GLOBAL__N_127rocblas_gemm_batched_kernelI19rocblas_complex_numIfELi16ELi16ELi64ELi64ELi4ELi64ELi4ELi4ELi64ELc78ELc67EKPKS2_S5_KPS2_EEvlllT_PT11_llSA_llS8_PT12_llPT13_lli: ; @_ZN12_GLOBAL__N_127rocblas_gemm_batched_kernelI19rocblas_complex_numIfELi16ELi16ELi64ELi64ELi4ELi64ELi4ELi4ELi64ELc78ELc67EKPKS2_S5_KPS2_EEvlllT_PT11_llSA_llS8_PT12_llPT13_lli
; %bb.0:
	s_load_b32 s33, s[0:1], 0x88
	s_lshr_b32 s2, ttmp7, 16
	s_wait_kmcnt 0x0
	s_cmp_ge_i32 s2, s33
	s_cbranch_scc1 .LBB241_10
; %bb.1:
	s_clause 0x4
	s_load_b128 s[20:23], s[0:1], 0x10
	s_load_b256 s[4:11], s[0:1], 0x20
	s_load_b64 s[34:35], s[0:1], 0x50
	s_load_b128 s[28:31], s[0:1], 0x78
	s_load_b256 s[12:19], s[0:1], 0x58
	v_and_b32_e32 v12, 0x3ff, v0
	v_bfe_u32 v10, v0, 10, 10
	s_load_b128 s[24:27], s[0:1], 0x40
	s_lshl_b32 s3, ttmp7, 6
	s_mov_b32 s36, ttmp9
	s_and_b32 s38, s3, 0x3fffc0
	v_lshl_add_u32 v2, v10, 4, v12
	v_add_nc_u32_e32 v14, s38, v10
	s_ashr_i32 s37, ttmp9, 31
	v_mov_b32_e32 v16, 0
	s_lshl_b64 s[0:1], s[36:37], 6
	v_lshrrev_b32_e32 v3, 2, v2
	v_lshrrev_b32_e32 v11, 6, v2
	v_and_b32_e32 v13, 63, v2
	v_lshl_add_u32 v20, v10, 5, 0x800
	s_wait_kmcnt 0x0
	s_or_b32 s36, s34, s35
	v_mad_co_u64_u32 v[8:9], null, v14, s14, 0
	v_and_b32_e32 v6, 3, v0
	v_add_co_u32 v0, s3, v3, s38
	s_delay_alu instid0(VALU_DEP_1)
	v_add_co_ci_u32_e64 v1, null, 0, 0, s3
	s_bitset0_b32 s36, 31
	s_mov_b32 s3, 0
	s_cmp_eq_u32 s36, 0
	v_mad_co_u64_u32 v[4:5], null, s24, v6, v[0:1]
	v_lshlrev_b32_e32 v1, 3, v6
	s_cselect_b32 s36, -1, 0
	s_lshl_b64 s[38:39], s[14:15], 4
	s_lshl_b64 s[16:17], s[16:17], 3
	s_delay_alu instid0(VALU_DEP_2) | instskip(SKIP_1) | instid1(VALU_DEP_1)
	v_mov_b32_e32 v0, v5
	v_lshl_or_b32 v1, v3, 5, v1
	v_mad_co_u64_u32 v[2:3], null, s25, v6, v[0:1]
	v_mad_co_u64_u32 v[6:7], null, s6, v11, s[0:1]
	v_lshlrev_b32_e32 v5, 3, v13
	v_dual_mov_b32 v3, v9 :: v_dual_add_nc_u32 v18, 0x800, v1
	s_delay_alu instid0(VALU_DEP_2) | instskip(NEXT) | instid1(VALU_DEP_4)
	v_lshl_or_b32 v17, v11, 9, v5
	v_dual_mov_b32 v5, v2 :: v_dual_mov_b32 v2, v7
	v_add_co_u32 v6, vcc_lo, v6, v13
	v_lshlrev_b32_e32 v19, 3, v12
	s_delay_alu instid0(VALU_DEP_3) | instskip(SKIP_4) | instid1(VALU_DEP_3)
	v_mad_co_u64_u32 v[9:10], null, s7, v11, v[2:3]
	v_mad_co_u64_u32 v[10:11], null, v14, s15, v[3:4]
	v_lshlrev_b64_e32 v[4:5], 3, v[4:5]
	s_lshl_b64 s[6:7], s[6:7], 5
	s_lshl_b64 s[14:15], s[30:31], 3
	v_add_co_ci_u32_e64 v7, null, 0, v9, vcc_lo
	s_delay_alu instid0(VALU_DEP_3) | instskip(SKIP_1) | instid1(VALU_DEP_3)
	v_mov_b32_e32 v9, v10
	v_mad_co_u64_u32 v[0:1], null, v14, s28, 0
	v_lshlrev_b64_e32 v[6:7], 3, v[6:7]
	s_delay_alu instid0(VALU_DEP_2)
	v_mad_co_u64_u32 v[1:2], null, v14, s29, v[1:2]
	v_add_co_u32 v2, s0, s0, v12
	s_wait_alu 0xf1ff
	v_add_co_ci_u32_e64 v3, null, s1, 0, s0
	s_lshl_b64 s[0:1], s[8:9], 3
	s_lshl_b64 s[28:29], s[28:29], 4
	s_wait_alu 0xfffe
	v_add_co_u32 v21, vcc_lo, s0, v6
	s_wait_alu 0xfffd
	v_add_co_ci_u32_e64 v22, null, s1, v7, vcc_lo
	s_lshl_b64 s[0:1], s[26:27], 3
	s_lshl_b64 s[8:9], s[24:25], 5
	s_wait_alu 0xfffe
	v_add_co_u32 v4, vcc_lo, s0, v4
	v_cmp_gt_i64_e64 s0, s[20:21], 0
	s_wait_alu 0xfffd
	v_add_co_ci_u32_e64 v23, null, s1, v5, vcc_lo
	s_delay_alu instid0(VALU_DEP_3) | instskip(SKIP_4) | instid1(VALU_DEP_1)
	v_or_b32_e32 v24, 4, v4
	v_lshlrev_b64_e32 v[4:5], 3, v[8:9]
	s_lshl_b64 s[24:25], s[38:39], 3
	v_cndmask_b32_e64 v6, 0, 1, s0
	s_lshl_b64 s[26:27], s[28:29], 3
	v_cmp_ne_u32_e64 s0, 1, v6
	s_branch .LBB241_3
.LBB241_2:                              ;   in Loop: Header=BB241_3 Depth=1
	s_add_co_i32 s2, s2, 0x10000
	flat_store_b32 v[8:9], v12 offset:4
	s_wait_alu 0xfffe
	s_cmp_lt_i32 s2, s33
	s_cbranch_scc0 .LBB241_10
.LBB241_3:                              ; =>This Loop Header: Depth=1
                                        ;     Child Loop BB241_5 Depth 2
	s_lshl_b64 s[28:29], s[2:3], 3
	v_dual_mov_b32 v56, 0 :: v_dual_mov_b32 v55, 0
	s_wait_alu 0xfffe
	s_add_nc_u64 s[30:31], s[12:13], s[28:29]
	s_add_nc_u64 s[38:39], s[18:19], s[28:29]
	s_clause 0x1
	global_load_b64 v[6:7], v16, s[30:31]
	global_load_b64 v[8:9], v16, s[38:39]
	v_dual_mov_b32 v53, 0 :: v_dual_mov_b32 v54, 0
	v_dual_mov_b32 v51, 0 :: v_dual_mov_b32 v52, 0
	;; [unrolled: 1-line block ×15, first 2 shown]
	s_and_b32 vcc_lo, exec_lo, s0
	s_wait_alu 0xfffe
	s_cbranch_vccnz .LBB241_6
; %bb.4:                                ;   in Loop: Header=BB241_3 Depth=1
	s_add_nc_u64 s[30:31], s[4:5], s[28:29]
	s_add_nc_u64 s[28:29], s[10:11], s[28:29]
	s_clause 0x1
	global_load_b64 v[10:11], v16, s[30:31]
	global_load_b64 v[12:13], v16, s[28:29]
	v_dual_mov_b32 v26, 0 :: v_dual_mov_b32 v25, 0
	v_dual_mov_b32 v28, 0 :: v_dual_mov_b32 v27, 0
	;; [unrolled: 1-line block ×16, first 2 shown]
	s_mov_b64 s[28:29], 0
	s_wait_loadcnt 0x1
	v_add_co_u32 v10, vcc_lo, v10, v21
	s_wait_alu 0xfffd
	v_add_co_ci_u32_e64 v11, null, v11, v22, vcc_lo
	s_wait_loadcnt 0x0
	v_add_co_u32 v12, vcc_lo, v12, v24
	s_wait_alu 0xfffd
	v_add_co_ci_u32_e64 v13, null, v13, v23, vcc_lo
.LBB241_5:                              ;   Parent Loop BB241_3 Depth=1
                                        ; =>  This Inner Loop Header: Depth=2
	flat_load_b64 v[14:15], v[10:11]
	s_wait_alu 0xfffe
	s_add_nc_u64 s[28:29], s[28:29], 4
	v_add_co_u32 v10, vcc_lo, v10, s6
	s_wait_alu 0xfffe
	v_cmp_lt_i64_e64 s1, s[28:29], s[20:21]
	s_wait_alu 0xfffd
	v_add_co_ci_u32_e64 v11, null, s7, v11, vcc_lo
	s_and_b32 vcc_lo, exec_lo, s1
	s_wait_loadcnt_dscnt 0x0
	ds_store_b64 v17, v[14:15]
	flat_load_b64 v[14:15], v[12:13] offset:-4
	v_add_co_u32 v12, s1, v12, s8
	s_wait_alu 0xf1ff
	v_add_co_ci_u32_e64 v13, null, s9, v13, s1
	s_wait_loadcnt_dscnt 0x0
	v_xor_b32_e32 v15, 0x80000000, v15
	ds_store_b64 v18, v[14:15]
	s_wait_dscnt 0x0
	s_barrier_signal -1
	s_barrier_wait -1
	global_inv scope:SCOPE_SE
	ds_load_2addr_b64 v[57:60], v19 offset1:16
	ds_load_b128 v[61:64], v20
	ds_load_b128 v[65:68], v20 offset:16
	ds_load_b128 v[69:72], v20 offset:512
	;; [unrolled: 1-line block ×7, first 2 shown]
	ds_load_2addr_b64 v[93:96], v19 offset0:32 offset1:48
	ds_load_2addr_b64 v[97:100], v19 offset0:64 offset1:80
	;; [unrolled: 1-line block ×7, first 2 shown]
	s_wait_loadcnt_dscnt 0x0
	s_barrier_signal -1
	s_barrier_wait -1
	global_inv scope:SCOPE_SE
	v_mul_f32_e32 v15, v61, v58
	v_dual_mul_f32 v122, v61, v60 :: v_dual_mul_f32 v123, v70, v58
	v_mul_f32_e32 v14, v62, v58
	v_dual_mul_f32 v121, v62, v60 :: v_dual_mul_f32 v124, v69, v58
	v_dual_mul_f32 v125, v70, v60 :: v_dual_mul_f32 v128, v77, v58
	;; [unrolled: 1-line block ×5, first 2 shown]
	v_mul_f32_e32 v129, v78, v60
	v_dual_mul_f32 v130, v77, v60 :: v_dual_mul_f32 v131, v86, v58
	v_mul_f32_e32 v58, v85, v58
	v_mul_f32_e32 v132, v86, v60
	v_dual_mul_f32 v60, v85, v60 :: v_dual_mul_f32 v133, v62, v94
	v_dual_mul_f32 v138, v69, v94 :: v_dual_mul_f32 v139, v70, v96
	;; [unrolled: 1-line block ×9, first 2 shown]
	v_mul_f32_e32 v149, v64, v100
	v_dual_mul_f32 v150, v63, v100 :: v_dual_mul_f32 v155, v72, v98
	v_dual_mul_f32 v152, v63, v102 :: v_dual_mul_f32 v161, v72, v104
	;; [unrolled: 1-line block ×11, first 2 shown]
	v_dual_mul_f32 v176, v65, v106 :: v_dual_fmac_f32 v15, v62, v57
	v_fmac_f32_e32 v122, v62, v59
	v_fma_f32 v123, v69, v57, -v123
	v_dual_fmac_f32 v134, v62, v93 :: v_dual_mul_f32 v197, v84, v116
	v_fmac_f32_e32 v136, v62, v95
	v_fma_f32 v62, v69, v93, -v137
	v_dual_mul_f32 v166, v79, v100 :: v_dual_mul_f32 v171, v88, v98
	v_dual_mul_f32 v98, v87, v98 :: v_dual_mul_f32 v185, v82, v108
	;; [unrolled: 1-line block ×8, first 2 shown]
	v_mul_f32_e32 v182, v73, v108
	v_mul_f32_e32 v186, v81, v108
	;; [unrolled: 1-line block ×6, first 2 shown]
	v_fma_f32 v14, v61, v57, -v14
	v_fma_f32 v121, v61, v59, -v121
	v_fmac_f32_e32 v124, v70, v57
	v_fma_f32 v125, v69, v59, -v125
	v_fmac_f32_e32 v126, v70, v59
	;; [unrolled: 2-line block ×6, first 2 shown]
	v_mul_f32_e32 v59, v74, v110
	v_mul_f32_e32 v132, v73, v110
	v_fma_f32 v133, v61, v93, -v133
	v_fma_f32 v61, v61, v95, -v135
	v_dual_fmac_f32 v138, v70, v93 :: v_dual_mul_f32 v199, v84, v120
	v_fma_f32 v69, v69, v95, -v139
	v_fmac_f32_e32 v140, v70, v95
	v_fma_f32 v70, v77, v93, -v141
	v_fma_f32 v77, v77, v95, -v143
	v_mul_f32_e32 v135, v81, v112
	v_fma_f32 v137, v63, v97, -v147
	v_fmac_f32_e32 v148, v64, v97
	v_fma_f32 v139, v63, v99, -v149
	v_fma_f32 v141, v63, v101, -v151
	v_fmac_f32_e32 v152, v64, v101
	v_fma_f32 v63, v63, v103, -v153
	v_dual_fmac_f32 v154, v64, v103 :: v_dual_add_f32 v53, v53, v121
	v_dual_fmac_f32 v156, v72, v97 :: v_dual_add_f32 v15, v55, v15
	v_fma_f32 v147, v71, v101, -v159
	v_dual_fmac_f32 v160, v72, v101 :: v_dual_add_f32 v47, v47, v123
	v_dual_mul_f32 v149, v67, v114 :: v_dual_fmac_f32 v144, v78, v95
	v_dual_mul_f32 v153, v67, v116 :: v_dual_fmac_f32 v142, v78, v93
	v_fma_f32 v78, v85, v93, -v145
	v_fma_f32 v85, v85, v95, -v146
	;; [unrolled: 1-line block ×6, first 2 shown]
	v_dual_fmac_f32 v164, v80, v97 :: v_dual_add_f32 v43, v43, v62
	v_fma_f32 v157, v79, v99, -v165
	v_fma_f32 v159, v79, v101, -v167
	v_dual_fmac_f32 v168, v80, v101 :: v_dual_add_f32 v39, v39, v127
	v_fma_f32 v79, v79, v103, -v169
	v_dual_mul_f32 v161, v67, v118 :: v_dual_fmac_f32 v96, v86, v95
	v_dual_mul_f32 v165, v67, v120 :: v_dual_fmac_f32 v94, v86, v93
	v_mul_f32_e32 v86, v82, v110
	v_dual_mul_f32 v93, v81, v110 :: v_dual_fmac_f32 v150, v64, v99
	v_mul_f32_e32 v169, v75, v114
	v_mul_f32_e32 v64, v90, v110
	v_fma_f32 v173, v87, v101, -v173
	v_dual_fmac_f32 v102, v88, v101 :: v_dual_add_f32 v31, v31, v131
	v_mul_f32_e32 v101, v75, v118
	v_mul_f32_e32 v110, v89, v110
	v_dual_mul_f32 v184, v81, v106 :: v_dual_mul_f32 v95, v82, v112
	v_dual_mul_f32 v106, v89, v106 :: v_dual_mul_f32 v143, v90, v112
	;; [unrolled: 1-line block ×3, first 2 shown]
	v_dual_fmac_f32 v158, v72, v99 :: v_dual_add_f32 v51, v51, v133
	v_dual_fmac_f32 v162, v72, v103 :: v_dual_add_f32 v49, v49, v61
	v_dual_mul_f32 v72, v68, v114 :: v_dual_add_f32 v45, v45, v125
	v_mul_f32_e32 v151, v68, v116
	v_dual_fmac_f32 v166, v80, v99 :: v_dual_add_f32 v41, v41, v69
	v_dual_fmac_f32 v170, v80, v103 :: v_dual_add_f32 v37, v37, v129
	v_dual_mul_f32 v80, v68, v118 :: v_dual_add_f32 v33, v33, v77
	v_fma_f32 v167, v87, v97, -v171
	v_dual_fmac_f32 v98, v88, v97 :: v_dual_add_f32 v35, v35, v70
	v_fma_f32 v97, v87, v99, -v172
	v_dual_fmac_f32 v100, v88, v99 :: v_dual_add_f32 v29, v29, v57
	v_dual_mul_f32 v99, v76, v114 :: v_dual_mul_f32 v172, v75, v116
	v_add_f32_e32 v25, v25, v85
	v_fma_f32 v87, v87, v103, -v174
	v_dual_fmac_f32 v104, v88, v103 :: v_dual_add_f32 v27, v27, v78
	v_dual_mul_f32 v103, v76, v120 :: v_dual_fmac_f32 v176, v66, v105
	v_add_f32_e32 v43, v43, v147
	v_dual_fmac_f32 v178, v66, v107 :: v_dual_add_f32 v51, v51, v141
	v_fma_f32 v179, v73, v105, -v179
	v_fma_f32 v181, v73, v107, -v181
	v_dual_fmac_f32 v182, v74, v107 :: v_dual_add_f32 v47, v47, v145
	v_fma_f32 v189, v65, v109, -v189
	v_dual_fmac_f32 v190, v66, v109 :: v_dual_add_f32 v31, v31, v167
	v_dual_fmac_f32 v192, v66, v111 :: v_dual_add_f32 v27, v27, v173
	v_fma_f32 v59, v73, v109, -v59
	v_fma_f32 v66, v73, v111, -v193
	;; [unrolled: 1-line block ×3, first 2 shown]
	v_fmac_f32_e32 v93, v82, v109
	v_dual_fmac_f32 v135, v82, v111 :: v_dual_mul_f32 v88, v76, v118
	v_dual_add_f32 v15, v15, v148 :: v_dual_fmac_f32 v132, v74, v109
	v_fmac_f32_e32 v169, v76, v113
	v_fma_f32 v64, v89, v109, -v64
	v_fmac_f32_e32 v101, v76, v117
	v_dual_fmac_f32 v110, v90, v109 :: v_dual_add_f32 v47, v47, v179
	v_dual_mul_f32 v109, v91, v118 :: v_dual_mul_f32 v112, v89, v112
	v_mul_f32_e32 v163, v68, v120
	v_mul_f32_e32 v171, v76, v116
	v_dual_mul_f32 v174, v75, v120 :: v_dual_add_f32 v53, v53, v139
	v_dual_mul_f32 v196, v83, v114 :: v_dual_add_f32 v49, v49, v63
	;; [unrolled: 1-line block ×3, first 2 shown]
	v_fma_f32 v175, v65, v105, -v175
	v_fma_f32 v177, v65, v107, -v177
	v_dual_fmac_f32 v180, v74, v105 :: v_dual_add_f32 v41, v41, v71
	v_fma_f32 v183, v81, v105, -v183
	v_dual_fmac_f32 v184, v82, v105 :: v_dual_add_f32 v39, v39, v155
	;; [unrolled: 2-line block ×5, first 2 shown]
	v_mul_f32_e32 v107, v84, v118
	v_dual_mul_f32 v188, v83, v118 :: v_dual_add_f32 v33, v33, v79
	v_dual_mul_f32 v200, v83, v120 :: v_dual_add_f32 v25, v25, v87
	v_fma_f32 v65, v65, v111, -v191
	v_dual_fmac_f32 v194, v74, v111 :: v_dual_add_f32 v53, v53, v177
	v_fma_f32 v74, v81, v111, -v95
	v_fma_f32 v81, v89, v111, -v143
	s_delay_alu instid0(VALU_DEP_4)
	v_dual_mul_f32 v82, v92, v114 :: v_dual_add_f32 v49, v49, v65
	v_mul_f32_e32 v89, v92, v116
	v_fmac_f32_e32 v149, v68, v113
	v_fmac_f32_e32 v153, v68, v115
	;; [unrolled: 1-line block ×4, first 2 shown]
	v_dual_mul_f32 v68, v92, v118 :: v_dual_add_f32 v43, v43, v59
	v_dual_fmac_f32 v109, v92, v117 :: v_dual_fmac_f32 v112, v90, v111
	v_add_f32_e32 v51, v51, v189
	v_dual_mul_f32 v90, v91, v116 :: v_dual_add_f32 v41, v41, v66
	v_dual_mul_f32 v111, v92, v120 :: v_dual_mul_f32 v86, v91, v114
	v_add_f32_e32 v45, v45, v181
	v_fma_f32 v72, v67, v113, -v72
	v_fma_f32 v95, v67, v115, -v151
	;; [unrolled: 1-line block ×4, first 2 shown]
	v_dual_mul_f32 v114, v91, v120 :: v_dual_add_f32 v37, v37, v185
	v_fma_f32 v99, v75, v113, -v99
	v_fma_f32 v116, v75, v115, -v171
	v_dual_fmac_f32 v172, v76, v115 :: v_dual_add_f32 v35, v35, v73
	v_fma_f32 v88, v75, v117, -v88
	v_fma_f32 v75, v75, v119, -v103
	v_dual_fmac_f32 v174, v76, v119 :: v_dual_add_f32 v33, v33, v74
	v_fma_f32 v76, v83, v113, -v195
	v_dual_fmac_f32 v196, v84, v113 :: v_dual_add_f32 v39, v39, v183
	;; [unrolled: 2-line block ×5, first 2 shown]
	v_fma_f32 v82, v91, v113, -v82
	v_fma_f32 v84, v91, v115, -v89
	v_dual_fmac_f32 v90, v92, v115 :: v_dual_add_f32 v25, v25, v81
	v_fma_f32 v68, v91, v117, -v68
	v_fma_f32 v89, v91, v119, -v111
	v_dual_add_f32 v14, v56, v14 :: v_dual_add_f32 v51, v51, v80
	v_dual_add_f32 v54, v54, v122 :: v_dual_add_f32 v49, v49, v67
	;; [unrolled: 1-line block ×14, first 2 shown]
	v_add_f32_e32 v28, v28, v94
	v_add_f32_e32 v26, v26, v96
	;; [unrolled: 1-line block ×18, first 2 shown]
	v_dual_fmac_f32 v86, v92, v113 :: v_dual_add_f32 v53, v53, v95
	v_dual_add_f32 v14, v14, v175 :: v_dual_add_f32 v15, v15, v176
	v_fmac_f32_e32 v114, v92, v119
	v_add_f32_e32 v54, v54, v178
	v_add_f32_e32 v52, v52, v190
	v_add_f32_e32 v50, v50, v192
	v_add_f32_e32 v48, v48, v180
	v_add_f32_e32 v46, v46, v182
	v_add_f32_e32 v44, v44, v132
	v_add_f32_e32 v42, v42, v194
	v_add_f32_e32 v40, v40, v184
	v_add_f32_e32 v38, v38, v186
	v_add_f32_e32 v36, v36, v93
	v_add_f32_e32 v34, v34, v135
	v_add_f32_e32 v32, v32, v106
	v_add_f32_e32 v30, v30, v108
	v_add_f32_e32 v28, v28, v110
	v_add_f32_e32 v26, v26, v112
	v_dual_add_f32 v56, v14, v72 :: v_dual_add_f32 v55, v15, v149
	v_add_f32_e32 v54, v54, v153
	v_add_f32_e32 v52, v52, v161
	;; [unrolled: 1-line block ×15, first 2 shown]
	s_wait_alu 0xfffe
	s_cbranch_vccnz .LBB241_5
.LBB241_6:                              ;   in Loop: Header=BB241_3 Depth=1
	s_wait_loadcnt 0x0
	v_add_co_u32 v10, vcc_lo, v8, s14
	s_wait_alu 0xfffd
	v_add_co_ci_u32_e64 v11, null, s15, v9, vcc_lo
	s_and_not1_b32 vcc_lo, exec_lo, s36
	s_mov_b32 s1, -1
                                        ; implicit-def: $vgpr12
                                        ; implicit-def: $vgpr8_vgpr9
	s_wait_alu 0xfffe
	s_cbranch_vccz .LBB241_8
; %bb.7:                                ;   in Loop: Header=BB241_3 Depth=1
	s_and_not1_b32 vcc_lo, exec_lo, s1
	s_wait_alu 0xfffe
	s_cbranch_vccnz .LBB241_2
	s_branch .LBB241_9
.LBB241_8:                              ;   in Loop: Header=BB241_3 Depth=1
	v_lshlrev_b64_e32 v[8:9], 3, v[0:1]
	v_lshlrev_b64_e32 v[14:15], 3, v[2:3]
	v_dual_mul_f32 v13, s22, v55 :: v_dual_mul_f32 v58, s22, v54
	v_dual_mul_f32 v12, s23, v55 :: v_dual_mul_f32 v57, s23, v54
	v_mul_f32_e32 v60, s22, v52
	v_add_co_u32 v63, vcc_lo, v10, v8
	s_wait_alu 0xfffd
	v_add_co_ci_u32_e64 v64, null, v11, v9, vcc_lo
	v_dual_mul_f32 v59, s23, v52 :: v_dual_mul_f32 v62, s22, v50
	s_delay_alu instid0(VALU_DEP_3)
	v_add_co_u32 v8, vcc_lo, v63, v14
	v_dual_mul_f32 v61, s23, v50 :: v_dual_fmac_f32 v58, s23, v53
	v_fmac_f32_e32 v13, s23, v56
	v_fma_f32 v12, v56, s22, -v12
	s_wait_alu 0xfffd
	v_add_co_ci_u32_e64 v9, null, v64, v15, vcc_lo
	v_add_co_u32 v63, vcc_lo, v63, s26
	v_fma_f32 v57, v53, s22, -v57
	v_fma_f32 v59, v51, s22, -v59
	v_fmac_f32_e32 v60, s23, v51
	s_wait_alu 0xfffd
	v_add_co_ci_u32_e64 v65, null, s27, v64, vcc_lo
	v_fma_f32 v61, v49, s22, -v61
	v_fmac_f32_e32 v62, s23, v49
	s_clause 0x3
	flat_store_b64 v[8:9], v[12:13]
	flat_store_b64 v[8:9], v[57:58] offset:128
	flat_store_b64 v[8:9], v[59:60] offset:256
	;; [unrolled: 1-line block ×3, first 2 shown]
	v_dual_mul_f32 v8, s23, v48 :: v_dual_mul_f32 v57, s23, v46
	v_mul_f32_e32 v9, s22, v48
	v_add_co_u32 v12, vcc_lo, v63, v14
	v_dual_mul_f32 v58, s22, v46 :: v_dual_mul_f32 v59, s23, v44
	v_dual_mul_f32 v60, s22, v44 :: v_dual_mul_f32 v61, s23, v42
	s_wait_alu 0xfffd
	v_add_co_ci_u32_e64 v13, null, v65, v15, vcc_lo
	v_add_co_u32 v73, vcc_lo, v63, s26
	v_dual_mul_f32 v62, s22, v42 :: v_dual_mul_f32 v69, s23, v36
	v_mul_f32_e32 v66, s23, v40
	v_mul_f32_e32 v64, s22, v40
	s_wait_alu 0xfffd
	v_add_co_ci_u32_e64 v74, null, s27, v65, vcc_lo
	v_fma_f32 v8, v47, s22, -v8
	v_dual_fmac_f32 v9, s23, v47 :: v_dual_fmac_f32 v58, s23, v45
	v_dual_mul_f32 v67, s23, v38 :: v_dual_fmac_f32 v60, s23, v43
	v_mul_f32_e32 v71, s23, v34
	v_mul_f32_e32 v68, s22, v38
	;; [unrolled: 1-line block ×4, first 2 shown]
	v_fma_f32 v57, v45, s22, -v57
	v_fma_f32 v59, v43, s22, -v59
	v_add_co_u32 v65, vcc_lo, v73, v14
	v_fma_f32 v61, v41, s22, -v61
	v_fmac_f32_e32 v62, s23, v41
	v_fma_f32 v63, v39, s22, -v66
	v_fmac_f32_e32 v64, s23, v39
	s_wait_alu 0xfffd
	v_add_co_ci_u32_e64 v66, null, v74, v15, vcc_lo
	v_fma_f32 v67, v37, s22, -v67
	v_fmac_f32_e32 v68, s23, v37
	v_fma_f32 v69, v35, s22, -v69
	v_fmac_f32_e32 v70, s23, v35
	;; [unrolled: 2-line block ×3, first 2 shown]
	s_clause 0x7
	flat_store_b64 v[12:13], v[8:9]
	flat_store_b64 v[12:13], v[57:58] offset:128
	flat_store_b64 v[12:13], v[59:60] offset:256
	flat_store_b64 v[12:13], v[61:62] offset:384
	flat_store_b64 v[65:66], v[63:64]
	flat_store_b64 v[65:66], v[67:68] offset:128
	flat_store_b64 v[65:66], v[69:70] offset:256
	;; [unrolled: 1-line block ×3, first 2 shown]
	v_mul_f32_e32 v8, s23, v32
	v_add_co_u32 v9, vcc_lo, v73, s26
	s_wait_alu 0xfffd
	v_add_co_ci_u32_e64 v12, null, s27, v74, vcc_lo
	s_delay_alu instid0(VALU_DEP_3)
	v_fma_f32 v57, v31, s22, -v8
	v_mul_f32_e32 v8, s23, v30
	v_add_co_u32 v13, vcc_lo, v9, v14
	v_mul_f32_e32 v58, s22, v32
	s_wait_alu 0xfffd
	v_add_co_ci_u32_e64 v14, null, v12, v15, vcc_lo
	v_fma_f32 v59, v29, s22, -v8
	v_dual_mul_f32 v8, s23, v28 :: v_dual_mul_f32 v9, s23, v26
	v_mul_f32_e32 v12, s22, v26
	v_mul_f32_e32 v60, s22, v30
	;; [unrolled: 1-line block ×3, first 2 shown]
	s_delay_alu instid0(VALU_DEP_4)
	v_fma_f32 v61, v27, s22, -v8
	v_add_co_u32 v8, vcc_lo, 0x180, v13
	v_fmac_f32_e32 v58, s23, v31
	v_fma_f32 v15, v25, s22, -v9
	v_fmac_f32_e32 v12, s23, v25
	s_wait_alu 0xfffd
	v_add_co_ci_u32_e64 v9, null, 0, v14, vcc_lo
	v_fmac_f32_e32 v60, s23, v29
	v_fmac_f32_e32 v62, s23, v27
	s_clause 0x3
	flat_store_b64 v[13:14], v[57:58]
	flat_store_b64 v[13:14], v[59:60] offset:128
	flat_store_b64 v[13:14], v[61:62] offset:256
	flat_store_b32 v[13:14], v15 offset:384
	s_cbranch_execnz .LBB241_2
.LBB241_9:                              ;   in Loop: Header=BB241_3 Depth=1
	v_add_co_u32 v8, vcc_lo, v6, s16
	s_wait_alu 0xfffd
	v_add_co_ci_u32_e64 v9, null, s17, v7, vcc_lo
	v_lshlrev_b64_e32 v[6:7], 3, v[2:3]
	s_delay_alu instid0(VALU_DEP_3) | instskip(SKIP_1) | instid1(VALU_DEP_3)
	v_add_co_u32 v57, vcc_lo, v8, v4
	s_wait_alu 0xfffd
	v_add_co_ci_u32_e64 v58, null, v9, v5, vcc_lo
	v_lshlrev_b64_e32 v[14:15], 3, v[0:1]
	s_delay_alu instid0(VALU_DEP_3) | instskip(SKIP_1) | instid1(VALU_DEP_3)
	v_add_co_u32 v8, vcc_lo, v57, v6
	s_wait_alu 0xfffd
	v_add_co_ci_u32_e64 v9, null, v58, v7, vcc_lo
	s_delay_alu instid0(VALU_DEP_3)
	v_add_co_u32 v14, vcc_lo, v10, v14
	flat_load_b64 v[12:13], v[8:9]
	v_mul_f32_e32 v59, s23, v55
	s_wait_alu 0xfffd
	v_add_co_ci_u32_e64 v15, null, v11, v15, vcc_lo
	v_add_co_u32 v10, vcc_lo, v14, v6
	s_delay_alu instid0(VALU_DEP_3) | instskip(SKIP_4) | instid1(VALU_DEP_2)
	v_fma_f32 v59, v56, s22, -v59
	v_mul_f32_e32 v55, s22, v55
	s_wait_alu 0xfffd
	v_add_co_ci_u32_e64 v11, null, v15, v7, vcc_lo
	s_wait_loadcnt_dscnt 0x0
	v_dual_fmac_f32 v55, s23, v56 :: v_dual_mul_f32 v56, s35, v13
	v_mul_f32_e32 v13, s34, v13
	s_delay_alu instid0(VALU_DEP_2) | instskip(NEXT) | instid1(VALU_DEP_2)
	v_fma_f32 v56, v12, s34, -v56
	v_fmac_f32_e32 v13, s35, v12
	s_delay_alu instid0(VALU_DEP_2) | instskip(NEXT) | instid1(VALU_DEP_2)
	v_add_f32_e32 v12, v59, v56
	v_add_f32_e32 v13, v55, v13
	flat_store_b64 v[10:11], v[12:13]
	flat_load_b64 v[12:13], v[8:9] offset:128
	v_mul_f32_e32 v55, s23, v54
	v_mul_f32_e32 v54, s22, v54
	s_delay_alu instid0(VALU_DEP_1) | instskip(SKIP_4) | instid1(VALU_DEP_3)
	v_fmac_f32_e32 v54, s23, v53
	s_wait_loadcnt_dscnt 0x0
	v_mul_f32_e32 v56, s35, v13
	v_mul_f32_e32 v13, s34, v13
	v_fma_f32 v55, v53, s22, -v55
	v_fma_f32 v53, v12, s34, -v56
	s_delay_alu instid0(VALU_DEP_1) | instskip(NEXT) | instid1(VALU_DEP_1)
	v_dual_fmac_f32 v13, s35, v12 :: v_dual_add_f32 v12, v55, v53
	v_add_f32_e32 v13, v54, v13
	flat_store_b64 v[10:11], v[12:13] offset:128
	flat_load_b64 v[12:13], v[8:9] offset:256
	v_mul_f32_e32 v53, s23, v52
	v_mul_f32_e32 v52, s22, v52
	s_delay_alu instid0(VALU_DEP_1) | instskip(SKIP_4) | instid1(VALU_DEP_3)
	v_fmac_f32_e32 v52, s23, v51
	s_wait_loadcnt_dscnt 0x0
	v_mul_f32_e32 v54, s35, v13
	v_mul_f32_e32 v13, s34, v13
	v_fma_f32 v53, v51, s22, -v53
	v_fma_f32 v51, v12, s34, -v54
	s_delay_alu instid0(VALU_DEP_1) | instskip(NEXT) | instid1(VALU_DEP_1)
	v_dual_fmac_f32 v13, s35, v12 :: v_dual_add_f32 v12, v53, v51
	v_add_f32_e32 v13, v52, v13
	flat_store_b64 v[10:11], v[12:13] offset:256
	flat_load_b64 v[8:9], v[8:9] offset:384
	v_mul_f32_e32 v12, s23, v50
	s_delay_alu instid0(VALU_DEP_1) | instskip(SKIP_1) | instid1(VALU_DEP_1)
	v_fma_f32 v12, v49, s22, -v12
	v_mul_f32_e32 v13, s22, v50
	v_fmac_f32_e32 v13, s23, v49
	s_wait_loadcnt_dscnt 0x0
	v_mul_f32_e32 v50, s35, v9
	v_mul_f32_e32 v9, s34, v9
	s_delay_alu instid0(VALU_DEP_2) | instskip(SKIP_1) | instid1(VALU_DEP_3)
	v_fma_f32 v49, v8, s34, -v50
	v_add_co_u32 v50, vcc_lo, v57, s24
	v_fmac_f32_e32 v9, s35, v8
	s_wait_alu 0xfffd
	v_add_co_ci_u32_e64 v51, null, s25, v58, vcc_lo
	v_add_f32_e32 v8, v12, v49
	v_add_co_u32 v12, vcc_lo, v50, v6
	v_add_f32_e32 v9, v13, v9
	s_wait_alu 0xfffd
	v_add_co_ci_u32_e64 v13, null, v51, v7, vcc_lo
	v_add_co_u32 v14, vcc_lo, v14, s26
	flat_store_b64 v[10:11], v[8:9] offset:384
	flat_load_b64 v[8:9], v[12:13]
	v_mul_f32_e32 v10, s23, v48
	v_mul_f32_e32 v11, s22, v48
	s_wait_alu 0xfffd
	v_add_co_ci_u32_e64 v15, null, s27, v15, vcc_lo
	s_delay_alu instid0(VALU_DEP_3) | instskip(SKIP_2) | instid1(VALU_DEP_1)
	v_fma_f32 v10, v47, s22, -v10
	s_wait_loadcnt_dscnt 0x0
	v_dual_mul_f32 v48, s34, v9 :: v_dual_fmac_f32 v11, s23, v47
	v_dual_mul_f32 v47, s35, v9 :: v_dual_fmac_f32 v48, s35, v8
	s_delay_alu instid0(VALU_DEP_1) | instskip(SKIP_3) | instid1(VALU_DEP_3)
	v_fma_f32 v47, v8, s34, -v47
	v_add_co_u32 v8, vcc_lo, v14, v6
	s_wait_alu 0xfffd
	v_add_co_ci_u32_e64 v9, null, v15, v7, vcc_lo
	v_dual_add_f32 v10, v10, v47 :: v_dual_mul_f32 v47, s23, v46
	v_mul_f32_e32 v46, s22, v46
	s_delay_alu instid0(VALU_DEP_2) | instskip(NEXT) | instid1(VALU_DEP_2)
	v_fma_f32 v47, v45, s22, -v47
	v_dual_fmac_f32 v46, s23, v45 :: v_dual_add_f32 v11, v11, v48
	flat_store_b64 v[8:9], v[10:11]
	flat_load_b64 v[10:11], v[12:13] offset:128
	s_wait_loadcnt_dscnt 0x0
	v_mul_f32_e32 v48, s35, v11
	s_delay_alu instid0(VALU_DEP_1) | instskip(SKIP_1) | instid1(VALU_DEP_1)
	v_fma_f32 v45, v10, s34, -v48
	v_mul_f32_e32 v11, s34, v11
	v_dual_fmac_f32 v11, s35, v10 :: v_dual_add_f32 v10, v47, v45
	v_mul_f32_e32 v45, s23, v44
	s_delay_alu instid0(VALU_DEP_2) | instskip(NEXT) | instid1(VALU_DEP_2)
	v_dual_mul_f32 v44, s22, v44 :: v_dual_add_f32 v11, v46, v11
	v_fma_f32 v45, v43, s22, -v45
	s_delay_alu instid0(VALU_DEP_2)
	v_fmac_f32_e32 v44, s23, v43
	flat_store_b64 v[8:9], v[10:11] offset:128
	flat_load_b64 v[10:11], v[12:13] offset:256
	s_wait_loadcnt_dscnt 0x0
	v_mul_f32_e32 v46, s35, v11
	v_mul_f32_e32 v11, s34, v11
	s_delay_alu instid0(VALU_DEP_2) | instskip(NEXT) | instid1(VALU_DEP_1)
	v_fma_f32 v43, v10, s34, -v46
	v_dual_fmac_f32 v11, s35, v10 :: v_dual_add_f32 v10, v45, v43
	s_delay_alu instid0(VALU_DEP_1) | instskip(SKIP_4) | instid1(VALU_DEP_2)
	v_add_f32_e32 v11, v44, v11
	flat_store_b64 v[8:9], v[10:11] offset:256
	flat_load_b64 v[10:11], v[12:13] offset:384
	v_mul_f32_e32 v12, s23, v42
	v_mul_f32_e32 v13, s22, v42
	v_fma_f32 v12, v41, s22, -v12
	s_wait_loadcnt_dscnt 0x0
	s_delay_alu instid0(VALU_DEP_2) | instskip(SKIP_1) | instid1(VALU_DEP_2)
	v_dual_fmac_f32 v13, s23, v41 :: v_dual_mul_f32 v42, s35, v11
	v_mul_f32_e32 v11, s34, v11
	v_fma_f32 v41, v10, s34, -v42
	v_add_co_u32 v42, vcc_lo, v50, s24
	s_delay_alu instid0(VALU_DEP_3)
	v_fmac_f32_e32 v11, s35, v10
	s_wait_alu 0xfffd
	v_add_co_ci_u32_e64 v43, null, s25, v51, vcc_lo
	v_add_f32_e32 v10, v12, v41
	v_add_co_u32 v12, vcc_lo, v42, v6
	v_add_f32_e32 v11, v13, v11
	s_wait_alu 0xfffd
	v_add_co_ci_u32_e64 v13, null, v43, v7, vcc_lo
	v_add_co_u32 v14, vcc_lo, v14, s26
	flat_store_b64 v[8:9], v[10:11] offset:384
	flat_load_b64 v[8:9], v[12:13]
	v_mul_f32_e32 v10, s23, v40
	v_mul_f32_e32 v11, s22, v40
	s_wait_alu 0xfffd
	v_add_co_ci_u32_e64 v15, null, s27, v15, vcc_lo
	s_delay_alu instid0(VALU_DEP_3) | instskip(NEXT) | instid1(VALU_DEP_3)
	v_fma_f32 v10, v39, s22, -v10
	v_fmac_f32_e32 v11, s23, v39
	s_wait_loadcnt_dscnt 0x0
	v_mul_f32_e32 v39, s35, v9
	v_mul_f32_e32 v40, s34, v9
	s_delay_alu instid0(VALU_DEP_2) | instskip(NEXT) | instid1(VALU_DEP_2)
	v_fma_f32 v39, v8, s34, -v39
	v_fmac_f32_e32 v40, s35, v8
	v_add_co_u32 v8, vcc_lo, v14, v6
	s_wait_alu 0xfffd
	v_add_co_ci_u32_e64 v9, null, v15, v7, vcc_lo
	s_delay_alu instid0(VALU_DEP_3)
	v_dual_add_f32 v10, v10, v39 :: v_dual_add_f32 v11, v11, v40
	v_mul_f32_e32 v39, s23, v38
	v_mul_f32_e32 v38, s22, v38
	flat_store_b64 v[8:9], v[10:11]
	flat_load_b64 v[10:11], v[12:13] offset:128
	v_fma_f32 v39, v37, s22, -v39
	v_fmac_f32_e32 v38, s23, v37
	s_wait_loadcnt_dscnt 0x0
	v_mul_f32_e32 v40, s35, v11
	v_mul_f32_e32 v11, s34, v11
	s_delay_alu instid0(VALU_DEP_2) | instskip(NEXT) | instid1(VALU_DEP_1)
	v_fma_f32 v37, v10, s34, -v40
	v_dual_fmac_f32 v11, s35, v10 :: v_dual_add_f32 v10, v39, v37
	s_delay_alu instid0(VALU_DEP_1)
	v_add_f32_e32 v11, v38, v11
	v_mul_f32_e32 v37, s23, v36
	v_mul_f32_e32 v36, s22, v36
	flat_store_b64 v[8:9], v[10:11] offset:128
	flat_load_b64 v[10:11], v[12:13] offset:256
	v_fma_f32 v37, v35, s22, -v37
	v_fmac_f32_e32 v36, s23, v35
	s_wait_loadcnt_dscnt 0x0
	v_mul_f32_e32 v38, s35, v11
	v_mul_f32_e32 v11, s34, v11
	s_delay_alu instid0(VALU_DEP_2) | instskip(NEXT) | instid1(VALU_DEP_1)
	v_fma_f32 v35, v10, s34, -v38
	v_dual_fmac_f32 v11, s35, v10 :: v_dual_add_f32 v10, v37, v35
	s_delay_alu instid0(VALU_DEP_1) | instskip(SKIP_4) | instid1(VALU_DEP_2)
	v_add_f32_e32 v11, v36, v11
	flat_store_b64 v[8:9], v[10:11] offset:256
	flat_load_b64 v[10:11], v[12:13] offset:384
	v_mul_f32_e32 v12, s23, v34
	v_mul_f32_e32 v13, s22, v34
	v_fma_f32 v12, v33, s22, -v12
	s_wait_loadcnt_dscnt 0x0
	s_delay_alu instid0(VALU_DEP_2) | instskip(SKIP_1) | instid1(VALU_DEP_2)
	v_dual_fmac_f32 v13, s23, v33 :: v_dual_mul_f32 v34, s35, v11
	v_mul_f32_e32 v11, s34, v11
	v_fma_f32 v33, v10, s34, -v34
	v_add_co_u32 v34, vcc_lo, v42, s24
	s_delay_alu instid0(VALU_DEP_3)
	v_fmac_f32_e32 v11, s35, v10
	s_wait_alu 0xfffd
	v_add_co_ci_u32_e64 v35, null, s25, v43, vcc_lo
	v_add_f32_e32 v10, v12, v33
	v_add_co_u32 v12, vcc_lo, v34, v6
	v_add_f32_e32 v11, v13, v11
	s_wait_alu 0xfffd
	v_add_co_ci_u32_e64 v13, null, v35, v7, vcc_lo
	v_add_co_u32 v14, vcc_lo, v14, s26
	flat_store_b64 v[8:9], v[10:11] offset:384
	flat_load_b64 v[8:9], v[12:13]
	v_mul_f32_e32 v10, s23, v32
	v_mul_f32_e32 v11, s22, v32
	s_wait_alu 0xfffd
	v_add_co_ci_u32_e64 v15, null, s27, v15, vcc_lo
	v_add_co_u32 v6, vcc_lo, v14, v6
	v_fma_f32 v10, v31, s22, -v10
	v_fmac_f32_e32 v11, s23, v31
	s_wait_alu 0xfffd
	v_add_co_ci_u32_e64 v7, null, v15, v7, vcc_lo
	s_wait_loadcnt_dscnt 0x0
	v_mul_f32_e32 v31, s35, v9
	v_mul_f32_e32 v9, s34, v9
	s_delay_alu instid0(VALU_DEP_2) | instskip(NEXT) | instid1(VALU_DEP_1)
	v_fma_f32 v31, v8, s34, -v31
	v_dual_fmac_f32 v9, s35, v8 :: v_dual_add_f32 v8, v10, v31
	s_delay_alu instid0(VALU_DEP_1)
	v_dual_add_f32 v9, v11, v9 :: v_dual_mul_f32 v10, s23, v30
	v_mul_f32_e32 v11, s22, v30
	flat_store_b64 v[6:7], v[8:9]
	flat_load_b64 v[8:9], v[12:13] offset:128
	v_fma_f32 v10, v29, s22, -v10
	v_fmac_f32_e32 v11, s23, v29
	s_wait_loadcnt_dscnt 0x0
	v_mul_f32_e32 v14, s35, v9
	v_mul_f32_e32 v9, s34, v9
	s_delay_alu instid0(VALU_DEP_2) | instskip(NEXT) | instid1(VALU_DEP_1)
	v_fma_f32 v14, v8, s34, -v14
	v_dual_fmac_f32 v9, s35, v8 :: v_dual_add_f32 v8, v10, v14
	s_delay_alu instid0(VALU_DEP_1)
	v_dual_add_f32 v9, v11, v9 :: v_dual_mul_f32 v10, s23, v28
	v_mul_f32_e32 v11, s22, v28
	flat_store_b64 v[6:7], v[8:9] offset:128
	flat_load_b64 v[8:9], v[12:13] offset:256
	v_fma_f32 v10, v27, s22, -v10
	s_wait_loadcnt_dscnt 0x0
	v_dual_fmac_f32 v11, s23, v27 :: v_dual_mul_f32 v14, s35, v9
	v_mul_f32_e32 v9, s34, v9
	s_delay_alu instid0(VALU_DEP_2) | instskip(NEXT) | instid1(VALU_DEP_1)
	v_fma_f32 v14, v8, s34, -v14
	v_dual_fmac_f32 v9, s35, v8 :: v_dual_add_f32 v8, v10, v14
	s_delay_alu instid0(VALU_DEP_1)
	v_dual_add_f32 v9, v11, v9 :: v_dual_mul_f32 v10, s23, v26
	v_mul_f32_e32 v11, s22, v26
	flat_store_b64 v[6:7], v[8:9] offset:256
	flat_load_b64 v[8:9], v[12:13] offset:384
	v_fma_f32 v10, v25, s22, -v10
	v_fmac_f32_e32 v11, s23, v25
	s_wait_loadcnt_dscnt 0x0
	v_mul_f32_e32 v12, s35, v9
	v_mul_f32_e32 v9, s34, v9
	s_delay_alu instid0(VALU_DEP_2) | instskip(NEXT) | instid1(VALU_DEP_2)
	v_fma_f32 v12, v8, s34, -v12
	v_fmac_f32_e32 v9, s35, v8
	v_add_co_u32 v8, vcc_lo, 0x180, v6
	s_delay_alu instid0(VALU_DEP_3) | instskip(NEXT) | instid1(VALU_DEP_3)
	v_add_f32_e32 v10, v10, v12
	v_add_f32_e32 v12, v11, v9
	s_wait_alu 0xfffd
	v_add_co_ci_u32_e64 v9, null, 0, v7, vcc_lo
	flat_store_b32 v[6:7], v10 offset:384
	s_branch .LBB241_2
.LBB241_10:
	s_nop 0
	s_sendmsg sendmsg(MSG_DEALLOC_VGPRS)
	s_endpgm
	.section	.rodata,"a",@progbits
	.p2align	6, 0x0
	.amdhsa_kernel _ZN12_GLOBAL__N_127rocblas_gemm_batched_kernelI19rocblas_complex_numIfELi16ELi16ELi64ELi64ELi4ELi64ELi4ELi4ELi64ELc78ELc67EKPKS2_S5_KPS2_EEvlllT_PT11_llSA_llS8_PT12_llPT13_lli
		.amdhsa_group_segment_fixed_size 4096
		.amdhsa_private_segment_fixed_size 0
		.amdhsa_kernarg_size 140
		.amdhsa_user_sgpr_count 2
		.amdhsa_user_sgpr_dispatch_ptr 0
		.amdhsa_user_sgpr_queue_ptr 0
		.amdhsa_user_sgpr_kernarg_segment_ptr 1
		.amdhsa_user_sgpr_dispatch_id 0
		.amdhsa_user_sgpr_private_segment_size 0
		.amdhsa_wavefront_size32 1
		.amdhsa_uses_dynamic_stack 0
		.amdhsa_enable_private_segment 0
		.amdhsa_system_sgpr_workgroup_id_x 1
		.amdhsa_system_sgpr_workgroup_id_y 1
		.amdhsa_system_sgpr_workgroup_id_z 1
		.amdhsa_system_sgpr_workgroup_info 0
		.amdhsa_system_vgpr_workitem_id 1
		.amdhsa_next_free_vgpr 201
		.amdhsa_next_free_sgpr 40
		.amdhsa_reserve_vcc 1
		.amdhsa_float_round_mode_32 0
		.amdhsa_float_round_mode_16_64 0
		.amdhsa_float_denorm_mode_32 3
		.amdhsa_float_denorm_mode_16_64 3
		.amdhsa_fp16_overflow 0
		.amdhsa_workgroup_processor_mode 1
		.amdhsa_memory_ordered 1
		.amdhsa_forward_progress 1
		.amdhsa_inst_pref_size 44
		.amdhsa_round_robin_scheduling 0
		.amdhsa_exception_fp_ieee_invalid_op 0
		.amdhsa_exception_fp_denorm_src 0
		.amdhsa_exception_fp_ieee_div_zero 0
		.amdhsa_exception_fp_ieee_overflow 0
		.amdhsa_exception_fp_ieee_underflow 0
		.amdhsa_exception_fp_ieee_inexact 0
		.amdhsa_exception_int_div_zero 0
	.end_amdhsa_kernel
	.section	.text._ZN12_GLOBAL__N_127rocblas_gemm_batched_kernelI19rocblas_complex_numIfELi16ELi16ELi64ELi64ELi4ELi64ELi4ELi4ELi64ELc78ELc67EKPKS2_S5_KPS2_EEvlllT_PT11_llSA_llS8_PT12_llPT13_lli,"axG",@progbits,_ZN12_GLOBAL__N_127rocblas_gemm_batched_kernelI19rocblas_complex_numIfELi16ELi16ELi64ELi64ELi4ELi64ELi4ELi4ELi64ELc78ELc67EKPKS2_S5_KPS2_EEvlllT_PT11_llSA_llS8_PT12_llPT13_lli,comdat
.Lfunc_end241:
	.size	_ZN12_GLOBAL__N_127rocblas_gemm_batched_kernelI19rocblas_complex_numIfELi16ELi16ELi64ELi64ELi4ELi64ELi4ELi4ELi64ELc78ELc67EKPKS2_S5_KPS2_EEvlllT_PT11_llSA_llS8_PT12_llPT13_lli, .Lfunc_end241-_ZN12_GLOBAL__N_127rocblas_gemm_batched_kernelI19rocblas_complex_numIfELi16ELi16ELi64ELi64ELi4ELi64ELi4ELi4ELi64ELc78ELc67EKPKS2_S5_KPS2_EEvlllT_PT11_llSA_llS8_PT12_llPT13_lli
                                        ; -- End function
	.set _ZN12_GLOBAL__N_127rocblas_gemm_batched_kernelI19rocblas_complex_numIfELi16ELi16ELi64ELi64ELi4ELi64ELi4ELi4ELi64ELc78ELc67EKPKS2_S5_KPS2_EEvlllT_PT11_llSA_llS8_PT12_llPT13_lli.num_vgpr, 201
	.set _ZN12_GLOBAL__N_127rocblas_gemm_batched_kernelI19rocblas_complex_numIfELi16ELi16ELi64ELi64ELi4ELi64ELi4ELi4ELi64ELc78ELc67EKPKS2_S5_KPS2_EEvlllT_PT11_llSA_llS8_PT12_llPT13_lli.num_agpr, 0
	.set _ZN12_GLOBAL__N_127rocblas_gemm_batched_kernelI19rocblas_complex_numIfELi16ELi16ELi64ELi64ELi4ELi64ELi4ELi4ELi64ELc78ELc67EKPKS2_S5_KPS2_EEvlllT_PT11_llSA_llS8_PT12_llPT13_lli.numbered_sgpr, 40
	.set _ZN12_GLOBAL__N_127rocblas_gemm_batched_kernelI19rocblas_complex_numIfELi16ELi16ELi64ELi64ELi4ELi64ELi4ELi4ELi64ELc78ELc67EKPKS2_S5_KPS2_EEvlllT_PT11_llSA_llS8_PT12_llPT13_lli.num_named_barrier, 0
	.set _ZN12_GLOBAL__N_127rocblas_gemm_batched_kernelI19rocblas_complex_numIfELi16ELi16ELi64ELi64ELi4ELi64ELi4ELi4ELi64ELc78ELc67EKPKS2_S5_KPS2_EEvlllT_PT11_llSA_llS8_PT12_llPT13_lli.private_seg_size, 0
	.set _ZN12_GLOBAL__N_127rocblas_gemm_batched_kernelI19rocblas_complex_numIfELi16ELi16ELi64ELi64ELi4ELi64ELi4ELi4ELi64ELc78ELc67EKPKS2_S5_KPS2_EEvlllT_PT11_llSA_llS8_PT12_llPT13_lli.uses_vcc, 1
	.set _ZN12_GLOBAL__N_127rocblas_gemm_batched_kernelI19rocblas_complex_numIfELi16ELi16ELi64ELi64ELi4ELi64ELi4ELi4ELi64ELc78ELc67EKPKS2_S5_KPS2_EEvlllT_PT11_llSA_llS8_PT12_llPT13_lli.uses_flat_scratch, 1
	.set _ZN12_GLOBAL__N_127rocblas_gemm_batched_kernelI19rocblas_complex_numIfELi16ELi16ELi64ELi64ELi4ELi64ELi4ELi4ELi64ELc78ELc67EKPKS2_S5_KPS2_EEvlllT_PT11_llSA_llS8_PT12_llPT13_lli.has_dyn_sized_stack, 0
	.set _ZN12_GLOBAL__N_127rocblas_gemm_batched_kernelI19rocblas_complex_numIfELi16ELi16ELi64ELi64ELi4ELi64ELi4ELi4ELi64ELc78ELc67EKPKS2_S5_KPS2_EEvlllT_PT11_llSA_llS8_PT12_llPT13_lli.has_recursion, 0
	.set _ZN12_GLOBAL__N_127rocblas_gemm_batched_kernelI19rocblas_complex_numIfELi16ELi16ELi64ELi64ELi4ELi64ELi4ELi4ELi64ELc78ELc67EKPKS2_S5_KPS2_EEvlllT_PT11_llSA_llS8_PT12_llPT13_lli.has_indirect_call, 0
	.section	.AMDGPU.csdata,"",@progbits
; Kernel info:
; codeLenInByte = 5596
; TotalNumSgprs: 42
; NumVgprs: 201
; ScratchSize: 0
; MemoryBound: 0
; FloatMode: 240
; IeeeMode: 1
; LDSByteSize: 4096 bytes/workgroup (compile time only)
; SGPRBlocks: 0
; VGPRBlocks: 25
; NumSGPRsForWavesPerEU: 42
; NumVGPRsForWavesPerEU: 201
; Occupancy: 7
; WaveLimiterHint : 1
; COMPUTE_PGM_RSRC2:SCRATCH_EN: 0
; COMPUTE_PGM_RSRC2:USER_SGPR: 2
; COMPUTE_PGM_RSRC2:TRAP_HANDLER: 0
; COMPUTE_PGM_RSRC2:TGID_X_EN: 1
; COMPUTE_PGM_RSRC2:TGID_Y_EN: 1
; COMPUTE_PGM_RSRC2:TGID_Z_EN: 1
; COMPUTE_PGM_RSRC2:TIDIG_COMP_CNT: 1
	.section	.text._ZN12_GLOBAL__N_127rocblas_gemm_batched_kernelI19rocblas_complex_numIfELi16ELi16ELi64ELi64ELi4ELi64ELi4ELi4ELi64ELc84ELc67EKPKS2_S5_KPS2_EEvlllT_PT11_llSA_llS8_PT12_llPT13_lli,"axG",@progbits,_ZN12_GLOBAL__N_127rocblas_gemm_batched_kernelI19rocblas_complex_numIfELi16ELi16ELi64ELi64ELi4ELi64ELi4ELi4ELi64ELc84ELc67EKPKS2_S5_KPS2_EEvlllT_PT11_llSA_llS8_PT12_llPT13_lli,comdat
	.globl	_ZN12_GLOBAL__N_127rocblas_gemm_batched_kernelI19rocblas_complex_numIfELi16ELi16ELi64ELi64ELi4ELi64ELi4ELi4ELi64ELc84ELc67EKPKS2_S5_KPS2_EEvlllT_PT11_llSA_llS8_PT12_llPT13_lli ; -- Begin function _ZN12_GLOBAL__N_127rocblas_gemm_batched_kernelI19rocblas_complex_numIfELi16ELi16ELi64ELi64ELi4ELi64ELi4ELi4ELi64ELc84ELc67EKPKS2_S5_KPS2_EEvlllT_PT11_llSA_llS8_PT12_llPT13_lli
	.p2align	8
	.type	_ZN12_GLOBAL__N_127rocblas_gemm_batched_kernelI19rocblas_complex_numIfELi16ELi16ELi64ELi64ELi4ELi64ELi4ELi4ELi64ELc84ELc67EKPKS2_S5_KPS2_EEvlllT_PT11_llSA_llS8_PT12_llPT13_lli,@function
_ZN12_GLOBAL__N_127rocblas_gemm_batched_kernelI19rocblas_complex_numIfELi16ELi16ELi64ELi64ELi4ELi64ELi4ELi4ELi64ELc84ELc67EKPKS2_S5_KPS2_EEvlllT_PT11_llSA_llS8_PT12_llPT13_lli: ; @_ZN12_GLOBAL__N_127rocblas_gemm_batched_kernelI19rocblas_complex_numIfELi16ELi16ELi64ELi64ELi4ELi64ELi4ELi4ELi64ELc84ELc67EKPKS2_S5_KPS2_EEvlllT_PT11_llSA_llS8_PT12_llPT13_lli
; %bb.0:
	s_load_b32 s33, s[0:1], 0x88
	s_lshr_b32 s2, ttmp7, 16
	s_wait_kmcnt 0x0
	s_cmp_ge_i32 s2, s33
	s_cbranch_scc1 .LBB242_10
; %bb.1:
	v_dual_mov_b32 v16, 0 :: v_dual_and_b32 v13, 0x3ff, v0
	v_bfe_u32 v8, v0, 10, 10
	s_load_b128 s[28:31], s[0:1], 0x40
	s_lshl_b32 s3, ttmp7, 6
	v_and_b32_e32 v6, 3, v0
	s_and_b32 s38, s3, 0x3fffc0
	v_lshl_add_u32 v2, v8, 4, v13
	s_clause 0x4
	s_load_b128 s[20:23], s[0:1], 0x10
	s_load_b256 s[4:11], s[0:1], 0x20
	s_load_b128 s[24:27], s[0:1], 0x78
	s_load_b64 s[34:35], s[0:1], 0x50
	s_load_b256 s[12:19], s[0:1], 0x58
	v_add_nc_u32_e32 v12, s38, v8
	s_mov_b32 s36, ttmp9
	v_lshrrev_b32_e32 v3, 2, v2
	v_and_b32_e32 v7, 63, v2
	s_ashr_i32 s37, ttmp9, 31
	v_lshrrev_b32_e32 v14, 6, v2
	s_lshl_b64 s[0:1], s[36:37], 6
	v_add_co_u32 v0, s3, v3, s38
	s_delay_alu instid0(VALU_DEP_1) | instskip(SKIP_3) | instid1(VALU_DEP_2)
	v_add_co_ci_u32_e64 v1, null, 0, 0, s3
	v_lshl_add_u32 v20, v8, 5, 0x800
	s_mov_b32 s3, 0
	s_wait_kmcnt 0x0
	v_mad_co_u64_u32 v[4:5], null, s28, v6, v[0:1]
	v_lshlrev_b32_e32 v1, 3, v6
	s_or_b32 s36, s34, s35
	s_delay_alu instid0(SALU_CYCLE_1) | instskip(NEXT) | instid1(VALU_DEP_2)
	s_bitset0_b32 s36, 31
	v_mov_b32_e32 v0, v5
	s_delay_alu instid0(VALU_DEP_2) | instskip(SKIP_2) | instid1(VALU_DEP_3)
	v_lshl_or_b32 v9, v3, 5, v1
	v_lshlrev_b32_e32 v5, 3, v7
	s_cmp_eq_u32 s36, 0
	v_mad_co_u64_u32 v[2:3], null, s29, v6, v[0:1]
	v_or_b32_e32 v3, s0, v7
	v_mad_co_u64_u32 v[6:7], null, v12, s14, 0
	v_mad_co_u64_u32 v[0:1], null, v12, s24, 0
	v_lshlrev_b32_e32 v17, 3, v13
	v_lshl_or_b32 v18, v14, 9, v5
	v_mov_b32_e32 v5, v2
	v_dual_mov_b32 v2, v7 :: v_dual_add_nc_u32 v19, 0x800, v9
	v_mul_lo_u32 v15, s7, v3
	v_mad_co_u64_u32 v[8:9], null, s6, v3, 0
	s_mul_i32 s6, s6, s1
	v_mad_co_u64_u32 v[10:11], null, v12, s25, v[1:2]
	s_cselect_b32 s36, -1, 0
	v_lshlrev_b64_e32 v[4:5], 3, v[4:5]
	s_lshl_b64 s[24:25], s[24:25], 4
	s_wait_alu 0xfffe
	v_add3_u32 v9, v9, s6, v15
	s_lshl_b64 s[38:39], s[14:15], 4
	s_lshl_b64 s[6:7], s[28:29], 5
	v_mov_b32_e32 v1, v10
	v_mad_co_u64_u32 v[11:12], null, v12, s15, v[2:3]
	v_lshlrev_b64_e32 v[8:9], 3, v[8:9]
	v_add_co_u32 v2, s0, s0, v13
	s_wait_alu 0xf1ff
	v_add_co_ci_u32_e64 v3, null, s1, 0, s0
	s_lshl_b64 s[0:1], s[8:9], 3
	v_dual_mov_b32 v7, v11 :: v_dual_lshlrev_b32 v10, 3, v14
	s_wait_alu 0xfffe
	v_add_co_u32 v8, vcc_lo, v8, s0
	s_delay_alu instid0(VALU_DEP_1)
	v_add_co_ci_u32_e64 v9, null, s1, v9, vcc_lo
	s_lshl_b64 s[0:1], s[30:31], 3
	v_add_co_u32 v21, vcc_lo, v8, v10
	s_wait_alu 0xfffd
	v_add_co_ci_u32_e64 v22, null, 0, v9, vcc_lo
	s_wait_alu 0xfffe
	v_add_co_u32 v4, vcc_lo, s0, v4
	v_cmp_gt_i64_e64 s0, s[20:21], 0
	s_wait_alu 0xfffd
	v_add_co_ci_u32_e64 v23, null, s1, v5, vcc_lo
	s_delay_alu instid0(VALU_DEP_3)
	v_or_b32_e32 v24, 4, v4
	v_lshlrev_b64_e32 v[4:5], 3, v[6:7]
	s_lshl_b64 s[8:9], s[26:27], 3
	s_wait_alu 0xf1ff
	v_cndmask_b32_e64 v8, 0, 1, s0
	s_lshl_b64 s[14:15], s[16:17], 3
	s_lshl_b64 s[16:17], s[38:39], 3
	;; [unrolled: 1-line block ×3, first 2 shown]
	s_delay_alu instid0(VALU_DEP_1)
	v_cmp_ne_u32_e64 s0, 1, v8
	s_branch .LBB242_3
.LBB242_2:                              ;   in Loop: Header=BB242_3 Depth=1
	s_add_co_i32 s2, s2, 0x10000
	flat_store_b32 v[8:9], v12 offset:4
	s_wait_alu 0xfffe
	s_cmp_lt_i32 s2, s33
	s_cbranch_scc0 .LBB242_10
.LBB242_3:                              ; =>This Loop Header: Depth=1
                                        ;     Child Loop BB242_5 Depth 2
	s_lshl_b64 s[26:27], s[2:3], 3
	v_dual_mov_b32 v56, 0 :: v_dual_mov_b32 v55, 0
	s_wait_alu 0xfffe
	s_add_nc_u64 s[28:29], s[12:13], s[26:27]
	s_add_nc_u64 s[30:31], s[18:19], s[26:27]
	s_clause 0x1
	global_load_b64 v[6:7], v16, s[28:29]
	global_load_b64 v[8:9], v16, s[30:31]
	v_dual_mov_b32 v53, 0 :: v_dual_mov_b32 v54, 0
	v_dual_mov_b32 v51, 0 :: v_dual_mov_b32 v52, 0
	;; [unrolled: 1-line block ×15, first 2 shown]
	s_and_b32 vcc_lo, exec_lo, s0
	s_wait_alu 0xfffe
	s_cbranch_vccnz .LBB242_6
; %bb.4:                                ;   in Loop: Header=BB242_3 Depth=1
	s_add_nc_u64 s[28:29], s[4:5], s[26:27]
	s_add_nc_u64 s[26:27], s[10:11], s[26:27]
	s_clause 0x1
	global_load_b64 v[10:11], v16, s[28:29]
	global_load_b64 v[12:13], v16, s[26:27]
	v_dual_mov_b32 v26, 0 :: v_dual_mov_b32 v25, 0
	v_dual_mov_b32 v28, 0 :: v_dual_mov_b32 v27, 0
	;; [unrolled: 1-line block ×16, first 2 shown]
	s_mov_b64 s[26:27], 0
	s_wait_loadcnt 0x1
	v_add_co_u32 v10, vcc_lo, v10, v21
	s_wait_alu 0xfffd
	v_add_co_ci_u32_e64 v11, null, v11, v22, vcc_lo
	s_wait_loadcnt 0x0
	v_add_co_u32 v12, vcc_lo, v12, v24
	s_wait_alu 0xfffd
	v_add_co_ci_u32_e64 v13, null, v13, v23, vcc_lo
.LBB242_5:                              ;   Parent Loop BB242_3 Depth=1
                                        ; =>  This Inner Loop Header: Depth=2
	flat_load_b64 v[14:15], v[10:11]
	s_wait_alu 0xfffe
	s_add_nc_u64 s[26:27], s[26:27], 4
	v_add_co_u32 v10, vcc_lo, v10, 32
	s_wait_alu 0xfffe
	v_cmp_lt_i64_e64 s1, s[26:27], s[20:21]
	s_wait_alu 0xfffd
	v_add_co_ci_u32_e64 v11, null, 0, v11, vcc_lo
	s_and_b32 vcc_lo, exec_lo, s1
	s_wait_loadcnt_dscnt 0x0
	ds_store_b64 v18, v[14:15]
	flat_load_b64 v[14:15], v[12:13] offset:-4
	v_add_co_u32 v12, s1, v12, s6
	s_wait_alu 0xf1ff
	v_add_co_ci_u32_e64 v13, null, s7, v13, s1
	s_wait_loadcnt_dscnt 0x0
	v_xor_b32_e32 v15, 0x80000000, v15
	ds_store_b64 v19, v[14:15]
	s_wait_dscnt 0x0
	s_barrier_signal -1
	s_barrier_wait -1
	global_inv scope:SCOPE_SE
	ds_load_2addr_b64 v[57:60], v17 offset1:16
	ds_load_b128 v[61:64], v20
	ds_load_b128 v[65:68], v20 offset:16
	ds_load_b128 v[69:72], v20 offset:512
	;; [unrolled: 1-line block ×7, first 2 shown]
	ds_load_2addr_b64 v[93:96], v17 offset0:32 offset1:48
	ds_load_2addr_b64 v[97:100], v17 offset0:64 offset1:80
	;; [unrolled: 1-line block ×7, first 2 shown]
	s_wait_loadcnt_dscnt 0x0
	s_barrier_signal -1
	s_barrier_wait -1
	global_inv scope:SCOPE_SE
	v_mul_f32_e32 v15, v61, v58
	v_dual_mul_f32 v122, v61, v60 :: v_dual_mul_f32 v123, v70, v58
	v_mul_f32_e32 v14, v62, v58
	v_dual_mul_f32 v121, v62, v60 :: v_dual_mul_f32 v124, v69, v58
	v_dual_mul_f32 v125, v70, v60 :: v_dual_mul_f32 v128, v77, v58
	;; [unrolled: 1-line block ×5, first 2 shown]
	v_mul_f32_e32 v129, v78, v60
	v_dual_mul_f32 v130, v77, v60 :: v_dual_mul_f32 v131, v86, v58
	v_mul_f32_e32 v58, v85, v58
	v_mul_f32_e32 v132, v86, v60
	v_dual_mul_f32 v60, v85, v60 :: v_dual_mul_f32 v133, v62, v94
	v_dual_mul_f32 v138, v69, v94 :: v_dual_mul_f32 v139, v70, v96
	;; [unrolled: 1-line block ×9, first 2 shown]
	v_mul_f32_e32 v149, v64, v100
	v_dual_mul_f32 v150, v63, v100 :: v_dual_mul_f32 v155, v72, v98
	v_dual_mul_f32 v152, v63, v102 :: v_dual_mul_f32 v161, v72, v104
	;; [unrolled: 1-line block ×11, first 2 shown]
	v_dual_mul_f32 v176, v65, v106 :: v_dual_fmac_f32 v15, v62, v57
	v_fmac_f32_e32 v122, v62, v59
	v_fma_f32 v123, v69, v57, -v123
	v_dual_fmac_f32 v134, v62, v93 :: v_dual_mul_f32 v197, v84, v116
	v_fmac_f32_e32 v136, v62, v95
	v_fma_f32 v62, v69, v93, -v137
	v_dual_mul_f32 v166, v79, v100 :: v_dual_mul_f32 v171, v88, v98
	v_dual_mul_f32 v98, v87, v98 :: v_dual_mul_f32 v185, v82, v108
	;; [unrolled: 1-line block ×8, first 2 shown]
	v_mul_f32_e32 v182, v73, v108
	v_mul_f32_e32 v186, v81, v108
	;; [unrolled: 1-line block ×6, first 2 shown]
	v_fma_f32 v14, v61, v57, -v14
	v_fma_f32 v121, v61, v59, -v121
	v_fmac_f32_e32 v124, v70, v57
	v_fma_f32 v125, v69, v59, -v125
	v_fmac_f32_e32 v126, v70, v59
	;; [unrolled: 2-line block ×6, first 2 shown]
	v_mul_f32_e32 v59, v74, v110
	v_mul_f32_e32 v132, v73, v110
	v_fma_f32 v133, v61, v93, -v133
	v_fma_f32 v61, v61, v95, -v135
	v_dual_fmac_f32 v138, v70, v93 :: v_dual_mul_f32 v199, v84, v120
	v_fma_f32 v69, v69, v95, -v139
	v_fmac_f32_e32 v140, v70, v95
	v_fma_f32 v70, v77, v93, -v141
	v_fma_f32 v77, v77, v95, -v143
	v_mul_f32_e32 v135, v81, v112
	v_fma_f32 v137, v63, v97, -v147
	v_fmac_f32_e32 v148, v64, v97
	v_fma_f32 v139, v63, v99, -v149
	v_fma_f32 v141, v63, v101, -v151
	v_fmac_f32_e32 v152, v64, v101
	v_fma_f32 v63, v63, v103, -v153
	v_dual_fmac_f32 v154, v64, v103 :: v_dual_add_f32 v53, v53, v121
	v_dual_fmac_f32 v156, v72, v97 :: v_dual_add_f32 v15, v55, v15
	v_fma_f32 v147, v71, v101, -v159
	v_dual_fmac_f32 v160, v72, v101 :: v_dual_add_f32 v47, v47, v123
	v_dual_mul_f32 v149, v67, v114 :: v_dual_fmac_f32 v144, v78, v95
	v_dual_mul_f32 v153, v67, v116 :: v_dual_fmac_f32 v142, v78, v93
	v_fma_f32 v78, v85, v93, -v145
	v_fma_f32 v85, v85, v95, -v146
	;; [unrolled: 1-line block ×6, first 2 shown]
	v_dual_fmac_f32 v164, v80, v97 :: v_dual_add_f32 v43, v43, v62
	v_fma_f32 v157, v79, v99, -v165
	v_fma_f32 v159, v79, v101, -v167
	v_dual_fmac_f32 v168, v80, v101 :: v_dual_add_f32 v39, v39, v127
	v_fma_f32 v79, v79, v103, -v169
	v_dual_mul_f32 v161, v67, v118 :: v_dual_fmac_f32 v96, v86, v95
	v_dual_mul_f32 v165, v67, v120 :: v_dual_fmac_f32 v94, v86, v93
	v_mul_f32_e32 v86, v82, v110
	v_dual_mul_f32 v93, v81, v110 :: v_dual_fmac_f32 v150, v64, v99
	v_mul_f32_e32 v169, v75, v114
	v_mul_f32_e32 v64, v90, v110
	v_fma_f32 v173, v87, v101, -v173
	v_dual_fmac_f32 v102, v88, v101 :: v_dual_add_f32 v31, v31, v131
	v_mul_f32_e32 v101, v75, v118
	v_mul_f32_e32 v110, v89, v110
	v_dual_mul_f32 v184, v81, v106 :: v_dual_mul_f32 v95, v82, v112
	v_dual_mul_f32 v106, v89, v106 :: v_dual_mul_f32 v143, v90, v112
	;; [unrolled: 1-line block ×3, first 2 shown]
	v_dual_fmac_f32 v158, v72, v99 :: v_dual_add_f32 v51, v51, v133
	v_dual_fmac_f32 v162, v72, v103 :: v_dual_add_f32 v49, v49, v61
	v_dual_mul_f32 v72, v68, v114 :: v_dual_add_f32 v45, v45, v125
	v_mul_f32_e32 v151, v68, v116
	v_dual_fmac_f32 v166, v80, v99 :: v_dual_add_f32 v41, v41, v69
	v_dual_fmac_f32 v170, v80, v103 :: v_dual_add_f32 v37, v37, v129
	v_dual_mul_f32 v80, v68, v118 :: v_dual_add_f32 v33, v33, v77
	v_fma_f32 v167, v87, v97, -v171
	v_dual_fmac_f32 v98, v88, v97 :: v_dual_add_f32 v35, v35, v70
	v_fma_f32 v97, v87, v99, -v172
	v_dual_fmac_f32 v100, v88, v99 :: v_dual_add_f32 v29, v29, v57
	v_dual_mul_f32 v99, v76, v114 :: v_dual_mul_f32 v172, v75, v116
	v_add_f32_e32 v25, v25, v85
	v_fma_f32 v87, v87, v103, -v174
	v_dual_fmac_f32 v104, v88, v103 :: v_dual_add_f32 v27, v27, v78
	v_dual_mul_f32 v103, v76, v120 :: v_dual_fmac_f32 v176, v66, v105
	v_add_f32_e32 v43, v43, v147
	v_dual_fmac_f32 v178, v66, v107 :: v_dual_add_f32 v51, v51, v141
	v_fma_f32 v179, v73, v105, -v179
	v_fma_f32 v181, v73, v107, -v181
	v_dual_fmac_f32 v182, v74, v107 :: v_dual_add_f32 v47, v47, v145
	v_fma_f32 v189, v65, v109, -v189
	v_dual_fmac_f32 v190, v66, v109 :: v_dual_add_f32 v31, v31, v167
	v_dual_fmac_f32 v192, v66, v111 :: v_dual_add_f32 v27, v27, v173
	v_fma_f32 v59, v73, v109, -v59
	v_fma_f32 v66, v73, v111, -v193
	;; [unrolled: 1-line block ×3, first 2 shown]
	v_fmac_f32_e32 v93, v82, v109
	v_dual_fmac_f32 v135, v82, v111 :: v_dual_mul_f32 v88, v76, v118
	v_dual_add_f32 v15, v15, v148 :: v_dual_fmac_f32 v132, v74, v109
	v_fmac_f32_e32 v169, v76, v113
	v_fma_f32 v64, v89, v109, -v64
	v_fmac_f32_e32 v101, v76, v117
	v_dual_fmac_f32 v110, v90, v109 :: v_dual_add_f32 v47, v47, v179
	v_dual_mul_f32 v109, v91, v118 :: v_dual_mul_f32 v112, v89, v112
	v_mul_f32_e32 v163, v68, v120
	v_mul_f32_e32 v171, v76, v116
	v_dual_mul_f32 v174, v75, v120 :: v_dual_add_f32 v53, v53, v139
	v_dual_mul_f32 v196, v83, v114 :: v_dual_add_f32 v49, v49, v63
	v_dual_mul_f32 v198, v83, v116 :: v_dual_add_f32 v45, v45, v146
	v_fma_f32 v175, v65, v105, -v175
	v_fma_f32 v177, v65, v107, -v177
	v_dual_fmac_f32 v180, v74, v105 :: v_dual_add_f32 v41, v41, v71
	v_fma_f32 v183, v81, v105, -v183
	v_dual_fmac_f32 v184, v82, v105 :: v_dual_add_f32 v39, v39, v155
	;; [unrolled: 2-line block ×5, first 2 shown]
	v_mul_f32_e32 v107, v84, v118
	v_dual_mul_f32 v188, v83, v118 :: v_dual_add_f32 v33, v33, v79
	v_dual_mul_f32 v200, v83, v120 :: v_dual_add_f32 v25, v25, v87
	v_fma_f32 v65, v65, v111, -v191
	v_dual_fmac_f32 v194, v74, v111 :: v_dual_add_f32 v53, v53, v177
	v_fma_f32 v74, v81, v111, -v95
	v_fma_f32 v81, v89, v111, -v143
	s_delay_alu instid0(VALU_DEP_4)
	v_dual_mul_f32 v82, v92, v114 :: v_dual_add_f32 v49, v49, v65
	v_mul_f32_e32 v89, v92, v116
	v_fmac_f32_e32 v149, v68, v113
	v_fmac_f32_e32 v153, v68, v115
	;; [unrolled: 1-line block ×4, first 2 shown]
	v_dual_mul_f32 v68, v92, v118 :: v_dual_add_f32 v43, v43, v59
	v_dual_fmac_f32 v109, v92, v117 :: v_dual_fmac_f32 v112, v90, v111
	v_add_f32_e32 v51, v51, v189
	v_dual_mul_f32 v90, v91, v116 :: v_dual_add_f32 v41, v41, v66
	v_dual_mul_f32 v111, v92, v120 :: v_dual_mul_f32 v86, v91, v114
	v_add_f32_e32 v45, v45, v181
	v_fma_f32 v72, v67, v113, -v72
	v_fma_f32 v95, v67, v115, -v151
	;; [unrolled: 1-line block ×4, first 2 shown]
	v_dual_mul_f32 v114, v91, v120 :: v_dual_add_f32 v37, v37, v185
	v_fma_f32 v99, v75, v113, -v99
	v_fma_f32 v116, v75, v115, -v171
	v_dual_fmac_f32 v172, v76, v115 :: v_dual_add_f32 v35, v35, v73
	v_fma_f32 v88, v75, v117, -v88
	v_fma_f32 v75, v75, v119, -v103
	v_dual_fmac_f32 v174, v76, v119 :: v_dual_add_f32 v33, v33, v74
	v_fma_f32 v76, v83, v113, -v195
	v_dual_fmac_f32 v196, v84, v113 :: v_dual_add_f32 v39, v39, v183
	;; [unrolled: 2-line block ×5, first 2 shown]
	v_fma_f32 v82, v91, v113, -v82
	v_fma_f32 v84, v91, v115, -v89
	v_dual_fmac_f32 v90, v92, v115 :: v_dual_add_f32 v25, v25, v81
	v_fma_f32 v68, v91, v117, -v68
	v_fma_f32 v89, v91, v119, -v111
	v_dual_add_f32 v14, v56, v14 :: v_dual_add_f32 v51, v51, v80
	v_dual_add_f32 v54, v54, v122 :: v_dual_add_f32 v49, v49, v67
	;; [unrolled: 1-line block ×14, first 2 shown]
	v_add_f32_e32 v28, v28, v94
	v_add_f32_e32 v26, v26, v96
	;; [unrolled: 1-line block ×18, first 2 shown]
	v_dual_fmac_f32 v86, v92, v113 :: v_dual_add_f32 v53, v53, v95
	v_dual_add_f32 v14, v14, v175 :: v_dual_add_f32 v15, v15, v176
	v_fmac_f32_e32 v114, v92, v119
	v_add_f32_e32 v54, v54, v178
	v_add_f32_e32 v52, v52, v190
	;; [unrolled: 1-line block ×15, first 2 shown]
	v_dual_add_f32 v56, v14, v72 :: v_dual_add_f32 v55, v15, v149
	v_add_f32_e32 v54, v54, v153
	v_add_f32_e32 v52, v52, v161
	;; [unrolled: 1-line block ×15, first 2 shown]
	s_wait_alu 0xfffe
	s_cbranch_vccnz .LBB242_5
.LBB242_6:                              ;   in Loop: Header=BB242_3 Depth=1
	s_wait_loadcnt 0x0
	v_add_co_u32 v10, vcc_lo, v8, s8
	s_wait_alu 0xfffd
	v_add_co_ci_u32_e64 v11, null, s9, v9, vcc_lo
	s_and_not1_b32 vcc_lo, exec_lo, s36
	s_mov_b32 s1, -1
                                        ; implicit-def: $vgpr12
                                        ; implicit-def: $vgpr8_vgpr9
	s_wait_alu 0xfffe
	s_cbranch_vccz .LBB242_8
; %bb.7:                                ;   in Loop: Header=BB242_3 Depth=1
	s_and_not1_b32 vcc_lo, exec_lo, s1
	s_wait_alu 0xfffe
	s_cbranch_vccnz .LBB242_2
	s_branch .LBB242_9
.LBB242_8:                              ;   in Loop: Header=BB242_3 Depth=1
	v_lshlrev_b64_e32 v[8:9], 3, v[0:1]
	v_lshlrev_b64_e32 v[14:15], 3, v[2:3]
	v_dual_mul_f32 v13, s22, v55 :: v_dual_mul_f32 v58, s22, v54
	v_dual_mul_f32 v12, s23, v55 :: v_dual_mul_f32 v57, s23, v54
	v_mul_f32_e32 v60, s22, v52
	v_add_co_u32 v63, vcc_lo, v10, v8
	s_wait_alu 0xfffd
	v_add_co_ci_u32_e64 v64, null, v11, v9, vcc_lo
	v_dual_mul_f32 v59, s23, v52 :: v_dual_mul_f32 v62, s22, v50
	s_delay_alu instid0(VALU_DEP_3)
	v_add_co_u32 v8, vcc_lo, v63, v14
	v_dual_mul_f32 v61, s23, v50 :: v_dual_fmac_f32 v58, s23, v53
	v_fmac_f32_e32 v13, s23, v56
	v_fma_f32 v12, v56, s22, -v12
	s_wait_alu 0xfffd
	v_add_co_ci_u32_e64 v9, null, v64, v15, vcc_lo
	v_add_co_u32 v63, vcc_lo, v63, s24
	v_fma_f32 v57, v53, s22, -v57
	v_fma_f32 v59, v51, s22, -v59
	v_fmac_f32_e32 v60, s23, v51
	s_wait_alu 0xfffd
	v_add_co_ci_u32_e64 v65, null, s25, v64, vcc_lo
	v_fma_f32 v61, v49, s22, -v61
	v_fmac_f32_e32 v62, s23, v49
	s_clause 0x3
	flat_store_b64 v[8:9], v[12:13]
	flat_store_b64 v[8:9], v[57:58] offset:128
	flat_store_b64 v[8:9], v[59:60] offset:256
	;; [unrolled: 1-line block ×3, first 2 shown]
	v_dual_mul_f32 v8, s23, v48 :: v_dual_mul_f32 v57, s23, v46
	v_mul_f32_e32 v9, s22, v48
	v_add_co_u32 v12, vcc_lo, v63, v14
	v_dual_mul_f32 v58, s22, v46 :: v_dual_mul_f32 v59, s23, v44
	v_dual_mul_f32 v60, s22, v44 :: v_dual_mul_f32 v61, s23, v42
	s_wait_alu 0xfffd
	v_add_co_ci_u32_e64 v13, null, v65, v15, vcc_lo
	v_add_co_u32 v73, vcc_lo, v63, s24
	v_dual_mul_f32 v62, s22, v42 :: v_dual_mul_f32 v69, s23, v36
	v_mul_f32_e32 v66, s23, v40
	v_mul_f32_e32 v64, s22, v40
	s_wait_alu 0xfffd
	v_add_co_ci_u32_e64 v74, null, s25, v65, vcc_lo
	v_fma_f32 v8, v47, s22, -v8
	v_dual_fmac_f32 v9, s23, v47 :: v_dual_fmac_f32 v58, s23, v45
	v_dual_mul_f32 v67, s23, v38 :: v_dual_fmac_f32 v60, s23, v43
	v_mul_f32_e32 v71, s23, v34
	v_mul_f32_e32 v68, s22, v38
	;; [unrolled: 1-line block ×4, first 2 shown]
	v_fma_f32 v57, v45, s22, -v57
	v_fma_f32 v59, v43, s22, -v59
	v_add_co_u32 v65, vcc_lo, v73, v14
	v_fma_f32 v61, v41, s22, -v61
	v_fmac_f32_e32 v62, s23, v41
	v_fma_f32 v63, v39, s22, -v66
	v_fmac_f32_e32 v64, s23, v39
	s_wait_alu 0xfffd
	v_add_co_ci_u32_e64 v66, null, v74, v15, vcc_lo
	v_fma_f32 v67, v37, s22, -v67
	v_fmac_f32_e32 v68, s23, v37
	v_fma_f32 v69, v35, s22, -v69
	v_fmac_f32_e32 v70, s23, v35
	;; [unrolled: 2-line block ×3, first 2 shown]
	s_clause 0x7
	flat_store_b64 v[12:13], v[8:9]
	flat_store_b64 v[12:13], v[57:58] offset:128
	flat_store_b64 v[12:13], v[59:60] offset:256
	;; [unrolled: 1-line block ×3, first 2 shown]
	flat_store_b64 v[65:66], v[63:64]
	flat_store_b64 v[65:66], v[67:68] offset:128
	flat_store_b64 v[65:66], v[69:70] offset:256
	;; [unrolled: 1-line block ×3, first 2 shown]
	v_mul_f32_e32 v8, s23, v32
	v_add_co_u32 v9, vcc_lo, v73, s24
	s_wait_alu 0xfffd
	v_add_co_ci_u32_e64 v12, null, s25, v74, vcc_lo
	s_delay_alu instid0(VALU_DEP_3)
	v_fma_f32 v57, v31, s22, -v8
	v_mul_f32_e32 v8, s23, v30
	v_add_co_u32 v13, vcc_lo, v9, v14
	v_mul_f32_e32 v58, s22, v32
	s_wait_alu 0xfffd
	v_add_co_ci_u32_e64 v14, null, v12, v15, vcc_lo
	v_fma_f32 v59, v29, s22, -v8
	v_dual_mul_f32 v8, s23, v28 :: v_dual_mul_f32 v9, s23, v26
	v_mul_f32_e32 v12, s22, v26
	v_mul_f32_e32 v60, s22, v30
	;; [unrolled: 1-line block ×3, first 2 shown]
	s_delay_alu instid0(VALU_DEP_4)
	v_fma_f32 v61, v27, s22, -v8
	v_add_co_u32 v8, vcc_lo, 0x180, v13
	v_fmac_f32_e32 v58, s23, v31
	v_fma_f32 v15, v25, s22, -v9
	v_fmac_f32_e32 v12, s23, v25
	s_wait_alu 0xfffd
	v_add_co_ci_u32_e64 v9, null, 0, v14, vcc_lo
	v_fmac_f32_e32 v60, s23, v29
	v_fmac_f32_e32 v62, s23, v27
	s_clause 0x3
	flat_store_b64 v[13:14], v[57:58]
	flat_store_b64 v[13:14], v[59:60] offset:128
	flat_store_b64 v[13:14], v[61:62] offset:256
	flat_store_b32 v[13:14], v15 offset:384
	s_cbranch_execnz .LBB242_2
.LBB242_9:                              ;   in Loop: Header=BB242_3 Depth=1
	v_add_co_u32 v8, vcc_lo, v6, s14
	s_wait_alu 0xfffd
	v_add_co_ci_u32_e64 v9, null, s15, v7, vcc_lo
	v_lshlrev_b64_e32 v[6:7], 3, v[2:3]
	s_delay_alu instid0(VALU_DEP_3) | instskip(SKIP_1) | instid1(VALU_DEP_3)
	v_add_co_u32 v57, vcc_lo, v8, v4
	s_wait_alu 0xfffd
	v_add_co_ci_u32_e64 v58, null, v9, v5, vcc_lo
	v_lshlrev_b64_e32 v[14:15], 3, v[0:1]
	s_delay_alu instid0(VALU_DEP_3) | instskip(SKIP_1) | instid1(VALU_DEP_3)
	v_add_co_u32 v8, vcc_lo, v57, v6
	s_wait_alu 0xfffd
	v_add_co_ci_u32_e64 v9, null, v58, v7, vcc_lo
	s_delay_alu instid0(VALU_DEP_3)
	v_add_co_u32 v14, vcc_lo, v10, v14
	flat_load_b64 v[12:13], v[8:9]
	v_mul_f32_e32 v59, s23, v55
	s_wait_alu 0xfffd
	v_add_co_ci_u32_e64 v15, null, v11, v15, vcc_lo
	v_add_co_u32 v10, vcc_lo, v14, v6
	s_delay_alu instid0(VALU_DEP_3) | instskip(SKIP_4) | instid1(VALU_DEP_2)
	v_fma_f32 v59, v56, s22, -v59
	v_mul_f32_e32 v55, s22, v55
	s_wait_alu 0xfffd
	v_add_co_ci_u32_e64 v11, null, v15, v7, vcc_lo
	s_wait_loadcnt_dscnt 0x0
	v_dual_fmac_f32 v55, s23, v56 :: v_dual_mul_f32 v56, s35, v13
	v_mul_f32_e32 v13, s34, v13
	s_delay_alu instid0(VALU_DEP_2) | instskip(NEXT) | instid1(VALU_DEP_2)
	v_fma_f32 v56, v12, s34, -v56
	v_fmac_f32_e32 v13, s35, v12
	s_delay_alu instid0(VALU_DEP_2) | instskip(NEXT) | instid1(VALU_DEP_2)
	v_add_f32_e32 v12, v59, v56
	v_add_f32_e32 v13, v55, v13
	flat_store_b64 v[10:11], v[12:13]
	flat_load_b64 v[12:13], v[8:9] offset:128
	v_mul_f32_e32 v55, s23, v54
	v_mul_f32_e32 v54, s22, v54
	s_delay_alu instid0(VALU_DEP_1) | instskip(SKIP_4) | instid1(VALU_DEP_3)
	v_fmac_f32_e32 v54, s23, v53
	s_wait_loadcnt_dscnt 0x0
	v_mul_f32_e32 v56, s35, v13
	v_mul_f32_e32 v13, s34, v13
	v_fma_f32 v55, v53, s22, -v55
	v_fma_f32 v53, v12, s34, -v56
	s_delay_alu instid0(VALU_DEP_1) | instskip(NEXT) | instid1(VALU_DEP_1)
	v_dual_fmac_f32 v13, s35, v12 :: v_dual_add_f32 v12, v55, v53
	v_add_f32_e32 v13, v54, v13
	flat_store_b64 v[10:11], v[12:13] offset:128
	flat_load_b64 v[12:13], v[8:9] offset:256
	v_mul_f32_e32 v53, s23, v52
	v_mul_f32_e32 v52, s22, v52
	s_delay_alu instid0(VALU_DEP_1) | instskip(SKIP_4) | instid1(VALU_DEP_3)
	v_fmac_f32_e32 v52, s23, v51
	s_wait_loadcnt_dscnt 0x0
	v_mul_f32_e32 v54, s35, v13
	v_mul_f32_e32 v13, s34, v13
	v_fma_f32 v53, v51, s22, -v53
	v_fma_f32 v51, v12, s34, -v54
	s_delay_alu instid0(VALU_DEP_1) | instskip(NEXT) | instid1(VALU_DEP_1)
	v_dual_fmac_f32 v13, s35, v12 :: v_dual_add_f32 v12, v53, v51
	v_add_f32_e32 v13, v52, v13
	flat_store_b64 v[10:11], v[12:13] offset:256
	flat_load_b64 v[8:9], v[8:9] offset:384
	v_mul_f32_e32 v12, s23, v50
	s_delay_alu instid0(VALU_DEP_1) | instskip(SKIP_1) | instid1(VALU_DEP_1)
	v_fma_f32 v12, v49, s22, -v12
	v_mul_f32_e32 v13, s22, v50
	v_fmac_f32_e32 v13, s23, v49
	s_wait_loadcnt_dscnt 0x0
	v_mul_f32_e32 v50, s35, v9
	v_mul_f32_e32 v9, s34, v9
	s_delay_alu instid0(VALU_DEP_2) | instskip(SKIP_1) | instid1(VALU_DEP_3)
	v_fma_f32 v49, v8, s34, -v50
	v_add_co_u32 v50, vcc_lo, v57, s16
	v_fmac_f32_e32 v9, s35, v8
	s_wait_alu 0xfffd
	v_add_co_ci_u32_e64 v51, null, s17, v58, vcc_lo
	v_add_f32_e32 v8, v12, v49
	v_add_co_u32 v12, vcc_lo, v50, v6
	v_add_f32_e32 v9, v13, v9
	s_wait_alu 0xfffd
	v_add_co_ci_u32_e64 v13, null, v51, v7, vcc_lo
	v_add_co_u32 v14, vcc_lo, v14, s24
	flat_store_b64 v[10:11], v[8:9] offset:384
	flat_load_b64 v[8:9], v[12:13]
	v_mul_f32_e32 v10, s23, v48
	v_mul_f32_e32 v11, s22, v48
	s_wait_alu 0xfffd
	v_add_co_ci_u32_e64 v15, null, s25, v15, vcc_lo
	s_delay_alu instid0(VALU_DEP_3) | instskip(SKIP_2) | instid1(VALU_DEP_1)
	v_fma_f32 v10, v47, s22, -v10
	s_wait_loadcnt_dscnt 0x0
	v_dual_mul_f32 v48, s34, v9 :: v_dual_fmac_f32 v11, s23, v47
	v_dual_mul_f32 v47, s35, v9 :: v_dual_fmac_f32 v48, s35, v8
	s_delay_alu instid0(VALU_DEP_1) | instskip(SKIP_3) | instid1(VALU_DEP_3)
	v_fma_f32 v47, v8, s34, -v47
	v_add_co_u32 v8, vcc_lo, v14, v6
	s_wait_alu 0xfffd
	v_add_co_ci_u32_e64 v9, null, v15, v7, vcc_lo
	v_dual_add_f32 v10, v10, v47 :: v_dual_mul_f32 v47, s23, v46
	v_mul_f32_e32 v46, s22, v46
	s_delay_alu instid0(VALU_DEP_2) | instskip(NEXT) | instid1(VALU_DEP_2)
	v_fma_f32 v47, v45, s22, -v47
	v_dual_fmac_f32 v46, s23, v45 :: v_dual_add_f32 v11, v11, v48
	flat_store_b64 v[8:9], v[10:11]
	flat_load_b64 v[10:11], v[12:13] offset:128
	s_wait_loadcnt_dscnt 0x0
	v_mul_f32_e32 v48, s35, v11
	s_delay_alu instid0(VALU_DEP_1) | instskip(SKIP_1) | instid1(VALU_DEP_1)
	v_fma_f32 v45, v10, s34, -v48
	v_mul_f32_e32 v11, s34, v11
	v_dual_fmac_f32 v11, s35, v10 :: v_dual_add_f32 v10, v47, v45
	v_mul_f32_e32 v45, s23, v44
	s_delay_alu instid0(VALU_DEP_2) | instskip(NEXT) | instid1(VALU_DEP_2)
	v_dual_mul_f32 v44, s22, v44 :: v_dual_add_f32 v11, v46, v11
	v_fma_f32 v45, v43, s22, -v45
	s_delay_alu instid0(VALU_DEP_2)
	v_fmac_f32_e32 v44, s23, v43
	flat_store_b64 v[8:9], v[10:11] offset:128
	flat_load_b64 v[10:11], v[12:13] offset:256
	s_wait_loadcnt_dscnt 0x0
	v_mul_f32_e32 v46, s35, v11
	v_mul_f32_e32 v11, s34, v11
	s_delay_alu instid0(VALU_DEP_2) | instskip(NEXT) | instid1(VALU_DEP_1)
	v_fma_f32 v43, v10, s34, -v46
	v_dual_fmac_f32 v11, s35, v10 :: v_dual_add_f32 v10, v45, v43
	s_delay_alu instid0(VALU_DEP_1) | instskip(SKIP_4) | instid1(VALU_DEP_2)
	v_add_f32_e32 v11, v44, v11
	flat_store_b64 v[8:9], v[10:11] offset:256
	flat_load_b64 v[10:11], v[12:13] offset:384
	v_mul_f32_e32 v12, s23, v42
	v_mul_f32_e32 v13, s22, v42
	v_fma_f32 v12, v41, s22, -v12
	s_wait_loadcnt_dscnt 0x0
	s_delay_alu instid0(VALU_DEP_2) | instskip(SKIP_1) | instid1(VALU_DEP_2)
	v_dual_fmac_f32 v13, s23, v41 :: v_dual_mul_f32 v42, s35, v11
	v_mul_f32_e32 v11, s34, v11
	v_fma_f32 v41, v10, s34, -v42
	v_add_co_u32 v42, vcc_lo, v50, s16
	s_delay_alu instid0(VALU_DEP_3)
	v_fmac_f32_e32 v11, s35, v10
	s_wait_alu 0xfffd
	v_add_co_ci_u32_e64 v43, null, s17, v51, vcc_lo
	v_add_f32_e32 v10, v12, v41
	v_add_co_u32 v12, vcc_lo, v42, v6
	v_add_f32_e32 v11, v13, v11
	s_wait_alu 0xfffd
	v_add_co_ci_u32_e64 v13, null, v43, v7, vcc_lo
	v_add_co_u32 v14, vcc_lo, v14, s24
	flat_store_b64 v[8:9], v[10:11] offset:384
	flat_load_b64 v[8:9], v[12:13]
	v_mul_f32_e32 v10, s23, v40
	v_mul_f32_e32 v11, s22, v40
	s_wait_alu 0xfffd
	v_add_co_ci_u32_e64 v15, null, s25, v15, vcc_lo
	s_delay_alu instid0(VALU_DEP_3) | instskip(NEXT) | instid1(VALU_DEP_3)
	v_fma_f32 v10, v39, s22, -v10
	v_fmac_f32_e32 v11, s23, v39
	s_wait_loadcnt_dscnt 0x0
	v_mul_f32_e32 v39, s35, v9
	v_mul_f32_e32 v40, s34, v9
	s_delay_alu instid0(VALU_DEP_2) | instskip(NEXT) | instid1(VALU_DEP_2)
	v_fma_f32 v39, v8, s34, -v39
	v_fmac_f32_e32 v40, s35, v8
	v_add_co_u32 v8, vcc_lo, v14, v6
	s_wait_alu 0xfffd
	v_add_co_ci_u32_e64 v9, null, v15, v7, vcc_lo
	s_delay_alu instid0(VALU_DEP_3)
	v_dual_add_f32 v10, v10, v39 :: v_dual_add_f32 v11, v11, v40
	v_mul_f32_e32 v39, s23, v38
	v_mul_f32_e32 v38, s22, v38
	flat_store_b64 v[8:9], v[10:11]
	flat_load_b64 v[10:11], v[12:13] offset:128
	v_fma_f32 v39, v37, s22, -v39
	v_fmac_f32_e32 v38, s23, v37
	s_wait_loadcnt_dscnt 0x0
	v_mul_f32_e32 v40, s35, v11
	v_mul_f32_e32 v11, s34, v11
	s_delay_alu instid0(VALU_DEP_2) | instskip(NEXT) | instid1(VALU_DEP_1)
	v_fma_f32 v37, v10, s34, -v40
	v_dual_fmac_f32 v11, s35, v10 :: v_dual_add_f32 v10, v39, v37
	s_delay_alu instid0(VALU_DEP_1)
	v_add_f32_e32 v11, v38, v11
	v_mul_f32_e32 v37, s23, v36
	v_mul_f32_e32 v36, s22, v36
	flat_store_b64 v[8:9], v[10:11] offset:128
	flat_load_b64 v[10:11], v[12:13] offset:256
	v_fma_f32 v37, v35, s22, -v37
	v_fmac_f32_e32 v36, s23, v35
	s_wait_loadcnt_dscnt 0x0
	v_mul_f32_e32 v38, s35, v11
	v_mul_f32_e32 v11, s34, v11
	s_delay_alu instid0(VALU_DEP_2) | instskip(NEXT) | instid1(VALU_DEP_1)
	v_fma_f32 v35, v10, s34, -v38
	v_dual_fmac_f32 v11, s35, v10 :: v_dual_add_f32 v10, v37, v35
	s_delay_alu instid0(VALU_DEP_1) | instskip(SKIP_4) | instid1(VALU_DEP_2)
	v_add_f32_e32 v11, v36, v11
	flat_store_b64 v[8:9], v[10:11] offset:256
	flat_load_b64 v[10:11], v[12:13] offset:384
	v_mul_f32_e32 v12, s23, v34
	v_mul_f32_e32 v13, s22, v34
	v_fma_f32 v12, v33, s22, -v12
	s_wait_loadcnt_dscnt 0x0
	s_delay_alu instid0(VALU_DEP_2) | instskip(SKIP_1) | instid1(VALU_DEP_2)
	v_dual_fmac_f32 v13, s23, v33 :: v_dual_mul_f32 v34, s35, v11
	v_mul_f32_e32 v11, s34, v11
	v_fma_f32 v33, v10, s34, -v34
	v_add_co_u32 v34, vcc_lo, v42, s16
	s_delay_alu instid0(VALU_DEP_3)
	v_fmac_f32_e32 v11, s35, v10
	s_wait_alu 0xfffd
	v_add_co_ci_u32_e64 v35, null, s17, v43, vcc_lo
	v_add_f32_e32 v10, v12, v33
	v_add_co_u32 v12, vcc_lo, v34, v6
	v_add_f32_e32 v11, v13, v11
	s_wait_alu 0xfffd
	v_add_co_ci_u32_e64 v13, null, v35, v7, vcc_lo
	v_add_co_u32 v14, vcc_lo, v14, s24
	flat_store_b64 v[8:9], v[10:11] offset:384
	flat_load_b64 v[8:9], v[12:13]
	v_mul_f32_e32 v10, s23, v32
	v_mul_f32_e32 v11, s22, v32
	s_wait_alu 0xfffd
	v_add_co_ci_u32_e64 v15, null, s25, v15, vcc_lo
	v_add_co_u32 v6, vcc_lo, v14, v6
	v_fma_f32 v10, v31, s22, -v10
	v_fmac_f32_e32 v11, s23, v31
	s_wait_alu 0xfffd
	v_add_co_ci_u32_e64 v7, null, v15, v7, vcc_lo
	s_wait_loadcnt_dscnt 0x0
	v_mul_f32_e32 v31, s35, v9
	v_mul_f32_e32 v9, s34, v9
	s_delay_alu instid0(VALU_DEP_2) | instskip(NEXT) | instid1(VALU_DEP_1)
	v_fma_f32 v31, v8, s34, -v31
	v_dual_fmac_f32 v9, s35, v8 :: v_dual_add_f32 v8, v10, v31
	s_delay_alu instid0(VALU_DEP_1)
	v_dual_add_f32 v9, v11, v9 :: v_dual_mul_f32 v10, s23, v30
	v_mul_f32_e32 v11, s22, v30
	flat_store_b64 v[6:7], v[8:9]
	flat_load_b64 v[8:9], v[12:13] offset:128
	v_fma_f32 v10, v29, s22, -v10
	v_fmac_f32_e32 v11, s23, v29
	s_wait_loadcnt_dscnt 0x0
	v_mul_f32_e32 v14, s35, v9
	v_mul_f32_e32 v9, s34, v9
	s_delay_alu instid0(VALU_DEP_2) | instskip(NEXT) | instid1(VALU_DEP_1)
	v_fma_f32 v14, v8, s34, -v14
	v_dual_fmac_f32 v9, s35, v8 :: v_dual_add_f32 v8, v10, v14
	s_delay_alu instid0(VALU_DEP_1)
	v_dual_add_f32 v9, v11, v9 :: v_dual_mul_f32 v10, s23, v28
	v_mul_f32_e32 v11, s22, v28
	flat_store_b64 v[6:7], v[8:9] offset:128
	flat_load_b64 v[8:9], v[12:13] offset:256
	v_fma_f32 v10, v27, s22, -v10
	s_wait_loadcnt_dscnt 0x0
	v_dual_fmac_f32 v11, s23, v27 :: v_dual_mul_f32 v14, s35, v9
	v_mul_f32_e32 v9, s34, v9
	s_delay_alu instid0(VALU_DEP_2) | instskip(NEXT) | instid1(VALU_DEP_1)
	v_fma_f32 v14, v8, s34, -v14
	v_dual_fmac_f32 v9, s35, v8 :: v_dual_add_f32 v8, v10, v14
	s_delay_alu instid0(VALU_DEP_1)
	v_dual_add_f32 v9, v11, v9 :: v_dual_mul_f32 v10, s23, v26
	v_mul_f32_e32 v11, s22, v26
	flat_store_b64 v[6:7], v[8:9] offset:256
	flat_load_b64 v[8:9], v[12:13] offset:384
	v_fma_f32 v10, v25, s22, -v10
	v_fmac_f32_e32 v11, s23, v25
	s_wait_loadcnt_dscnt 0x0
	v_mul_f32_e32 v12, s35, v9
	v_mul_f32_e32 v9, s34, v9
	s_delay_alu instid0(VALU_DEP_2) | instskip(NEXT) | instid1(VALU_DEP_2)
	v_fma_f32 v12, v8, s34, -v12
	v_fmac_f32_e32 v9, s35, v8
	v_add_co_u32 v8, vcc_lo, 0x180, v6
	s_delay_alu instid0(VALU_DEP_3) | instskip(NEXT) | instid1(VALU_DEP_3)
	v_add_f32_e32 v10, v10, v12
	v_add_f32_e32 v12, v11, v9
	s_wait_alu 0xfffd
	v_add_co_ci_u32_e64 v9, null, 0, v7, vcc_lo
	flat_store_b32 v[6:7], v10 offset:384
	s_branch .LBB242_2
.LBB242_10:
	s_nop 0
	s_sendmsg sendmsg(MSG_DEALLOC_VGPRS)
	s_endpgm
	.section	.rodata,"a",@progbits
	.p2align	6, 0x0
	.amdhsa_kernel _ZN12_GLOBAL__N_127rocblas_gemm_batched_kernelI19rocblas_complex_numIfELi16ELi16ELi64ELi64ELi4ELi64ELi4ELi4ELi64ELc84ELc67EKPKS2_S5_KPS2_EEvlllT_PT11_llSA_llS8_PT12_llPT13_lli
		.amdhsa_group_segment_fixed_size 4096
		.amdhsa_private_segment_fixed_size 0
		.amdhsa_kernarg_size 140
		.amdhsa_user_sgpr_count 2
		.amdhsa_user_sgpr_dispatch_ptr 0
		.amdhsa_user_sgpr_queue_ptr 0
		.amdhsa_user_sgpr_kernarg_segment_ptr 1
		.amdhsa_user_sgpr_dispatch_id 0
		.amdhsa_user_sgpr_private_segment_size 0
		.amdhsa_wavefront_size32 1
		.amdhsa_uses_dynamic_stack 0
		.amdhsa_enable_private_segment 0
		.amdhsa_system_sgpr_workgroup_id_x 1
		.amdhsa_system_sgpr_workgroup_id_y 1
		.amdhsa_system_sgpr_workgroup_id_z 1
		.amdhsa_system_sgpr_workgroup_info 0
		.amdhsa_system_vgpr_workitem_id 1
		.amdhsa_next_free_vgpr 201
		.amdhsa_next_free_sgpr 40
		.amdhsa_reserve_vcc 1
		.amdhsa_float_round_mode_32 0
		.amdhsa_float_round_mode_16_64 0
		.amdhsa_float_denorm_mode_32 3
		.amdhsa_float_denorm_mode_16_64 3
		.amdhsa_fp16_overflow 0
		.amdhsa_workgroup_processor_mode 1
		.amdhsa_memory_ordered 1
		.amdhsa_forward_progress 1
		.amdhsa_inst_pref_size 44
		.amdhsa_round_robin_scheduling 0
		.amdhsa_exception_fp_ieee_invalid_op 0
		.amdhsa_exception_fp_denorm_src 0
		.amdhsa_exception_fp_ieee_div_zero 0
		.amdhsa_exception_fp_ieee_overflow 0
		.amdhsa_exception_fp_ieee_underflow 0
		.amdhsa_exception_fp_ieee_inexact 0
		.amdhsa_exception_int_div_zero 0
	.end_amdhsa_kernel
	.section	.text._ZN12_GLOBAL__N_127rocblas_gemm_batched_kernelI19rocblas_complex_numIfELi16ELi16ELi64ELi64ELi4ELi64ELi4ELi4ELi64ELc84ELc67EKPKS2_S5_KPS2_EEvlllT_PT11_llSA_llS8_PT12_llPT13_lli,"axG",@progbits,_ZN12_GLOBAL__N_127rocblas_gemm_batched_kernelI19rocblas_complex_numIfELi16ELi16ELi64ELi64ELi4ELi64ELi4ELi4ELi64ELc84ELc67EKPKS2_S5_KPS2_EEvlllT_PT11_llSA_llS8_PT12_llPT13_lli,comdat
.Lfunc_end242:
	.size	_ZN12_GLOBAL__N_127rocblas_gemm_batched_kernelI19rocblas_complex_numIfELi16ELi16ELi64ELi64ELi4ELi64ELi4ELi4ELi64ELc84ELc67EKPKS2_S5_KPS2_EEvlllT_PT11_llSA_llS8_PT12_llPT13_lli, .Lfunc_end242-_ZN12_GLOBAL__N_127rocblas_gemm_batched_kernelI19rocblas_complex_numIfELi16ELi16ELi64ELi64ELi4ELi64ELi4ELi4ELi64ELc84ELc67EKPKS2_S5_KPS2_EEvlllT_PT11_llSA_llS8_PT12_llPT13_lli
                                        ; -- End function
	.set _ZN12_GLOBAL__N_127rocblas_gemm_batched_kernelI19rocblas_complex_numIfELi16ELi16ELi64ELi64ELi4ELi64ELi4ELi4ELi64ELc84ELc67EKPKS2_S5_KPS2_EEvlllT_PT11_llSA_llS8_PT12_llPT13_lli.num_vgpr, 201
	.set _ZN12_GLOBAL__N_127rocblas_gemm_batched_kernelI19rocblas_complex_numIfELi16ELi16ELi64ELi64ELi4ELi64ELi4ELi4ELi64ELc84ELc67EKPKS2_S5_KPS2_EEvlllT_PT11_llSA_llS8_PT12_llPT13_lli.num_agpr, 0
	.set _ZN12_GLOBAL__N_127rocblas_gemm_batched_kernelI19rocblas_complex_numIfELi16ELi16ELi64ELi64ELi4ELi64ELi4ELi4ELi64ELc84ELc67EKPKS2_S5_KPS2_EEvlllT_PT11_llSA_llS8_PT12_llPT13_lli.numbered_sgpr, 40
	.set _ZN12_GLOBAL__N_127rocblas_gemm_batched_kernelI19rocblas_complex_numIfELi16ELi16ELi64ELi64ELi4ELi64ELi4ELi4ELi64ELc84ELc67EKPKS2_S5_KPS2_EEvlllT_PT11_llSA_llS8_PT12_llPT13_lli.num_named_barrier, 0
	.set _ZN12_GLOBAL__N_127rocblas_gemm_batched_kernelI19rocblas_complex_numIfELi16ELi16ELi64ELi64ELi4ELi64ELi4ELi4ELi64ELc84ELc67EKPKS2_S5_KPS2_EEvlllT_PT11_llSA_llS8_PT12_llPT13_lli.private_seg_size, 0
	.set _ZN12_GLOBAL__N_127rocblas_gemm_batched_kernelI19rocblas_complex_numIfELi16ELi16ELi64ELi64ELi4ELi64ELi4ELi4ELi64ELc84ELc67EKPKS2_S5_KPS2_EEvlllT_PT11_llSA_llS8_PT12_llPT13_lli.uses_vcc, 1
	.set _ZN12_GLOBAL__N_127rocblas_gemm_batched_kernelI19rocblas_complex_numIfELi16ELi16ELi64ELi64ELi4ELi64ELi4ELi4ELi64ELc84ELc67EKPKS2_S5_KPS2_EEvlllT_PT11_llSA_llS8_PT12_llPT13_lli.uses_flat_scratch, 1
	.set _ZN12_GLOBAL__N_127rocblas_gemm_batched_kernelI19rocblas_complex_numIfELi16ELi16ELi64ELi64ELi4ELi64ELi4ELi4ELi64ELc84ELc67EKPKS2_S5_KPS2_EEvlllT_PT11_llSA_llS8_PT12_llPT13_lli.has_dyn_sized_stack, 0
	.set _ZN12_GLOBAL__N_127rocblas_gemm_batched_kernelI19rocblas_complex_numIfELi16ELi16ELi64ELi64ELi4ELi64ELi4ELi4ELi64ELc84ELc67EKPKS2_S5_KPS2_EEvlllT_PT11_llSA_llS8_PT12_llPT13_lli.has_recursion, 0
	.set _ZN12_GLOBAL__N_127rocblas_gemm_batched_kernelI19rocblas_complex_numIfELi16ELi16ELi64ELi64ELi4ELi64ELi4ELi4ELi64ELc84ELc67EKPKS2_S5_KPS2_EEvlllT_PT11_llSA_llS8_PT12_llPT13_lli.has_indirect_call, 0
	.section	.AMDGPU.csdata,"",@progbits
; Kernel info:
; codeLenInByte = 5616
; TotalNumSgprs: 42
; NumVgprs: 201
; ScratchSize: 0
; MemoryBound: 0
; FloatMode: 240
; IeeeMode: 1
; LDSByteSize: 4096 bytes/workgroup (compile time only)
; SGPRBlocks: 0
; VGPRBlocks: 25
; NumSGPRsForWavesPerEU: 42
; NumVGPRsForWavesPerEU: 201
; Occupancy: 7
; WaveLimiterHint : 1
; COMPUTE_PGM_RSRC2:SCRATCH_EN: 0
; COMPUTE_PGM_RSRC2:USER_SGPR: 2
; COMPUTE_PGM_RSRC2:TRAP_HANDLER: 0
; COMPUTE_PGM_RSRC2:TGID_X_EN: 1
; COMPUTE_PGM_RSRC2:TGID_Y_EN: 1
; COMPUTE_PGM_RSRC2:TGID_Z_EN: 1
; COMPUTE_PGM_RSRC2:TIDIG_COMP_CNT: 1
	.section	.text._ZN12_GLOBAL__N_127rocblas_gemm_batched_kernelI19rocblas_complex_numIfELi16ELi16ELi32ELi32ELi8ELi32ELi8ELi8ELi32ELc78ELc78EKPKS2_S5_KPS2_EEvlllT_PT11_llSA_llS8_PT12_llPT13_lli,"axG",@progbits,_ZN12_GLOBAL__N_127rocblas_gemm_batched_kernelI19rocblas_complex_numIfELi16ELi16ELi32ELi32ELi8ELi32ELi8ELi8ELi32ELc78ELc78EKPKS2_S5_KPS2_EEvlllT_PT11_llSA_llS8_PT12_llPT13_lli,comdat
	.globl	_ZN12_GLOBAL__N_127rocblas_gemm_batched_kernelI19rocblas_complex_numIfELi16ELi16ELi32ELi32ELi8ELi32ELi8ELi8ELi32ELc78ELc78EKPKS2_S5_KPS2_EEvlllT_PT11_llSA_llS8_PT12_llPT13_lli ; -- Begin function _ZN12_GLOBAL__N_127rocblas_gemm_batched_kernelI19rocblas_complex_numIfELi16ELi16ELi32ELi32ELi8ELi32ELi8ELi8ELi32ELc78ELc78EKPKS2_S5_KPS2_EEvlllT_PT11_llSA_llS8_PT12_llPT13_lli
	.p2align	8
	.type	_ZN12_GLOBAL__N_127rocblas_gemm_batched_kernelI19rocblas_complex_numIfELi16ELi16ELi32ELi32ELi8ELi32ELi8ELi8ELi32ELc78ELc78EKPKS2_S5_KPS2_EEvlllT_PT11_llSA_llS8_PT12_llPT13_lli,@function
_ZN12_GLOBAL__N_127rocblas_gemm_batched_kernelI19rocblas_complex_numIfELi16ELi16ELi32ELi32ELi8ELi32ELi8ELi8ELi32ELc78ELc78EKPKS2_S5_KPS2_EEvlllT_PT11_llSA_llS8_PT12_llPT13_lli: ; @_ZN12_GLOBAL__N_127rocblas_gemm_batched_kernelI19rocblas_complex_numIfELi16ELi16ELi32ELi32ELi8ELi32ELi8ELi8ELi32ELc78ELc78EKPKS2_S5_KPS2_EEvlllT_PT11_llSA_llS8_PT12_llPT13_lli
; %bb.0:
	s_load_b32 s33, s[0:1], 0x88
	s_lshr_b32 s34, ttmp7, 16
	s_wait_kmcnt 0x0
	s_cmp_ge_i32 s34, s33
	s_cbranch_scc1 .LBB243_10
; %bb.1:
	s_load_b256 s[12:19], s[0:1], 0x58
	v_bfe_u32 v1, v0, 10, 10
	s_clause 0x4
	s_load_b128 s[20:23], s[0:1], 0x10
	s_load_b256 s[4:11], s[0:1], 0x20
	s_load_b128 s[28:31], s[0:1], 0x40
	s_load_b64 s[36:37], s[0:1], 0x50
	s_load_b128 s[24:27], s[0:1], 0x78
	s_lshl_b32 s0, ttmp7, 5
	v_dual_mov_b32 v14, 0 :: v_dual_and_b32 v13, 0x3ff, v0
	s_and_b32 s35, s0, 0x1fffe0
	s_mov_b32 s2, ttmp9
	v_add_nc_u32_e32 v11, s35, v1
	s_delay_alu instid0(VALU_DEP_2)
	v_lshl_add_u32 v2, v1, 4, v13
	s_ashr_i32 s3, ttmp9, 31
	v_lshl_add_u32 v18, v1, 6, 0x800
	s_lshl_b64 s[0:1], s[2:3], 5
	v_lshlrev_b32_e32 v17, 3, v13
	v_lshrrev_b32_e32 v3, 3, v2
	v_and_b32_e32 v19, 31, v2
	v_lshrrev_b32_e32 v10, 5, v2
	s_delay_alu instid0(VALU_DEP_3)
	v_add_nc_u32_e32 v12, s35, v3
	s_wait_kmcnt 0x0
	v_mad_co_u64_u32 v[4:5], null, v11, s14, 0
	v_lshlrev_b32_e32 v0, 3, v0
	s_or_b32 s2, s36, s37
	v_mad_co_u64_u32 v[6:7], null, s28, v12, 0
	s_bitset0_b32 s2, 31
	v_and_b32_e32 v21, 56, v0
	v_lshlrev_b32_e32 v0, 3, v19
	s_cmp_eq_u32 s2, 0
	s_mov_b32 s35, 0
	s_cselect_b32 s28, -1, 0
	v_lshl_or_b32 v2, v3, 6, v21
	s_lshl_b64 s[2:3], s[24:25], 4
	s_delay_alu instid0(VALU_DEP_1) | instskip(SKIP_1) | instid1(VALU_DEP_1)
	v_add_nc_u32_e32 v16, 0x800, v2
	v_mad_co_u64_u32 v[2:3], null, v11, s24, 0
	v_mad_co_u64_u32 v[8:9], null, v11, s25, v[3:4]
	v_mov_b32_e32 v3, v5
	v_mov_b32_e32 v5, v7
	v_lshl_or_b32 v15, v10, 8, v0
	v_mad_co_u64_u32 v[0:1], null, s6, v10, s[0:1]
	s_lshl_b64 s[24:25], s[14:15], 4
	v_mad_co_u64_u32 v[9:10], null, s7, v10, v[1:2]
	v_mad_co_u64_u32 v[10:11], null, v11, s15, v[3:4]
	v_mov_b32_e32 v3, v8
	v_mad_co_u64_u32 v[11:12], null, s29, v12, v[5:6]
	v_add_co_u32 v0, vcc_lo, v0, v19
	s_delay_alu instid0(VALU_DEP_1) | instskip(SKIP_1) | instid1(VALU_DEP_4)
	v_add_co_ci_u32_e64 v1, null, 0, v9, vcc_lo
	v_add_co_u32 v12, s0, s0, v13
	v_mov_b32_e32 v7, v11
	s_delay_alu instid0(VALU_DEP_3)
	v_lshlrev_b64_e32 v[0:1], 3, v[0:1]
	s_wait_alu 0xf1ff
	v_add_co_ci_u32_e64 v13, null, s1, 0, s0
	s_lshl_b64 s[0:1], s[8:9], 3
	v_lshlrev_b64_e32 v[6:7], 3, v[6:7]
	v_mov_b32_e32 v5, v10
	s_wait_alu 0xfffe
	v_add_co_u32 v19, vcc_lo, s0, v0
	s_wait_alu 0xfffd
	v_add_co_ci_u32_e64 v20, null, s1, v1, vcc_lo
	s_lshl_b64 s[0:1], s[30:31], 3
	v_lshlrev_b64_e32 v[2:3], 3, v[2:3]
	s_wait_alu 0xfffe
	v_add_co_u32 v0, vcc_lo, v6, s0
	v_cmp_gt_i64_e64 s0, s[20:21], 0
	s_wait_alu 0xfffd
	v_add_co_ci_u32_e64 v1, null, s1, v7, vcc_lo
	s_delay_alu instid0(VALU_DEP_3)
	v_add_co_u32 v21, vcc_lo, v0, v21
	s_lshl_b64 s[6:7], s[6:7], 6
	v_cndmask_b32_e64 v6, 0, 1, s0
	s_wait_alu 0xfffd
	v_add_co_ci_u32_e64 v22, null, 0, v1, vcc_lo
	v_lshlrev_b64_e32 v[0:1], 3, v[4:5]
	v_lshlrev_b64_e32 v[4:5], 3, v[12:13]
	v_cmp_ne_u32_e64 s0, 1, v6
	v_cndmask_b32_e64 v6, 0, 1, s28
	s_lshl_b64 s[8:9], s[26:27], 3
	s_lshl_b64 s[14:15], s[16:17], 3
	;; [unrolled: 1-line block ×4, first 2 shown]
	v_cmp_ne_u32_e64 s1, 1, v6
	s_branch .LBB243_3
.LBB243_2:                              ;   in Loop: Header=BB243_3 Depth=1
	s_add_co_i32 s34, s34, 0x10000
	flat_store_b32 v[8:9], v12 offset:4
	s_wait_alu 0xfffe
	s_cmp_lt_i32 s34, s33
	s_cbranch_scc0 .LBB243_10
.LBB243_3:                              ; =>This Loop Header: Depth=1
                                        ;     Child Loop BB243_5 Depth 2
	s_lshl_b64 s[2:3], s[34:35], 3
	v_dual_mov_b32 v29, 0 :: v_dual_mov_b32 v30, 0
	s_wait_alu 0xfffe
	s_add_nc_u64 s[26:27], s[12:13], s[2:3]
	s_add_nc_u64 s[28:29], s[18:19], s[2:3]
	s_clause 0x1
	global_load_b64 v[6:7], v14, s[26:27]
	global_load_b64 v[8:9], v14, s[28:29]
	v_dual_mov_b32 v27, 0 :: v_dual_mov_b32 v28, 0
	v_dual_mov_b32 v25, 0 :: v_dual_mov_b32 v26, 0
	;; [unrolled: 1-line block ×3, first 2 shown]
	s_and_b32 vcc_lo, exec_lo, s0
	s_wait_alu 0xfffe
	s_cbranch_vccnz .LBB243_6
; %bb.4:                                ;   in Loop: Header=BB243_3 Depth=1
	s_add_nc_u64 s[26:27], s[4:5], s[2:3]
	s_add_nc_u64 s[2:3], s[10:11], s[2:3]
	s_clause 0x1
	global_load_b64 v[10:11], v14, s[26:27]
	global_load_b64 v[12:13], v14, s[2:3]
	v_dual_mov_b32 v24, 0 :: v_dual_mov_b32 v23, 0
	v_dual_mov_b32 v26, 0 :: v_dual_mov_b32 v25, 0
	;; [unrolled: 1-line block ×4, first 2 shown]
	s_mov_b64 s[26:27], 0
	s_wait_loadcnt 0x1
	v_add_co_u32 v10, vcc_lo, v10, v19
	s_wait_alu 0xfffd
	v_add_co_ci_u32_e64 v11, null, v11, v20, vcc_lo
	s_wait_loadcnt 0x0
	v_add_co_u32 v12, vcc_lo, v12, v21
	s_wait_alu 0xfffd
	v_add_co_ci_u32_e64 v13, null, v13, v22, vcc_lo
.LBB243_5:                              ;   Parent Loop BB243_3 Depth=1
                                        ; =>  This Inner Loop Header: Depth=2
	flat_load_b64 v[31:32], v[10:11]
	s_wait_alu 0xfffe
	s_add_nc_u64 s[26:27], s[26:27], 8
	v_add_co_u32 v10, vcc_lo, v10, s6
	s_wait_alu 0xfffe
	v_cmp_lt_i64_e64 s2, s[26:27], s[20:21]
	s_wait_alu 0xfffd
	v_add_co_ci_u32_e64 v11, null, s7, v11, vcc_lo
	s_and_b32 vcc_lo, exec_lo, s2
	s_wait_loadcnt_dscnt 0x0
	ds_store_b64 v15, v[31:32]
	flat_load_b64 v[31:32], v[12:13]
	v_add_co_u32 v12, s2, v12, 64
	s_wait_alu 0xf1ff
	v_add_co_ci_u32_e64 v13, null, 0, v13, s2
	s_wait_loadcnt_dscnt 0x0
	ds_store_b64 v16, v[31:32]
	s_wait_dscnt 0x0
	s_barrier_signal -1
	s_barrier_wait -1
	global_inv scope:SCOPE_SE
	ds_load_2addr_b64 v[31:34], v17 offset1:16
	ds_load_b128 v[35:38], v18
	ds_load_b128 v[39:42], v18 offset:1024
	ds_load_2addr_b64 v[43:46], v17 offset0:32 offset1:48
	ds_load_b128 v[47:50], v18 offset:16
	ds_load_b128 v[51:54], v18 offset:32
	;; [unrolled: 1-line block ×3, first 2 shown]
	ds_load_2addr_b64 v[59:62], v17 offset0:64 offset1:80
	ds_load_b128 v[63:66], v18 offset:1040
	ds_load_2addr_b64 v[67:70], v17 offset0:96 offset1:112
	ds_load_2addr_b64 v[71:74], v17 offset0:128 offset1:144
	ds_load_2addr_b64 v[75:78], v17 offset0:160 offset1:176
	ds_load_2addr_b64 v[79:82], v17 offset0:192 offset1:208
	ds_load_b128 v[83:86], v18 offset:1056
	ds_load_b128 v[87:90], v18 offset:1072
	ds_load_2addr_b64 v[91:94], v17 offset0:224 offset1:240
	s_wait_loadcnt_dscnt 0x0
	s_barrier_signal -1
	s_barrier_wait -1
	global_inv scope:SCOPE_SE
	v_dual_mul_f32 v95, v36, v32 :: v_dual_mul_f32 v98, v35, v34
	v_dual_mul_f32 v96, v35, v32 :: v_dual_mul_f32 v97, v36, v34
	v_mul_f32_e32 v99, v40, v32
	v_dual_mul_f32 v32, v39, v32 :: v_dual_mul_f32 v103, v38, v46
	v_dual_mul_f32 v100, v40, v34 :: v_dual_mul_f32 v101, v38, v44
	v_mul_f32_e32 v34, v39, v34
	v_dual_mul_f32 v102, v37, v44 :: v_dual_mul_f32 v109, v48, v62
	v_dual_mul_f32 v104, v37, v46 :: v_dual_mul_f32 v105, v42, v44
	;; [unrolled: 1-line block ×7, first 2 shown]
	v_mul_f32_e32 v60, v63, v60
	v_dual_mul_f32 v112, v64, v62 :: v_dual_mul_f32 v117, v66, v68
	v_fma_f32 v95, v35, v31, -v95
	v_fmac_f32_e32 v96, v36, v31
	v_fma_f32 v35, v35, v33, -v97
	v_fmac_f32_e32 v98, v36, v33
	v_fma_f32 v36, v39, v31, -v99
	v_dual_mul_f32 v62, v63, v62 :: v_dual_mul_f32 v119, v52, v72
	v_mul_f32_e32 v116, v49, v70
	v_mul_f32_e32 v118, v66, v70
	;; [unrolled: 1-line block ×3, first 2 shown]
	v_dual_mul_f32 v122, v51, v74 :: v_dual_mul_f32 v97, v53, v76
	v_fmac_f32_e32 v32, v40, v31
	v_fma_f32 v31, v39, v33, -v100
	v_fmac_f32_e32 v34, v40, v33
	v_mul_f32_e32 v33, v84, v72
	v_dual_mul_f32 v39, v83, v72 :: v_dual_mul_f32 v40, v84, v74
	v_dual_fmac_f32 v97, v54, v75 :: v_dual_mul_f32 v72, v83, v74
	v_fma_f32 v74, v37, v43, -v101
	v_dual_fmac_f32 v102, v38, v43 :: v_dual_add_f32 v25, v25, v36
	v_fma_f32 v37, v37, v45, -v103
	v_mul_f32_e32 v99, v54, v78
	v_fma_f32 v101, v41, v43, -v105
	v_fma_f32 v107, v47, v59, -v107
	v_fmac_f32_e32 v108, v48, v59
	v_dual_fmac_f32 v110, v48, v61 :: v_dual_add_f32 v29, v29, v95
	v_fmac_f32_e32 v44, v42, v43
	v_fma_f32 v48, v63, v59, -v111
	v_dual_fmac_f32 v60, v64, v59 :: v_dual_add_f32 v25, v25, v101
	v_fma_f32 v59, v63, v61, -v112
	v_dual_mul_f32 v63, v87, v80 :: v_dual_fmac_f32 v46, v42, v45
	v_dual_mul_f32 v42, v86, v76 :: v_dual_add_f32 v27, v27, v35
	v_fma_f32 v41, v41, v45, -v106
	v_fma_f32 v47, v47, v61, -v109
	v_dual_fmac_f32 v62, v64, v61 :: v_dual_add_f32 v23, v23, v31
	v_add_f32_e32 v29, v29, v74
	v_dual_add_f32 v27, v27, v37 :: v_dual_mul_f32 v114, v49, v68
	v_dual_mul_f32 v68, v65, v68 :: v_dual_mul_f32 v105, v56, v82
	v_dual_mul_f32 v70, v65, v70 :: v_dual_mul_f32 v103, v55, v80
	v_dual_fmac_f32 v104, v38, v45 :: v_dual_fmac_f32 v39, v84, v71
	v_mul_f32_e32 v38, v54, v76
	v_mul_f32_e32 v43, v85, v76
	v_mul_f32_e32 v100, v53, v78
	v_mul_f32_e32 v45, v86, v78
	v_dual_mul_f32 v106, v55, v82 :: v_dual_mul_f32 v61, v88, v80
	v_dual_mul_f32 v64, v88, v82 :: v_dual_add_f32 v23, v23, v41
	v_dual_fmac_f32 v116, v50, v69 :: v_dual_add_f32 v27, v27, v47
	v_mul_f32_e32 v109, v57, v92
	v_mul_f32_e32 v76, v85, v78
	v_mul_f32_e32 v78, v56, v80
	v_dual_mul_f32 v80, v87, v82 :: v_dual_add_f32 v29, v29, v107
	v_fma_f32 v82, v49, v67, -v113
	v_fma_f32 v49, v49, v69, -v115
	v_dual_fmac_f32 v114, v50, v67 :: v_dual_add_f32 v25, v25, v48
	v_dual_mul_f32 v50, v58, v92 :: v_dual_add_f32 v23, v23, v59
	v_mul_f32_e32 v111, v58, v94
	s_delay_alu instid0(VALU_DEP_4) | instskip(SKIP_4) | instid1(VALU_DEP_4)
	v_dual_mul_f32 v112, v57, v94 :: v_dual_add_f32 v27, v27, v49
	v_fma_f32 v113, v65, v67, -v117
	v_dual_fmac_f32 v68, v66, v67 :: v_dual_add_f32 v29, v29, v82
	v_fma_f32 v65, v65, v69, -v118
	v_fmac_f32_e32 v70, v66, v69
	v_dual_mul_f32 v66, v90, v92 :: v_dual_add_f32 v25, v25, v113
	v_mul_f32_e32 v67, v89, v92
	v_mul_f32_e32 v69, v90, v94
	v_dual_mul_f32 v92, v89, v94 :: v_dual_add_f32 v23, v23, v65
	v_fma_f32 v94, v51, v71, -v119
	v_fma_f32 v51, v51, v73, -v121
	v_fmac_f32_e32 v122, v52, v73
	v_fma_f32 v33, v83, v71, -v33
	v_fmac_f32_e32 v120, v52, v71
	v_fma_f32 v40, v83, v73, -v40
	v_fma_f32 v52, v53, v77, -v99
	v_fmac_f32_e32 v103, v56, v79
	v_fma_f32 v38, v53, v75, -v38
	v_add_f32_e32 v29, v29, v94
	v_dual_add_f32 v27, v27, v51 :: v_dual_fmac_f32 v72, v84, v73
	v_add_f32_e32 v23, v23, v40
	v_fma_f32 v42, v85, v75, -v42
	v_fmac_f32_e32 v43, v86, v75
	v_dual_fmac_f32 v100, v54, v77 :: v_dual_add_f32 v29, v29, v38
	v_fma_f32 v45, v85, v77, -v45
	v_fma_f32 v53, v55, v79, -v78
	;; [unrolled: 1-line block ×3, first 2 shown]
	v_fmac_f32_e32 v109, v58, v91
	v_dual_fmac_f32 v76, v86, v77 :: v_dual_add_f32 v27, v27, v52
	v_add_f32_e32 v25, v25, v33
	v_fma_f32 v55, v87, v79, -v61
	v_fmac_f32_e32 v80, v88, v81
	v_fma_f32 v50, v57, v91, -v50
	v_fma_f32 v57, v57, v93, -v111
	v_dual_fmac_f32 v67, v90, v91 :: v_dual_fmac_f32 v106, v56, v81
	v_add_f32_e32 v25, v25, v42
	v_fma_f32 v56, v87, v81, -v64
	v_dual_add_f32 v30, v30, v96 :: v_dual_add_f32 v23, v23, v45
	v_dual_add_f32 v28, v28, v98 :: v_dual_add_f32 v29, v29, v53
	;; [unrolled: 1-line block ×3, first 2 shown]
	v_add_f32_e32 v24, v24, v34
	v_dual_fmac_f32 v63, v88, v79 :: v_dual_fmac_f32 v112, v58, v93
	v_add_f32_e32 v25, v25, v55
	v_fma_f32 v58, v89, v91, -v66
	v_fma_f32 v61, v89, v93, -v69
	v_dual_fmac_f32 v92, v90, v93 :: v_dual_add_f32 v23, v23, v56
	v_add_f32_e32 v30, v30, v102
	s_delay_alu instid0(VALU_DEP_4) | instskip(SKIP_2) | instid1(VALU_DEP_3)
	v_dual_add_f32 v28, v28, v104 :: v_dual_add_f32 v25, v25, v58
	v_dual_add_f32 v29, v29, v50 :: v_dual_add_f32 v26, v26, v44
	;; [unrolled: 1-line block ×4, first 2 shown]
	v_add_f32_e32 v30, v30, v108
	s_delay_alu instid0(VALU_DEP_4) | instskip(NEXT) | instid1(VALU_DEP_4)
	v_add_f32_e32 v26, v26, v60
	v_add_f32_e32 v24, v24, v62
	s_delay_alu instid0(VALU_DEP_4) | instskip(NEXT) | instid1(VALU_DEP_4)
	v_add_f32_e32 v28, v28, v116
	;; [unrolled: 3-line block ×11, first 2 shown]
	v_add_f32_e32 v24, v24, v92
	s_wait_alu 0xfffe
	s_cbranch_vccnz .LBB243_5
.LBB243_6:                              ;   in Loop: Header=BB243_3 Depth=1
	s_wait_loadcnt 0x0
	v_add_co_u32 v10, vcc_lo, v8, s8
	s_wait_alu 0xfffd
	v_add_co_ci_u32_e64 v11, null, s9, v9, vcc_lo
	s_and_b32 vcc_lo, exec_lo, s1
	s_mov_b32 s2, -1
                                        ; implicit-def: $vgpr12
                                        ; implicit-def: $vgpr8_vgpr9
	s_wait_alu 0xfffe
	s_cbranch_vccz .LBB243_8
; %bb.7:                                ;   in Loop: Header=BB243_3 Depth=1
	s_and_not1_b32 vcc_lo, exec_lo, s2
	s_wait_alu 0xfffe
	s_cbranch_vccnz .LBB243_2
	s_branch .LBB243_9
.LBB243_8:                              ;   in Loop: Header=BB243_3 Depth=1
	v_mul_f32_e32 v8, s23, v30
	v_add_co_u32 v9, vcc_lo, v10, v2
	s_wait_alu 0xfffd
	v_add_co_ci_u32_e64 v12, null, v11, v3, vcc_lo
	s_delay_alu instid0(VALU_DEP_3) | instskip(SKIP_4) | instid1(VALU_DEP_3)
	v_fma_f32 v31, v29, s22, -v8
	v_mul_f32_e32 v8, s23, v28
	v_add_co_u32 v35, vcc_lo, v9, v4
	s_wait_alu 0xfffd
	v_add_co_ci_u32_e64 v36, null, v12, v5, vcc_lo
	v_fma_f32 v33, v27, s22, -v8
	v_mul_f32_e32 v8, s23, v26
	v_add_co_u32 v9, vcc_lo, v9, s24
	s_wait_alu 0xfffd
	v_add_co_ci_u32_e64 v13, null, s25, v12, vcc_lo
	s_delay_alu instid0(VALU_DEP_3)
	v_fma_f32 v37, v25, s22, -v8
	v_mul_f32_e32 v8, s23, v24
	v_add_co_u32 v39, vcc_lo, v9, v4
	v_mul_f32_e32 v32, s22, v30
	v_mul_f32_e32 v38, s22, v26
	;; [unrolled: 1-line block ×3, first 2 shown]
	s_wait_alu 0xfffd
	v_add_co_ci_u32_e64 v40, null, v13, v5, vcc_lo
	v_mul_f32_e32 v34, s22, v28
	v_fma_f32 v13, v23, s22, -v8
	v_add_co_u32 v8, vcc_lo, 0x80, v39
	v_fmac_f32_e32 v32, s23, v29
	v_fmac_f32_e32 v38, s23, v25
	;; [unrolled: 1-line block ×3, first 2 shown]
	s_wait_alu 0xfffd
	v_add_co_ci_u32_e64 v9, null, 0, v40, vcc_lo
	v_fmac_f32_e32 v34, s23, v27
	s_clause 0x3
	flat_store_b64 v[35:36], v[31:32]
	flat_store_b64 v[35:36], v[33:34] offset:128
	flat_store_b64 v[39:40], v[37:38]
	flat_store_b32 v[39:40], v13 offset:128
	s_cbranch_execnz .LBB243_2
.LBB243_9:                              ;   in Loop: Header=BB243_3 Depth=1
	v_add_co_u32 v6, vcc_lo, v6, s14
	s_wait_alu 0xfffd
	v_add_co_ci_u32_e64 v7, null, s15, v7, vcc_lo
	s_delay_alu instid0(VALU_DEP_2) | instskip(SKIP_1) | instid1(VALU_DEP_2)
	v_add_co_u32 v12, vcc_lo, v6, v0
	s_wait_alu 0xfffd
	v_add_co_ci_u32_e64 v13, null, v7, v1, vcc_lo
	s_delay_alu instid0(VALU_DEP_2) | instskip(SKIP_1) | instid1(VALU_DEP_2)
	v_add_co_u32 v6, vcc_lo, v12, v4
	s_wait_alu 0xfffd
	v_add_co_ci_u32_e64 v7, null, v13, v5, vcc_lo
	v_add_co_u32 v34, vcc_lo, v10, v2
	s_wait_alu 0xfffd
	v_add_co_ci_u32_e64 v35, null, v11, v3, vcc_lo
	flat_load_b64 v[8:9], v[6:7]
	v_mul_f32_e32 v31, s23, v30
	s_wait_loadcnt_dscnt 0x0
	v_dual_mul_f32 v30, s22, v30 :: v_dual_mul_f32 v33, s36, v9
	v_mul_f32_e32 v32, s37, v9
	s_delay_alu instid0(VALU_DEP_3) | instskip(NEXT) | instid1(VALU_DEP_3)
	v_fma_f32 v10, v29, s22, -v31
	v_dual_fmac_f32 v30, s23, v29 :: v_dual_fmac_f32 v33, s37, v8
	s_delay_alu instid0(VALU_DEP_3) | instskip(SKIP_3) | instid1(VALU_DEP_3)
	v_fma_f32 v11, v8, s36, -v32
	v_add_co_u32 v8, vcc_lo, v34, v4
	s_wait_alu 0xfffd
	v_add_co_ci_u32_e64 v9, null, v35, v5, vcc_lo
	v_add_f32_e32 v10, v10, v11
	v_add_f32_e32 v11, v30, v33
	v_add_co_u32 v12, vcc_lo, v12, s16
	s_wait_alu 0xfffd
	v_add_co_ci_u32_e64 v13, null, s17, v13, vcc_lo
	flat_store_b64 v[8:9], v[10:11]
	flat_load_b64 v[6:7], v[6:7] offset:128
	v_mul_f32_e32 v10, s23, v28
	v_mul_f32_e32 v11, s22, v28
	s_delay_alu instid0(VALU_DEP_2) | instskip(NEXT) | instid1(VALU_DEP_2)
	v_fma_f32 v10, v27, s22, -v10
	v_fmac_f32_e32 v11, s23, v27
	s_wait_loadcnt_dscnt 0x0
	v_mul_f32_e32 v28, s37, v7
	v_mul_f32_e32 v7, s36, v7
	s_delay_alu instid0(VALU_DEP_1) | instskip(NEXT) | instid1(VALU_DEP_3)
	v_fmac_f32_e32 v7, s37, v6
	v_fma_f32 v27, v6, s36, -v28
	s_delay_alu instid0(VALU_DEP_2) | instskip(NEXT) | instid1(VALU_DEP_2)
	v_add_f32_e32 v7, v11, v7
	v_add_f32_e32 v6, v10, v27
	v_add_co_u32 v10, vcc_lo, v12, v4
	s_wait_alu 0xfffd
	v_add_co_ci_u32_e64 v11, null, v13, v5, vcc_lo
	flat_store_b64 v[8:9], v[6:7] offset:128
	v_mul_f32_e32 v8, s23, v26
	v_mul_f32_e32 v9, s22, v26
	flat_load_b64 v[6:7], v[10:11]
	v_fma_f32 v8, v25, s22, -v8
	s_wait_loadcnt_dscnt 0x0
	v_dual_fmac_f32 v9, s23, v25 :: v_dual_mul_f32 v12, s37, v7
	v_mul_f32_e32 v13, s36, v7
	v_add_co_u32 v7, vcc_lo, v34, s24
	s_wait_alu 0xfffd
	v_add_co_ci_u32_e64 v26, null, s25, v35, vcc_lo
	v_fma_f32 v12, v6, s36, -v12
	v_fmac_f32_e32 v13, s37, v6
	v_add_co_u32 v6, vcc_lo, v7, v4
	s_wait_alu 0xfffd
	v_add_co_ci_u32_e64 v7, null, v26, v5, vcc_lo
	s_delay_alu instid0(VALU_DEP_3) | instskip(SKIP_4) | instid1(VALU_DEP_2)
	v_dual_add_f32 v8, v8, v12 :: v_dual_add_f32 v9, v9, v13
	flat_store_b64 v[6:7], v[8:9]
	flat_load_b64 v[8:9], v[10:11] offset:128
	v_mul_f32_e32 v10, s23, v24
	v_mul_f32_e32 v11, s22, v24
	v_fma_f32 v10, v23, s22, -v10
	s_wait_loadcnt_dscnt 0x0
	s_delay_alu instid0(VALU_DEP_2) | instskip(SKIP_1) | instid1(VALU_DEP_2)
	v_dual_fmac_f32 v11, s23, v23 :: v_dual_mul_f32 v12, s37, v9
	v_mul_f32_e32 v9, s36, v9
	v_fma_f32 v12, v8, s36, -v12
	s_delay_alu instid0(VALU_DEP_2) | instskip(SKIP_1) | instid1(VALU_DEP_3)
	v_fmac_f32_e32 v9, s37, v8
	v_add_co_u32 v8, vcc_lo, 0x80, v6
	v_add_f32_e32 v10, v10, v12
	s_delay_alu instid0(VALU_DEP_3)
	v_add_f32_e32 v12, v11, v9
	s_wait_alu 0xfffd
	v_add_co_ci_u32_e64 v9, null, 0, v7, vcc_lo
	flat_store_b32 v[6:7], v10 offset:128
	s_branch .LBB243_2
.LBB243_10:
	s_nop 0
	s_sendmsg sendmsg(MSG_DEALLOC_VGPRS)
	s_endpgm
	.section	.rodata,"a",@progbits
	.p2align	6, 0x0
	.amdhsa_kernel _ZN12_GLOBAL__N_127rocblas_gemm_batched_kernelI19rocblas_complex_numIfELi16ELi16ELi32ELi32ELi8ELi32ELi8ELi8ELi32ELc78ELc78EKPKS2_S5_KPS2_EEvlllT_PT11_llSA_llS8_PT12_llPT13_lli
		.amdhsa_group_segment_fixed_size 4096
		.amdhsa_private_segment_fixed_size 0
		.amdhsa_kernarg_size 140
		.amdhsa_user_sgpr_count 2
		.amdhsa_user_sgpr_dispatch_ptr 0
		.amdhsa_user_sgpr_queue_ptr 0
		.amdhsa_user_sgpr_kernarg_segment_ptr 1
		.amdhsa_user_sgpr_dispatch_id 0
		.amdhsa_user_sgpr_private_segment_size 0
		.amdhsa_wavefront_size32 1
		.amdhsa_uses_dynamic_stack 0
		.amdhsa_enable_private_segment 0
		.amdhsa_system_sgpr_workgroup_id_x 1
		.amdhsa_system_sgpr_workgroup_id_y 1
		.amdhsa_system_sgpr_workgroup_id_z 1
		.amdhsa_system_sgpr_workgroup_info 0
		.amdhsa_system_vgpr_workitem_id 1
		.amdhsa_next_free_vgpr 123
		.amdhsa_next_free_sgpr 38
		.amdhsa_reserve_vcc 1
		.amdhsa_float_round_mode_32 0
		.amdhsa_float_round_mode_16_64 0
		.amdhsa_float_denorm_mode_32 3
		.amdhsa_float_denorm_mode_16_64 3
		.amdhsa_fp16_overflow 0
		.amdhsa_workgroup_processor_mode 1
		.amdhsa_memory_ordered 1
		.amdhsa_forward_progress 1
		.amdhsa_inst_pref_size 23
		.amdhsa_round_robin_scheduling 0
		.amdhsa_exception_fp_ieee_invalid_op 0
		.amdhsa_exception_fp_denorm_src 0
		.amdhsa_exception_fp_ieee_div_zero 0
		.amdhsa_exception_fp_ieee_overflow 0
		.amdhsa_exception_fp_ieee_underflow 0
		.amdhsa_exception_fp_ieee_inexact 0
		.amdhsa_exception_int_div_zero 0
	.end_amdhsa_kernel
	.section	.text._ZN12_GLOBAL__N_127rocblas_gemm_batched_kernelI19rocblas_complex_numIfELi16ELi16ELi32ELi32ELi8ELi32ELi8ELi8ELi32ELc78ELc78EKPKS2_S5_KPS2_EEvlllT_PT11_llSA_llS8_PT12_llPT13_lli,"axG",@progbits,_ZN12_GLOBAL__N_127rocblas_gemm_batched_kernelI19rocblas_complex_numIfELi16ELi16ELi32ELi32ELi8ELi32ELi8ELi8ELi32ELc78ELc78EKPKS2_S5_KPS2_EEvlllT_PT11_llSA_llS8_PT12_llPT13_lli,comdat
.Lfunc_end243:
	.size	_ZN12_GLOBAL__N_127rocblas_gemm_batched_kernelI19rocblas_complex_numIfELi16ELi16ELi32ELi32ELi8ELi32ELi8ELi8ELi32ELc78ELc78EKPKS2_S5_KPS2_EEvlllT_PT11_llSA_llS8_PT12_llPT13_lli, .Lfunc_end243-_ZN12_GLOBAL__N_127rocblas_gemm_batched_kernelI19rocblas_complex_numIfELi16ELi16ELi32ELi32ELi8ELi32ELi8ELi8ELi32ELc78ELc78EKPKS2_S5_KPS2_EEvlllT_PT11_llSA_llS8_PT12_llPT13_lli
                                        ; -- End function
	.set _ZN12_GLOBAL__N_127rocblas_gemm_batched_kernelI19rocblas_complex_numIfELi16ELi16ELi32ELi32ELi8ELi32ELi8ELi8ELi32ELc78ELc78EKPKS2_S5_KPS2_EEvlllT_PT11_llSA_llS8_PT12_llPT13_lli.num_vgpr, 123
	.set _ZN12_GLOBAL__N_127rocblas_gemm_batched_kernelI19rocblas_complex_numIfELi16ELi16ELi32ELi32ELi8ELi32ELi8ELi8ELi32ELc78ELc78EKPKS2_S5_KPS2_EEvlllT_PT11_llSA_llS8_PT12_llPT13_lli.num_agpr, 0
	.set _ZN12_GLOBAL__N_127rocblas_gemm_batched_kernelI19rocblas_complex_numIfELi16ELi16ELi32ELi32ELi8ELi32ELi8ELi8ELi32ELc78ELc78EKPKS2_S5_KPS2_EEvlllT_PT11_llSA_llS8_PT12_llPT13_lli.numbered_sgpr, 38
	.set _ZN12_GLOBAL__N_127rocblas_gemm_batched_kernelI19rocblas_complex_numIfELi16ELi16ELi32ELi32ELi8ELi32ELi8ELi8ELi32ELc78ELc78EKPKS2_S5_KPS2_EEvlllT_PT11_llSA_llS8_PT12_llPT13_lli.num_named_barrier, 0
	.set _ZN12_GLOBAL__N_127rocblas_gemm_batched_kernelI19rocblas_complex_numIfELi16ELi16ELi32ELi32ELi8ELi32ELi8ELi8ELi32ELc78ELc78EKPKS2_S5_KPS2_EEvlllT_PT11_llSA_llS8_PT12_llPT13_lli.private_seg_size, 0
	.set _ZN12_GLOBAL__N_127rocblas_gemm_batched_kernelI19rocblas_complex_numIfELi16ELi16ELi32ELi32ELi8ELi32ELi8ELi8ELi32ELc78ELc78EKPKS2_S5_KPS2_EEvlllT_PT11_llSA_llS8_PT12_llPT13_lli.uses_vcc, 1
	.set _ZN12_GLOBAL__N_127rocblas_gemm_batched_kernelI19rocblas_complex_numIfELi16ELi16ELi32ELi32ELi8ELi32ELi8ELi8ELi32ELc78ELc78EKPKS2_S5_KPS2_EEvlllT_PT11_llSA_llS8_PT12_llPT13_lli.uses_flat_scratch, 1
	.set _ZN12_GLOBAL__N_127rocblas_gemm_batched_kernelI19rocblas_complex_numIfELi16ELi16ELi32ELi32ELi8ELi32ELi8ELi8ELi32ELc78ELc78EKPKS2_S5_KPS2_EEvlllT_PT11_llSA_llS8_PT12_llPT13_lli.has_dyn_sized_stack, 0
	.set _ZN12_GLOBAL__N_127rocblas_gemm_batched_kernelI19rocblas_complex_numIfELi16ELi16ELi32ELi32ELi8ELi32ELi8ELi8ELi32ELc78ELc78EKPKS2_S5_KPS2_EEvlllT_PT11_llSA_llS8_PT12_llPT13_lli.has_recursion, 0
	.set _ZN12_GLOBAL__N_127rocblas_gemm_batched_kernelI19rocblas_complex_numIfELi16ELi16ELi32ELi32ELi8ELi32ELi8ELi8ELi32ELc78ELc78EKPKS2_S5_KPS2_EEvlllT_PT11_llSA_llS8_PT12_llPT13_lli.has_indirect_call, 0
	.section	.AMDGPU.csdata,"",@progbits
; Kernel info:
; codeLenInByte = 2892
; TotalNumSgprs: 40
; NumVgprs: 123
; ScratchSize: 0
; MemoryBound: 0
; FloatMode: 240
; IeeeMode: 1
; LDSByteSize: 4096 bytes/workgroup (compile time only)
; SGPRBlocks: 0
; VGPRBlocks: 15
; NumSGPRsForWavesPerEU: 40
; NumVGPRsForWavesPerEU: 123
; Occupancy: 10
; WaveLimiterHint : 1
; COMPUTE_PGM_RSRC2:SCRATCH_EN: 0
; COMPUTE_PGM_RSRC2:USER_SGPR: 2
; COMPUTE_PGM_RSRC2:TRAP_HANDLER: 0
; COMPUTE_PGM_RSRC2:TGID_X_EN: 1
; COMPUTE_PGM_RSRC2:TGID_Y_EN: 1
; COMPUTE_PGM_RSRC2:TGID_Z_EN: 1
; COMPUTE_PGM_RSRC2:TIDIG_COMP_CNT: 1
	.section	.text._ZN12_GLOBAL__N_127rocblas_gemm_batched_kernelI19rocblas_complex_numIfELi16ELi16ELi32ELi32ELi8ELi32ELi8ELi8ELi32ELc84ELc78EKPKS2_S5_KPS2_EEvlllT_PT11_llSA_llS8_PT12_llPT13_lli,"axG",@progbits,_ZN12_GLOBAL__N_127rocblas_gemm_batched_kernelI19rocblas_complex_numIfELi16ELi16ELi32ELi32ELi8ELi32ELi8ELi8ELi32ELc84ELc78EKPKS2_S5_KPS2_EEvlllT_PT11_llSA_llS8_PT12_llPT13_lli,comdat
	.globl	_ZN12_GLOBAL__N_127rocblas_gemm_batched_kernelI19rocblas_complex_numIfELi16ELi16ELi32ELi32ELi8ELi32ELi8ELi8ELi32ELc84ELc78EKPKS2_S5_KPS2_EEvlllT_PT11_llSA_llS8_PT12_llPT13_lli ; -- Begin function _ZN12_GLOBAL__N_127rocblas_gemm_batched_kernelI19rocblas_complex_numIfELi16ELi16ELi32ELi32ELi8ELi32ELi8ELi8ELi32ELc84ELc78EKPKS2_S5_KPS2_EEvlllT_PT11_llSA_llS8_PT12_llPT13_lli
	.p2align	8
	.type	_ZN12_GLOBAL__N_127rocblas_gemm_batched_kernelI19rocblas_complex_numIfELi16ELi16ELi32ELi32ELi8ELi32ELi8ELi8ELi32ELc84ELc78EKPKS2_S5_KPS2_EEvlllT_PT11_llSA_llS8_PT12_llPT13_lli,@function
_ZN12_GLOBAL__N_127rocblas_gemm_batched_kernelI19rocblas_complex_numIfELi16ELi16ELi32ELi32ELi8ELi32ELi8ELi8ELi32ELc84ELc78EKPKS2_S5_KPS2_EEvlllT_PT11_llSA_llS8_PT12_llPT13_lli: ; @_ZN12_GLOBAL__N_127rocblas_gemm_batched_kernelI19rocblas_complex_numIfELi16ELi16ELi32ELi32ELi8ELi32ELi8ELi8ELi32ELc84ELc78EKPKS2_S5_KPS2_EEvlllT_PT11_llSA_llS8_PT12_llPT13_lli
; %bb.0:
	s_load_b32 s33, s[0:1], 0x88
	s_lshr_b32 s34, ttmp7, 16
	s_wait_kmcnt 0x0
	s_cmp_ge_i32 s34, s33
	s_cbranch_scc1 .LBB244_10
; %bb.1:
	s_clause 0x2
	s_load_b128 s[20:23], s[0:1], 0x10
	s_load_b256 s[4:11], s[0:1], 0x20
	s_load_b128 s[24:27], s[0:1], 0x78
	v_and_b32_e32 v12, 0x3ff, v0
	v_bfe_u32 v1, v0, 10, 10
	s_clause 0x2
	s_load_b128 s[28:31], s[0:1], 0x40
	s_load_b64 s[36:37], s[0:1], 0x50
	s_load_b256 s[12:19], s[0:1], 0x58
	v_lshlrev_b32_e32 v0, 3, v0
	s_lshl_b32 s0, ttmp7, 5
	v_mov_b32_e32 v14, 0
	v_lshl_add_u32 v2, v1, 4, v12
	s_and_b32 s35, s0, 0x1fffe0
	v_and_b32_e32 v21, 56, v0
	v_add_nc_u32_e32 v10, s35, v1
	s_mov_b32 s2, ttmp9
	v_and_b32_e32 v6, 31, v2
	v_lshrrev_b32_e32 v13, 5, v2
	v_lshrrev_b32_e32 v2, 3, v2
	s_ashr_i32 s3, ttmp9, 31
	v_lshl_add_u32 v18, v1, 6, 0x800
	v_lshlrev_b32_e32 v0, 3, v6
	s_lshl_b64 s[0:1], s[2:3], 5
	v_lshl_or_b32 v4, v2, 6, v21
	v_add_nc_u32_e32 v19, s35, v2
	s_wait_kmcnt 0x0
	v_mad_co_u64_u32 v[2:3], null, v10, s24, 0
	v_lshl_or_b32 v15, v13, 8, v0
	v_add_nc_u32_e32 v16, 0x800, v4
	v_mad_co_u64_u32 v[4:5], null, v10, s14, 0
	s_or_b32 s2, s36, s37
	s_mov_b32 s35, 0
	v_mov_b32_e32 v0, v3
	v_or_b32_e32 v3, s0, v6
	v_mad_co_u64_u32 v[6:7], null, s28, v19, 0
	s_bitset0_b32 s2, 31
	v_mad_co_u64_u32 v[0:1], null, v10, s25, v[0:1]
	v_mov_b32_e32 v1, v5
	v_mul_lo_u32 v5, s7, v3
	v_mad_co_u64_u32 v[8:9], null, s6, v3, 0
	s_cmp_eq_u32 s2, 0
	s_mul_i32 s2, s6, s1
	v_mov_b32_e32 v3, v0
	v_mad_co_u64_u32 v[10:11], null, v10, s15, v[1:2]
	v_mov_b32_e32 v1, v7
	v_add3_u32 v9, v9, s2, v5
	v_add_co_u32 v11, s0, s0, v12
	v_lshlrev_b32_e32 v17, 3, v12
	s_delay_alu instid0(VALU_DEP_4) | instskip(NEXT) | instid1(VALU_DEP_4)
	v_mad_co_u64_u32 v[19:20], null, s29, v19, v[1:2]
	v_lshlrev_b64_e32 v[0:1], 3, v[8:9]
	s_cselect_b32 s38, -1, 0
	s_wait_alu 0xf1ff
	v_add_co_ci_u32_e64 v12, null, s1, 0, s0
	s_lshl_b64 s[0:1], s[8:9], 3
	v_dual_mov_b32 v7, v19 :: v_dual_lshlrev_b32 v8, 3, v13
	s_wait_alu 0xfffe
	v_add_co_u32 v9, vcc_lo, v0, s0
	v_mov_b32_e32 v5, v10
	v_add_co_ci_u32_e64 v10, null, s1, v1, vcc_lo
	v_lshlrev_b64_e32 v[0:1], 3, v[6:7]
	s_delay_alu instid0(VALU_DEP_4)
	v_add_co_u32 v19, vcc_lo, v9, v8
	s_lshl_b64 s[0:1], s[30:31], 3
	s_wait_alu 0xfffd
	v_add_co_ci_u32_e64 v20, null, 0, v10, vcc_lo
	s_wait_alu 0xfffe
	v_add_co_u32 v0, vcc_lo, v0, s0
	v_cmp_gt_i64_e64 s0, s[20:21], 0
	s_wait_alu 0xfffd
	v_add_co_ci_u32_e64 v1, null, s1, v1, vcc_lo
	s_delay_alu instid0(VALU_DEP_3)
	v_add_co_u32 v21, vcc_lo, v0, v21
	v_lshlrev_b64_e32 v[2:3], 3, v[2:3]
	s_wait_alu 0xf1ff
	v_cndmask_b32_e64 v6, 0, 1, s0
	s_wait_alu 0xfffd
	v_add_co_ci_u32_e64 v22, null, 0, v1, vcc_lo
	v_lshlrev_b64_e32 v[0:1], 3, v[4:5]
	v_lshlrev_b64_e32 v[4:5], 3, v[11:12]
	v_cmp_ne_u32_e64 s0, 1, v6
	v_cndmask_b32_e64 v6, 0, 1, s38
	s_lshl_b64 s[2:3], s[24:25], 4
	s_lshl_b64 s[14:15], s[14:15], 4
	s_lshl_b64 s[6:7], s[26:27], 3
	s_lshl_b64 s[8:9], s[16:17], 3
	v_cmp_ne_u32_e64 s1, 1, v6
	s_wait_alu 0xfffe
	s_lshl_b64 s[14:15], s[14:15], 3
	s_lshl_b64 s[16:17], s[2:3], 3
	s_branch .LBB244_3
.LBB244_2:                              ;   in Loop: Header=BB244_3 Depth=1
	s_add_co_i32 s34, s34, 0x10000
	flat_store_b32 v[8:9], v12 offset:4
	s_wait_alu 0xfffe
	s_cmp_lt_i32 s34, s33
	s_cbranch_scc0 .LBB244_10
.LBB244_3:                              ; =>This Loop Header: Depth=1
                                        ;     Child Loop BB244_5 Depth 2
	s_lshl_b64 s[2:3], s[34:35], 3
	v_dual_mov_b32 v29, 0 :: v_dual_mov_b32 v30, 0
	s_wait_alu 0xfffe
	s_add_nc_u64 s[24:25], s[12:13], s[2:3]
	s_add_nc_u64 s[26:27], s[18:19], s[2:3]
	s_clause 0x1
	global_load_b64 v[6:7], v14, s[24:25]
	global_load_b64 v[8:9], v14, s[26:27]
	v_dual_mov_b32 v27, 0 :: v_dual_mov_b32 v28, 0
	v_dual_mov_b32 v25, 0 :: v_dual_mov_b32 v26, 0
	;; [unrolled: 1-line block ×3, first 2 shown]
	s_and_b32 vcc_lo, exec_lo, s0
	s_wait_alu 0xfffe
	s_cbranch_vccnz .LBB244_6
; %bb.4:                                ;   in Loop: Header=BB244_3 Depth=1
	s_add_nc_u64 s[24:25], s[4:5], s[2:3]
	s_add_nc_u64 s[2:3], s[10:11], s[2:3]
	s_clause 0x1
	global_load_b64 v[10:11], v14, s[24:25]
	global_load_b64 v[12:13], v14, s[2:3]
	v_dual_mov_b32 v24, 0 :: v_dual_mov_b32 v23, 0
	v_dual_mov_b32 v26, 0 :: v_dual_mov_b32 v25, 0
	;; [unrolled: 1-line block ×4, first 2 shown]
	s_mov_b64 s[24:25], 0
	s_wait_loadcnt 0x1
	v_add_co_u32 v10, vcc_lo, v10, v19
	s_wait_alu 0xfffd
	v_add_co_ci_u32_e64 v11, null, v11, v20, vcc_lo
	s_wait_loadcnt 0x0
	v_add_co_u32 v12, vcc_lo, v12, v21
	s_wait_alu 0xfffd
	v_add_co_ci_u32_e64 v13, null, v13, v22, vcc_lo
.LBB244_5:                              ;   Parent Loop BB244_3 Depth=1
                                        ; =>  This Inner Loop Header: Depth=2
	flat_load_b64 v[31:32], v[10:11]
	s_wait_alu 0xfffe
	s_add_nc_u64 s[24:25], s[24:25], 8
	v_add_co_u32 v10, vcc_lo, v10, 64
	s_wait_alu 0xfffe
	v_cmp_lt_i64_e64 s2, s[24:25], s[20:21]
	s_wait_alu 0xfffd
	v_add_co_ci_u32_e64 v11, null, 0, v11, vcc_lo
	s_and_b32 vcc_lo, exec_lo, s2
	s_wait_loadcnt_dscnt 0x0
	ds_store_b64 v15, v[31:32]
	flat_load_b64 v[31:32], v[12:13]
	v_add_co_u32 v12, s2, v12, 64
	s_wait_alu 0xf1ff
	v_add_co_ci_u32_e64 v13, null, 0, v13, s2
	s_wait_loadcnt_dscnt 0x0
	ds_store_b64 v16, v[31:32]
	s_wait_dscnt 0x0
	s_barrier_signal -1
	s_barrier_wait -1
	global_inv scope:SCOPE_SE
	ds_load_2addr_b64 v[31:34], v17 offset1:16
	ds_load_b128 v[35:38], v18
	ds_load_b128 v[39:42], v18 offset:1024
	ds_load_2addr_b64 v[43:46], v17 offset0:32 offset1:48
	ds_load_b128 v[47:50], v18 offset:16
	ds_load_b128 v[51:54], v18 offset:32
	ds_load_b128 v[55:58], v18 offset:48
	ds_load_2addr_b64 v[59:62], v17 offset0:64 offset1:80
	ds_load_b128 v[63:66], v18 offset:1040
	ds_load_2addr_b64 v[67:70], v17 offset0:96 offset1:112
	ds_load_2addr_b64 v[71:74], v17 offset0:128 offset1:144
	;; [unrolled: 1-line block ×4, first 2 shown]
	ds_load_b128 v[83:86], v18 offset:1056
	ds_load_b128 v[87:90], v18 offset:1072
	ds_load_2addr_b64 v[91:94], v17 offset0:224 offset1:240
	s_wait_loadcnt_dscnt 0x0
	s_barrier_signal -1
	s_barrier_wait -1
	global_inv scope:SCOPE_SE
	v_dual_mul_f32 v95, v36, v32 :: v_dual_mul_f32 v98, v35, v34
	v_dual_mul_f32 v96, v35, v32 :: v_dual_mul_f32 v97, v36, v34
	v_mul_f32_e32 v99, v40, v32
	v_dual_mul_f32 v32, v39, v32 :: v_dual_mul_f32 v103, v38, v46
	v_dual_mul_f32 v100, v40, v34 :: v_dual_mul_f32 v101, v38, v44
	v_mul_f32_e32 v34, v39, v34
	v_dual_mul_f32 v102, v37, v44 :: v_dual_mul_f32 v109, v48, v62
	v_dual_mul_f32 v104, v37, v46 :: v_dual_mul_f32 v105, v42, v44
	;; [unrolled: 1-line block ×7, first 2 shown]
	v_mul_f32_e32 v60, v63, v60
	v_dual_mul_f32 v112, v64, v62 :: v_dual_mul_f32 v117, v66, v68
	v_fma_f32 v95, v35, v31, -v95
	v_fmac_f32_e32 v96, v36, v31
	v_fma_f32 v35, v35, v33, -v97
	v_fmac_f32_e32 v98, v36, v33
	v_fma_f32 v36, v39, v31, -v99
	v_dual_mul_f32 v62, v63, v62 :: v_dual_mul_f32 v119, v52, v72
	v_mul_f32_e32 v116, v49, v70
	v_mul_f32_e32 v118, v66, v70
	v_mul_f32_e32 v120, v51, v72
	v_dual_mul_f32 v122, v51, v74 :: v_dual_mul_f32 v97, v53, v76
	v_fmac_f32_e32 v32, v40, v31
	v_fma_f32 v31, v39, v33, -v100
	v_fmac_f32_e32 v34, v40, v33
	v_mul_f32_e32 v33, v84, v72
	v_dual_mul_f32 v39, v83, v72 :: v_dual_mul_f32 v40, v84, v74
	v_dual_fmac_f32 v97, v54, v75 :: v_dual_mul_f32 v72, v83, v74
	v_fma_f32 v74, v37, v43, -v101
	v_dual_fmac_f32 v102, v38, v43 :: v_dual_add_f32 v25, v25, v36
	v_fma_f32 v37, v37, v45, -v103
	v_mul_f32_e32 v99, v54, v78
	v_fma_f32 v101, v41, v43, -v105
	v_fma_f32 v107, v47, v59, -v107
	v_fmac_f32_e32 v108, v48, v59
	v_dual_fmac_f32 v110, v48, v61 :: v_dual_add_f32 v29, v29, v95
	v_fmac_f32_e32 v44, v42, v43
	v_fma_f32 v48, v63, v59, -v111
	v_dual_fmac_f32 v60, v64, v59 :: v_dual_add_f32 v25, v25, v101
	v_fma_f32 v59, v63, v61, -v112
	v_dual_mul_f32 v63, v87, v80 :: v_dual_fmac_f32 v46, v42, v45
	v_dual_mul_f32 v42, v86, v76 :: v_dual_add_f32 v27, v27, v35
	v_fma_f32 v41, v41, v45, -v106
	v_fma_f32 v47, v47, v61, -v109
	v_dual_fmac_f32 v62, v64, v61 :: v_dual_add_f32 v23, v23, v31
	v_add_f32_e32 v29, v29, v74
	v_dual_add_f32 v27, v27, v37 :: v_dual_mul_f32 v114, v49, v68
	v_dual_mul_f32 v68, v65, v68 :: v_dual_mul_f32 v105, v56, v82
	v_dual_mul_f32 v70, v65, v70 :: v_dual_mul_f32 v103, v55, v80
	v_dual_fmac_f32 v104, v38, v45 :: v_dual_fmac_f32 v39, v84, v71
	v_mul_f32_e32 v38, v54, v76
	v_mul_f32_e32 v43, v85, v76
	;; [unrolled: 1-line block ×4, first 2 shown]
	v_dual_mul_f32 v106, v55, v82 :: v_dual_mul_f32 v61, v88, v80
	v_dual_mul_f32 v64, v88, v82 :: v_dual_add_f32 v23, v23, v41
	v_dual_fmac_f32 v116, v50, v69 :: v_dual_add_f32 v27, v27, v47
	v_mul_f32_e32 v109, v57, v92
	v_mul_f32_e32 v76, v85, v78
	;; [unrolled: 1-line block ×3, first 2 shown]
	v_dual_mul_f32 v80, v87, v82 :: v_dual_add_f32 v29, v29, v107
	v_fma_f32 v82, v49, v67, -v113
	v_fma_f32 v49, v49, v69, -v115
	v_dual_fmac_f32 v114, v50, v67 :: v_dual_add_f32 v25, v25, v48
	v_dual_mul_f32 v50, v58, v92 :: v_dual_add_f32 v23, v23, v59
	v_mul_f32_e32 v111, v58, v94
	s_delay_alu instid0(VALU_DEP_4) | instskip(SKIP_4) | instid1(VALU_DEP_4)
	v_dual_mul_f32 v112, v57, v94 :: v_dual_add_f32 v27, v27, v49
	v_fma_f32 v113, v65, v67, -v117
	v_dual_fmac_f32 v68, v66, v67 :: v_dual_add_f32 v29, v29, v82
	v_fma_f32 v65, v65, v69, -v118
	v_fmac_f32_e32 v70, v66, v69
	v_dual_mul_f32 v66, v90, v92 :: v_dual_add_f32 v25, v25, v113
	v_mul_f32_e32 v67, v89, v92
	v_mul_f32_e32 v69, v90, v94
	v_dual_mul_f32 v92, v89, v94 :: v_dual_add_f32 v23, v23, v65
	v_fma_f32 v94, v51, v71, -v119
	v_fma_f32 v51, v51, v73, -v121
	v_fmac_f32_e32 v122, v52, v73
	v_fma_f32 v33, v83, v71, -v33
	v_fmac_f32_e32 v120, v52, v71
	v_fma_f32 v40, v83, v73, -v40
	v_fma_f32 v52, v53, v77, -v99
	v_fmac_f32_e32 v103, v56, v79
	v_fma_f32 v38, v53, v75, -v38
	v_add_f32_e32 v29, v29, v94
	v_dual_add_f32 v27, v27, v51 :: v_dual_fmac_f32 v72, v84, v73
	v_add_f32_e32 v23, v23, v40
	v_fma_f32 v42, v85, v75, -v42
	v_fmac_f32_e32 v43, v86, v75
	v_dual_fmac_f32 v100, v54, v77 :: v_dual_add_f32 v29, v29, v38
	v_fma_f32 v45, v85, v77, -v45
	v_fma_f32 v53, v55, v79, -v78
	;; [unrolled: 1-line block ×3, first 2 shown]
	v_fmac_f32_e32 v109, v58, v91
	v_dual_fmac_f32 v76, v86, v77 :: v_dual_add_f32 v27, v27, v52
	v_add_f32_e32 v25, v25, v33
	v_fma_f32 v55, v87, v79, -v61
	v_fmac_f32_e32 v80, v88, v81
	v_fma_f32 v50, v57, v91, -v50
	v_fma_f32 v57, v57, v93, -v111
	v_dual_fmac_f32 v67, v90, v91 :: v_dual_fmac_f32 v106, v56, v81
	v_add_f32_e32 v25, v25, v42
	v_fma_f32 v56, v87, v81, -v64
	v_dual_add_f32 v30, v30, v96 :: v_dual_add_f32 v23, v23, v45
	v_dual_add_f32 v28, v28, v98 :: v_dual_add_f32 v29, v29, v53
	;; [unrolled: 1-line block ×3, first 2 shown]
	v_add_f32_e32 v24, v24, v34
	v_dual_fmac_f32 v63, v88, v79 :: v_dual_fmac_f32 v112, v58, v93
	v_add_f32_e32 v25, v25, v55
	v_fma_f32 v58, v89, v91, -v66
	v_fma_f32 v61, v89, v93, -v69
	v_dual_fmac_f32 v92, v90, v93 :: v_dual_add_f32 v23, v23, v56
	v_add_f32_e32 v30, v30, v102
	s_delay_alu instid0(VALU_DEP_4) | instskip(SKIP_2) | instid1(VALU_DEP_3)
	v_dual_add_f32 v28, v28, v104 :: v_dual_add_f32 v25, v25, v58
	v_dual_add_f32 v29, v29, v50 :: v_dual_add_f32 v26, v26, v44
	;; [unrolled: 1-line block ×4, first 2 shown]
	v_add_f32_e32 v30, v30, v108
	s_delay_alu instid0(VALU_DEP_4) | instskip(NEXT) | instid1(VALU_DEP_4)
	v_add_f32_e32 v26, v26, v60
	v_add_f32_e32 v24, v24, v62
	s_delay_alu instid0(VALU_DEP_4) | instskip(NEXT) | instid1(VALU_DEP_4)
	v_add_f32_e32 v28, v28, v116
	;; [unrolled: 3-line block ×11, first 2 shown]
	v_add_f32_e32 v24, v24, v92
	s_wait_alu 0xfffe
	s_cbranch_vccnz .LBB244_5
.LBB244_6:                              ;   in Loop: Header=BB244_3 Depth=1
	s_wait_loadcnt 0x0
	v_add_co_u32 v10, vcc_lo, v8, s6
	s_wait_alu 0xfffd
	v_add_co_ci_u32_e64 v11, null, s7, v9, vcc_lo
	s_and_b32 vcc_lo, exec_lo, s1
	s_mov_b32 s2, -1
                                        ; implicit-def: $vgpr12
                                        ; implicit-def: $vgpr8_vgpr9
	s_wait_alu 0xfffe
	s_cbranch_vccz .LBB244_8
; %bb.7:                                ;   in Loop: Header=BB244_3 Depth=1
	s_and_not1_b32 vcc_lo, exec_lo, s2
	s_wait_alu 0xfffe
	s_cbranch_vccnz .LBB244_2
	s_branch .LBB244_9
.LBB244_8:                              ;   in Loop: Header=BB244_3 Depth=1
	v_mul_f32_e32 v8, s23, v30
	v_add_co_u32 v9, vcc_lo, v10, v2
	s_wait_alu 0xfffd
	v_add_co_ci_u32_e64 v12, null, v11, v3, vcc_lo
	s_delay_alu instid0(VALU_DEP_3) | instskip(SKIP_4) | instid1(VALU_DEP_3)
	v_fma_f32 v31, v29, s22, -v8
	v_mul_f32_e32 v8, s23, v28
	v_add_co_u32 v35, vcc_lo, v9, v4
	s_wait_alu 0xfffd
	v_add_co_ci_u32_e64 v36, null, v12, v5, vcc_lo
	v_fma_f32 v33, v27, s22, -v8
	v_mul_f32_e32 v8, s23, v26
	v_add_co_u32 v9, vcc_lo, v9, s16
	s_wait_alu 0xfffd
	v_add_co_ci_u32_e64 v13, null, s17, v12, vcc_lo
	s_delay_alu instid0(VALU_DEP_3)
	v_fma_f32 v37, v25, s22, -v8
	v_mul_f32_e32 v8, s23, v24
	v_add_co_u32 v39, vcc_lo, v9, v4
	v_mul_f32_e32 v32, s22, v30
	v_mul_f32_e32 v38, s22, v26
	;; [unrolled: 1-line block ×3, first 2 shown]
	s_wait_alu 0xfffd
	v_add_co_ci_u32_e64 v40, null, v13, v5, vcc_lo
	v_mul_f32_e32 v34, s22, v28
	v_fma_f32 v13, v23, s22, -v8
	v_add_co_u32 v8, vcc_lo, 0x80, v39
	v_fmac_f32_e32 v32, s23, v29
	v_fmac_f32_e32 v38, s23, v25
	;; [unrolled: 1-line block ×3, first 2 shown]
	s_wait_alu 0xfffd
	v_add_co_ci_u32_e64 v9, null, 0, v40, vcc_lo
	v_fmac_f32_e32 v34, s23, v27
	s_clause 0x3
	flat_store_b64 v[35:36], v[31:32]
	flat_store_b64 v[35:36], v[33:34] offset:128
	flat_store_b64 v[39:40], v[37:38]
	flat_store_b32 v[39:40], v13 offset:128
	s_cbranch_execnz .LBB244_2
.LBB244_9:                              ;   in Loop: Header=BB244_3 Depth=1
	v_add_co_u32 v6, vcc_lo, v6, s8
	s_wait_alu 0xfffd
	v_add_co_ci_u32_e64 v7, null, s9, v7, vcc_lo
	s_delay_alu instid0(VALU_DEP_2) | instskip(SKIP_1) | instid1(VALU_DEP_2)
	v_add_co_u32 v12, vcc_lo, v6, v0
	s_wait_alu 0xfffd
	v_add_co_ci_u32_e64 v13, null, v7, v1, vcc_lo
	s_delay_alu instid0(VALU_DEP_2) | instskip(SKIP_1) | instid1(VALU_DEP_2)
	v_add_co_u32 v6, vcc_lo, v12, v4
	s_wait_alu 0xfffd
	v_add_co_ci_u32_e64 v7, null, v13, v5, vcc_lo
	v_add_co_u32 v34, vcc_lo, v10, v2
	s_wait_alu 0xfffd
	v_add_co_ci_u32_e64 v35, null, v11, v3, vcc_lo
	flat_load_b64 v[8:9], v[6:7]
	v_mul_f32_e32 v31, s23, v30
	s_wait_loadcnt_dscnt 0x0
	v_dual_mul_f32 v30, s22, v30 :: v_dual_mul_f32 v33, s36, v9
	v_mul_f32_e32 v32, s37, v9
	s_delay_alu instid0(VALU_DEP_3) | instskip(NEXT) | instid1(VALU_DEP_3)
	v_fma_f32 v10, v29, s22, -v31
	v_dual_fmac_f32 v30, s23, v29 :: v_dual_fmac_f32 v33, s37, v8
	s_delay_alu instid0(VALU_DEP_3) | instskip(SKIP_3) | instid1(VALU_DEP_3)
	v_fma_f32 v11, v8, s36, -v32
	v_add_co_u32 v8, vcc_lo, v34, v4
	s_wait_alu 0xfffd
	v_add_co_ci_u32_e64 v9, null, v35, v5, vcc_lo
	v_add_f32_e32 v10, v10, v11
	v_add_f32_e32 v11, v30, v33
	v_add_co_u32 v12, vcc_lo, v12, s14
	s_wait_alu 0xfffd
	v_add_co_ci_u32_e64 v13, null, s15, v13, vcc_lo
	flat_store_b64 v[8:9], v[10:11]
	flat_load_b64 v[6:7], v[6:7] offset:128
	v_mul_f32_e32 v10, s23, v28
	v_mul_f32_e32 v11, s22, v28
	s_delay_alu instid0(VALU_DEP_2) | instskip(NEXT) | instid1(VALU_DEP_2)
	v_fma_f32 v10, v27, s22, -v10
	v_fmac_f32_e32 v11, s23, v27
	s_wait_loadcnt_dscnt 0x0
	v_mul_f32_e32 v28, s37, v7
	v_mul_f32_e32 v7, s36, v7
	s_delay_alu instid0(VALU_DEP_1) | instskip(NEXT) | instid1(VALU_DEP_3)
	v_fmac_f32_e32 v7, s37, v6
	v_fma_f32 v27, v6, s36, -v28
	s_delay_alu instid0(VALU_DEP_2) | instskip(NEXT) | instid1(VALU_DEP_2)
	v_add_f32_e32 v7, v11, v7
	v_add_f32_e32 v6, v10, v27
	v_add_co_u32 v10, vcc_lo, v12, v4
	s_wait_alu 0xfffd
	v_add_co_ci_u32_e64 v11, null, v13, v5, vcc_lo
	flat_store_b64 v[8:9], v[6:7] offset:128
	v_mul_f32_e32 v8, s23, v26
	v_mul_f32_e32 v9, s22, v26
	flat_load_b64 v[6:7], v[10:11]
	v_fma_f32 v8, v25, s22, -v8
	s_wait_loadcnt_dscnt 0x0
	v_dual_fmac_f32 v9, s23, v25 :: v_dual_mul_f32 v12, s37, v7
	v_mul_f32_e32 v13, s36, v7
	v_add_co_u32 v7, vcc_lo, v34, s16
	s_wait_alu 0xfffd
	v_add_co_ci_u32_e64 v26, null, s17, v35, vcc_lo
	v_fma_f32 v12, v6, s36, -v12
	v_fmac_f32_e32 v13, s37, v6
	v_add_co_u32 v6, vcc_lo, v7, v4
	s_wait_alu 0xfffd
	v_add_co_ci_u32_e64 v7, null, v26, v5, vcc_lo
	s_delay_alu instid0(VALU_DEP_3) | instskip(SKIP_4) | instid1(VALU_DEP_2)
	v_dual_add_f32 v8, v8, v12 :: v_dual_add_f32 v9, v9, v13
	flat_store_b64 v[6:7], v[8:9]
	flat_load_b64 v[8:9], v[10:11] offset:128
	v_mul_f32_e32 v10, s23, v24
	v_mul_f32_e32 v11, s22, v24
	v_fma_f32 v10, v23, s22, -v10
	s_wait_loadcnt_dscnt 0x0
	s_delay_alu instid0(VALU_DEP_2) | instskip(SKIP_1) | instid1(VALU_DEP_2)
	v_dual_fmac_f32 v11, s23, v23 :: v_dual_mul_f32 v12, s37, v9
	v_mul_f32_e32 v9, s36, v9
	v_fma_f32 v12, v8, s36, -v12
	s_delay_alu instid0(VALU_DEP_2) | instskip(SKIP_1) | instid1(VALU_DEP_3)
	v_fmac_f32_e32 v9, s37, v8
	v_add_co_u32 v8, vcc_lo, 0x80, v6
	v_add_f32_e32 v10, v10, v12
	s_delay_alu instid0(VALU_DEP_3)
	v_add_f32_e32 v12, v11, v9
	s_wait_alu 0xfffd
	v_add_co_ci_u32_e64 v9, null, 0, v7, vcc_lo
	flat_store_b32 v[6:7], v10 offset:128
	s_branch .LBB244_2
.LBB244_10:
	s_nop 0
	s_sendmsg sendmsg(MSG_DEALLOC_VGPRS)
	s_endpgm
	.section	.rodata,"a",@progbits
	.p2align	6, 0x0
	.amdhsa_kernel _ZN12_GLOBAL__N_127rocblas_gemm_batched_kernelI19rocblas_complex_numIfELi16ELi16ELi32ELi32ELi8ELi32ELi8ELi8ELi32ELc84ELc78EKPKS2_S5_KPS2_EEvlllT_PT11_llSA_llS8_PT12_llPT13_lli
		.amdhsa_group_segment_fixed_size 4096
		.amdhsa_private_segment_fixed_size 0
		.amdhsa_kernarg_size 140
		.amdhsa_user_sgpr_count 2
		.amdhsa_user_sgpr_dispatch_ptr 0
		.amdhsa_user_sgpr_queue_ptr 0
		.amdhsa_user_sgpr_kernarg_segment_ptr 1
		.amdhsa_user_sgpr_dispatch_id 0
		.amdhsa_user_sgpr_private_segment_size 0
		.amdhsa_wavefront_size32 1
		.amdhsa_uses_dynamic_stack 0
		.amdhsa_enable_private_segment 0
		.amdhsa_system_sgpr_workgroup_id_x 1
		.amdhsa_system_sgpr_workgroup_id_y 1
		.amdhsa_system_sgpr_workgroup_id_z 1
		.amdhsa_system_sgpr_workgroup_info 0
		.amdhsa_system_vgpr_workitem_id 1
		.amdhsa_next_free_vgpr 123
		.amdhsa_next_free_sgpr 39
		.amdhsa_reserve_vcc 1
		.amdhsa_float_round_mode_32 0
		.amdhsa_float_round_mode_16_64 0
		.amdhsa_float_denorm_mode_32 3
		.amdhsa_float_denorm_mode_16_64 3
		.amdhsa_fp16_overflow 0
		.amdhsa_workgroup_processor_mode 1
		.amdhsa_memory_ordered 1
		.amdhsa_forward_progress 1
		.amdhsa_inst_pref_size 23
		.amdhsa_round_robin_scheduling 0
		.amdhsa_exception_fp_ieee_invalid_op 0
		.amdhsa_exception_fp_denorm_src 0
		.amdhsa_exception_fp_ieee_div_zero 0
		.amdhsa_exception_fp_ieee_overflow 0
		.amdhsa_exception_fp_ieee_underflow 0
		.amdhsa_exception_fp_ieee_inexact 0
		.amdhsa_exception_int_div_zero 0
	.end_amdhsa_kernel
	.section	.text._ZN12_GLOBAL__N_127rocblas_gemm_batched_kernelI19rocblas_complex_numIfELi16ELi16ELi32ELi32ELi8ELi32ELi8ELi8ELi32ELc84ELc78EKPKS2_S5_KPS2_EEvlllT_PT11_llSA_llS8_PT12_llPT13_lli,"axG",@progbits,_ZN12_GLOBAL__N_127rocblas_gemm_batched_kernelI19rocblas_complex_numIfELi16ELi16ELi32ELi32ELi8ELi32ELi8ELi8ELi32ELc84ELc78EKPKS2_S5_KPS2_EEvlllT_PT11_llSA_llS8_PT12_llPT13_lli,comdat
.Lfunc_end244:
	.size	_ZN12_GLOBAL__N_127rocblas_gemm_batched_kernelI19rocblas_complex_numIfELi16ELi16ELi32ELi32ELi8ELi32ELi8ELi8ELi32ELc84ELc78EKPKS2_S5_KPS2_EEvlllT_PT11_llSA_llS8_PT12_llPT13_lli, .Lfunc_end244-_ZN12_GLOBAL__N_127rocblas_gemm_batched_kernelI19rocblas_complex_numIfELi16ELi16ELi32ELi32ELi8ELi32ELi8ELi8ELi32ELc84ELc78EKPKS2_S5_KPS2_EEvlllT_PT11_llSA_llS8_PT12_llPT13_lli
                                        ; -- End function
	.set _ZN12_GLOBAL__N_127rocblas_gemm_batched_kernelI19rocblas_complex_numIfELi16ELi16ELi32ELi32ELi8ELi32ELi8ELi8ELi32ELc84ELc78EKPKS2_S5_KPS2_EEvlllT_PT11_llSA_llS8_PT12_llPT13_lli.num_vgpr, 123
	.set _ZN12_GLOBAL__N_127rocblas_gemm_batched_kernelI19rocblas_complex_numIfELi16ELi16ELi32ELi32ELi8ELi32ELi8ELi8ELi32ELc84ELc78EKPKS2_S5_KPS2_EEvlllT_PT11_llSA_llS8_PT12_llPT13_lli.num_agpr, 0
	.set _ZN12_GLOBAL__N_127rocblas_gemm_batched_kernelI19rocblas_complex_numIfELi16ELi16ELi32ELi32ELi8ELi32ELi8ELi8ELi32ELc84ELc78EKPKS2_S5_KPS2_EEvlllT_PT11_llSA_llS8_PT12_llPT13_lli.numbered_sgpr, 39
	.set _ZN12_GLOBAL__N_127rocblas_gemm_batched_kernelI19rocblas_complex_numIfELi16ELi16ELi32ELi32ELi8ELi32ELi8ELi8ELi32ELc84ELc78EKPKS2_S5_KPS2_EEvlllT_PT11_llSA_llS8_PT12_llPT13_lli.num_named_barrier, 0
	.set _ZN12_GLOBAL__N_127rocblas_gemm_batched_kernelI19rocblas_complex_numIfELi16ELi16ELi32ELi32ELi8ELi32ELi8ELi8ELi32ELc84ELc78EKPKS2_S5_KPS2_EEvlllT_PT11_llSA_llS8_PT12_llPT13_lli.private_seg_size, 0
	.set _ZN12_GLOBAL__N_127rocblas_gemm_batched_kernelI19rocblas_complex_numIfELi16ELi16ELi32ELi32ELi8ELi32ELi8ELi8ELi32ELc84ELc78EKPKS2_S5_KPS2_EEvlllT_PT11_llSA_llS8_PT12_llPT13_lli.uses_vcc, 1
	.set _ZN12_GLOBAL__N_127rocblas_gemm_batched_kernelI19rocblas_complex_numIfELi16ELi16ELi32ELi32ELi8ELi32ELi8ELi8ELi32ELc84ELc78EKPKS2_S5_KPS2_EEvlllT_PT11_llSA_llS8_PT12_llPT13_lli.uses_flat_scratch, 1
	.set _ZN12_GLOBAL__N_127rocblas_gemm_batched_kernelI19rocblas_complex_numIfELi16ELi16ELi32ELi32ELi8ELi32ELi8ELi8ELi32ELc84ELc78EKPKS2_S5_KPS2_EEvlllT_PT11_llSA_llS8_PT12_llPT13_lli.has_dyn_sized_stack, 0
	.set _ZN12_GLOBAL__N_127rocblas_gemm_batched_kernelI19rocblas_complex_numIfELi16ELi16ELi32ELi32ELi8ELi32ELi8ELi8ELi32ELc84ELc78EKPKS2_S5_KPS2_EEvlllT_PT11_llSA_llS8_PT12_llPT13_lli.has_recursion, 0
	.set _ZN12_GLOBAL__N_127rocblas_gemm_batched_kernelI19rocblas_complex_numIfELi16ELi16ELi32ELi32ELi8ELi32ELi8ELi8ELi32ELc84ELc78EKPKS2_S5_KPS2_EEvlllT_PT11_llSA_llS8_PT12_llPT13_lli.has_indirect_call, 0
	.section	.AMDGPU.csdata,"",@progbits
; Kernel info:
; codeLenInByte = 2912
; TotalNumSgprs: 41
; NumVgprs: 123
; ScratchSize: 0
; MemoryBound: 0
; FloatMode: 240
; IeeeMode: 1
; LDSByteSize: 4096 bytes/workgroup (compile time only)
; SGPRBlocks: 0
; VGPRBlocks: 15
; NumSGPRsForWavesPerEU: 41
; NumVGPRsForWavesPerEU: 123
; Occupancy: 10
; WaveLimiterHint : 1
; COMPUTE_PGM_RSRC2:SCRATCH_EN: 0
; COMPUTE_PGM_RSRC2:USER_SGPR: 2
; COMPUTE_PGM_RSRC2:TRAP_HANDLER: 0
; COMPUTE_PGM_RSRC2:TGID_X_EN: 1
; COMPUTE_PGM_RSRC2:TGID_Y_EN: 1
; COMPUTE_PGM_RSRC2:TGID_Z_EN: 1
; COMPUTE_PGM_RSRC2:TIDIG_COMP_CNT: 1
	.section	.text._ZN12_GLOBAL__N_127rocblas_gemm_batched_kernelI19rocblas_complex_numIfELi16ELi16ELi32ELi32ELi8ELi32ELi8ELi8ELi32ELc78ELc84EKPKS2_S5_KPS2_EEvlllT_PT11_llSA_llS8_PT12_llPT13_lli,"axG",@progbits,_ZN12_GLOBAL__N_127rocblas_gemm_batched_kernelI19rocblas_complex_numIfELi16ELi16ELi32ELi32ELi8ELi32ELi8ELi8ELi32ELc78ELc84EKPKS2_S5_KPS2_EEvlllT_PT11_llSA_llS8_PT12_llPT13_lli,comdat
	.globl	_ZN12_GLOBAL__N_127rocblas_gemm_batched_kernelI19rocblas_complex_numIfELi16ELi16ELi32ELi32ELi8ELi32ELi8ELi8ELi32ELc78ELc84EKPKS2_S5_KPS2_EEvlllT_PT11_llSA_llS8_PT12_llPT13_lli ; -- Begin function _ZN12_GLOBAL__N_127rocblas_gemm_batched_kernelI19rocblas_complex_numIfELi16ELi16ELi32ELi32ELi8ELi32ELi8ELi8ELi32ELc78ELc84EKPKS2_S5_KPS2_EEvlllT_PT11_llSA_llS8_PT12_llPT13_lli
	.p2align	8
	.type	_ZN12_GLOBAL__N_127rocblas_gemm_batched_kernelI19rocblas_complex_numIfELi16ELi16ELi32ELi32ELi8ELi32ELi8ELi8ELi32ELc78ELc84EKPKS2_S5_KPS2_EEvlllT_PT11_llSA_llS8_PT12_llPT13_lli,@function
_ZN12_GLOBAL__N_127rocblas_gemm_batched_kernelI19rocblas_complex_numIfELi16ELi16ELi32ELi32ELi8ELi32ELi8ELi8ELi32ELc78ELc84EKPKS2_S5_KPS2_EEvlllT_PT11_llSA_llS8_PT12_llPT13_lli: ; @_ZN12_GLOBAL__N_127rocblas_gemm_batched_kernelI19rocblas_complex_numIfELi16ELi16ELi32ELi32ELi8ELi32ELi8ELi8ELi32ELc78ELc84EKPKS2_S5_KPS2_EEvlllT_PT11_llSA_llS8_PT12_llPT13_lli
; %bb.0:
	s_load_b32 s33, s[0:1], 0x88
	s_lshr_b32 s34, ttmp7, 16
	s_wait_kmcnt 0x0
	s_cmp_ge_i32 s34, s33
	s_cbranch_scc1 .LBB245_10
; %bb.1:
	v_and_b32_e32 v12, 0x3ff, v0
	v_bfe_u32 v8, v0, 10, 10
	s_clause 0x5
	s_load_b128 s[24:27], s[0:1], 0x40
	s_load_b128 s[20:23], s[0:1], 0x10
	s_load_b256 s[4:11], s[0:1], 0x20
	s_load_b64 s[36:37], s[0:1], 0x50
	s_load_b128 s[28:31], s[0:1], 0x78
	s_load_b256 s[12:19], s[0:1], 0x58
	s_lshl_b32 s3, ttmp7, 5
	v_lshl_add_u32 v2, v8, 4, v12
	s_and_b32 s38, s3, 0x1fffe0
	v_and_b32_e32 v4, 7, v0
	v_dual_mov_b32 v14, 0 :: v_dual_add_nc_u32 v11, s38, v8
	s_delay_alu instid0(VALU_DEP_3) | instskip(SKIP_1) | instid1(VALU_DEP_4)
	v_lshrrev_b32_e32 v3, 3, v2
	v_and_b32_e32 v13, 31, v2
	v_lshlrev_b32_e32 v5, 3, v4
	v_lshrrev_b32_e32 v9, 5, v2
	s_mov_b32 s2, ttmp9
	v_add_co_u32 v0, s3, v3, s38
	s_delay_alu instid0(VALU_DEP_1)
	v_add_co_ci_u32_e64 v1, null, 0, 0, s3
	v_lshlrev_b32_e32 v6, 3, v13
	s_ashr_i32 s3, ttmp9, 31
	v_lshl_or_b32 v3, v3, 6, v5
	s_wait_kmcnt 0x0
	v_mad_co_u64_u32 v[0:1], null, s24, v4, v[0:1]
	s_wait_alu 0xfffe
	s_lshl_b64 s[0:1], s[2:3], 5
	v_lshl_or_b32 v15, v9, 8, v6
	v_mad_co_u64_u32 v[6:7], null, v11, s14, 0
	v_add_nc_u32_e32 v16, 0x800, v3
	v_lshl_add_u32 v18, v8, 6, 0x800
	v_mad_co_u64_u32 v[1:2], null, s25, v4, v[1:2]
	v_mad_co_u64_u32 v[4:5], null, s6, v9, s[0:1]
	;; [unrolled: 1-line block ×3, first 2 shown]
	s_or_b32 s2, s36, s37
	s_mov_b32 s35, 0
	s_wait_alu 0xfffe
	s_bitset0_b32 s2, 31
	v_lshlrev_b64_e32 v[0:1], 3, v[0:1]
	v_mad_co_u64_u32 v[8:9], null, s7, v9, v[5:6]
	v_mad_co_u64_u32 v[9:10], null, v11, s29, v[3:4]
	v_add_co_u32 v4, vcc_lo, v4, v13
	s_wait_alu 0xfffe
	s_cmp_eq_u32 s2, 0
	s_delay_alu instid0(VALU_DEP_3) | instskip(SKIP_1) | instid1(VALU_DEP_4)
	v_add_co_ci_u32_e64 v5, null, 0, v8, vcc_lo
	v_mad_co_u64_u32 v[10:11], null, v11, s15, v[7:8]
	v_mov_b32_e32 v3, v9
	v_add_co_u32 v11, s0, s0, v12
	s_delay_alu instid0(VALU_DEP_4)
	v_lshlrev_b64_e32 v[4:5], 3, v[4:5]
	v_lshlrev_b32_e32 v17, 3, v12
	s_cselect_b32 s38, -1, 0
	s_wait_alu 0xf1ff
	v_add_co_ci_u32_e64 v12, null, s1, 0, s0
	s_lshl_b64 s[0:1], s[8:9], 3
	v_cmp_gt_i64_e64 s8, s[20:21], 0
	s_wait_alu 0xfffe
	v_add_co_u32 v19, vcc_lo, s0, v4
	v_mov_b32_e32 v7, v10
	s_wait_alu 0xfffd
	v_add_co_ci_u32_e64 v20, null, s1, v5, vcc_lo
	v_cndmask_b32_e64 v4, 0, 1, s8
	s_lshl_b64 s[0:1], s[26:27], 3
	v_cndmask_b32_e64 v8, 0, 1, s38
	s_wait_alu 0xfffe
	v_add_co_u32 v21, vcc_lo, s0, v0
	s_wait_alu 0xfffd
	v_add_co_ci_u32_e64 v22, null, s1, v1, vcc_lo
	v_cmp_ne_u32_e64 s0, 1, v4
	v_lshlrev_b64_e32 v[0:1], 3, v[6:7]
	v_lshlrev_b64_e32 v[2:3], 3, v[2:3]
	v_lshlrev_b64_e32 v[4:5], 3, v[11:12]
	v_cmp_ne_u32_e64 s1, 1, v8
	s_lshl_b64 s[2:3], s[28:29], 4
	s_lshl_b64 s[28:29], s[14:15], 4
	;; [unrolled: 1-line block ×6, first 2 shown]
	s_wait_alu 0xfffe
	s_lshl_b64 s[24:25], s[28:29], 3
	s_lshl_b64 s[26:27], s[2:3], 3
	s_branch .LBB245_3
.LBB245_2:                              ;   in Loop: Header=BB245_3 Depth=1
	s_add_co_i32 s34, s34, 0x10000
	flat_store_b32 v[8:9], v12 offset:4
	s_cmp_lt_i32 s34, s33
	s_cbranch_scc0 .LBB245_10
.LBB245_3:                              ; =>This Loop Header: Depth=1
                                        ;     Child Loop BB245_5 Depth 2
	s_lshl_b64 s[2:3], s[34:35], 3
	v_dual_mov_b32 v29, 0 :: v_dual_mov_b32 v30, 0
	s_wait_alu 0xfffe
	s_add_nc_u64 s[28:29], s[12:13], s[2:3]
	s_add_nc_u64 s[30:31], s[18:19], s[2:3]
	s_clause 0x1
	global_load_b64 v[6:7], v14, s[28:29]
	global_load_b64 v[8:9], v14, s[30:31]
	v_dual_mov_b32 v27, 0 :: v_dual_mov_b32 v28, 0
	v_dual_mov_b32 v25, 0 :: v_dual_mov_b32 v26, 0
	v_dual_mov_b32 v23, 0 :: v_dual_mov_b32 v24, 0
	s_and_b32 vcc_lo, exec_lo, s0
	s_wait_alu 0xfffe
	s_cbranch_vccnz .LBB245_6
; %bb.4:                                ;   in Loop: Header=BB245_3 Depth=1
	s_add_nc_u64 s[28:29], s[4:5], s[2:3]
	s_add_nc_u64 s[2:3], s[10:11], s[2:3]
	s_clause 0x1
	global_load_b64 v[10:11], v14, s[28:29]
	global_load_b64 v[12:13], v14, s[2:3]
	v_dual_mov_b32 v24, 0 :: v_dual_mov_b32 v23, 0
	v_dual_mov_b32 v26, 0 :: v_dual_mov_b32 v25, 0
	;; [unrolled: 1-line block ×4, first 2 shown]
	s_mov_b64 s[28:29], 0
	s_wait_loadcnt 0x1
	v_add_co_u32 v10, vcc_lo, v10, v19
	s_wait_alu 0xfffd
	v_add_co_ci_u32_e64 v11, null, v11, v20, vcc_lo
	s_wait_loadcnt 0x0
	v_add_co_u32 v12, vcc_lo, v12, v21
	s_wait_alu 0xfffd
	v_add_co_ci_u32_e64 v13, null, v13, v22, vcc_lo
.LBB245_5:                              ;   Parent Loop BB245_3 Depth=1
                                        ; =>  This Inner Loop Header: Depth=2
	flat_load_b64 v[31:32], v[10:11]
	s_wait_alu 0xfffe
	s_add_nc_u64 s[28:29], s[28:29], 8
	v_add_co_u32 v10, vcc_lo, v10, s6
	s_wait_alu 0xfffe
	v_cmp_lt_i64_e64 s2, s[28:29], s[20:21]
	s_wait_alu 0xfffd
	v_add_co_ci_u32_e64 v11, null, s7, v11, vcc_lo
	s_and_b32 vcc_lo, exec_lo, s2
	s_wait_loadcnt_dscnt 0x0
	ds_store_b64 v15, v[31:32]
	flat_load_b64 v[31:32], v[12:13]
	v_add_co_u32 v12, s2, v12, s8
	s_wait_alu 0xf1ff
	v_add_co_ci_u32_e64 v13, null, s9, v13, s2
	s_wait_loadcnt_dscnt 0x0
	ds_store_b64 v16, v[31:32]
	s_wait_dscnt 0x0
	s_barrier_signal -1
	s_barrier_wait -1
	global_inv scope:SCOPE_SE
	ds_load_2addr_b64 v[31:34], v17 offset1:16
	ds_load_b128 v[35:38], v18
	ds_load_b128 v[39:42], v18 offset:1024
	ds_load_2addr_b64 v[43:46], v17 offset0:32 offset1:48
	ds_load_b128 v[47:50], v18 offset:16
	ds_load_b128 v[51:54], v18 offset:32
	;; [unrolled: 1-line block ×3, first 2 shown]
	ds_load_2addr_b64 v[59:62], v17 offset0:64 offset1:80
	ds_load_b128 v[63:66], v18 offset:1040
	ds_load_2addr_b64 v[67:70], v17 offset0:96 offset1:112
	ds_load_2addr_b64 v[71:74], v17 offset0:128 offset1:144
	;; [unrolled: 1-line block ×4, first 2 shown]
	ds_load_b128 v[83:86], v18 offset:1056
	ds_load_b128 v[87:90], v18 offset:1072
	ds_load_2addr_b64 v[91:94], v17 offset0:224 offset1:240
	s_wait_loadcnt_dscnt 0x0
	s_barrier_signal -1
	s_barrier_wait -1
	global_inv scope:SCOPE_SE
	v_dual_mul_f32 v95, v36, v32 :: v_dual_mul_f32 v98, v35, v34
	v_dual_mul_f32 v96, v35, v32 :: v_dual_mul_f32 v97, v36, v34
	v_mul_f32_e32 v99, v40, v32
	v_dual_mul_f32 v32, v39, v32 :: v_dual_mul_f32 v103, v38, v46
	v_dual_mul_f32 v100, v40, v34 :: v_dual_mul_f32 v101, v38, v44
	v_mul_f32_e32 v34, v39, v34
	v_dual_mul_f32 v102, v37, v44 :: v_dual_mul_f32 v109, v48, v62
	v_dual_mul_f32 v104, v37, v46 :: v_dual_mul_f32 v105, v42, v44
	;; [unrolled: 1-line block ×7, first 2 shown]
	v_mul_f32_e32 v60, v63, v60
	v_dual_mul_f32 v112, v64, v62 :: v_dual_mul_f32 v117, v66, v68
	v_fma_f32 v95, v35, v31, -v95
	v_fmac_f32_e32 v96, v36, v31
	v_fma_f32 v35, v35, v33, -v97
	v_fmac_f32_e32 v98, v36, v33
	v_fma_f32 v36, v39, v31, -v99
	v_dual_mul_f32 v62, v63, v62 :: v_dual_mul_f32 v119, v52, v72
	v_mul_f32_e32 v116, v49, v70
	v_mul_f32_e32 v118, v66, v70
	;; [unrolled: 1-line block ×3, first 2 shown]
	v_dual_mul_f32 v122, v51, v74 :: v_dual_mul_f32 v97, v53, v76
	v_fmac_f32_e32 v32, v40, v31
	v_fma_f32 v31, v39, v33, -v100
	v_fmac_f32_e32 v34, v40, v33
	v_mul_f32_e32 v33, v84, v72
	v_dual_mul_f32 v39, v83, v72 :: v_dual_mul_f32 v40, v84, v74
	v_dual_fmac_f32 v97, v54, v75 :: v_dual_mul_f32 v72, v83, v74
	v_fma_f32 v74, v37, v43, -v101
	v_dual_fmac_f32 v102, v38, v43 :: v_dual_add_f32 v25, v25, v36
	v_fma_f32 v37, v37, v45, -v103
	v_mul_f32_e32 v99, v54, v78
	v_fma_f32 v101, v41, v43, -v105
	v_fma_f32 v107, v47, v59, -v107
	v_fmac_f32_e32 v108, v48, v59
	v_dual_fmac_f32 v110, v48, v61 :: v_dual_add_f32 v29, v29, v95
	v_fmac_f32_e32 v44, v42, v43
	v_fma_f32 v48, v63, v59, -v111
	v_dual_fmac_f32 v60, v64, v59 :: v_dual_add_f32 v25, v25, v101
	v_fma_f32 v59, v63, v61, -v112
	v_dual_mul_f32 v63, v87, v80 :: v_dual_fmac_f32 v46, v42, v45
	v_dual_mul_f32 v42, v86, v76 :: v_dual_add_f32 v27, v27, v35
	v_fma_f32 v41, v41, v45, -v106
	v_fma_f32 v47, v47, v61, -v109
	v_dual_fmac_f32 v62, v64, v61 :: v_dual_add_f32 v23, v23, v31
	v_add_f32_e32 v29, v29, v74
	v_dual_add_f32 v27, v27, v37 :: v_dual_mul_f32 v114, v49, v68
	v_dual_mul_f32 v68, v65, v68 :: v_dual_mul_f32 v105, v56, v82
	v_dual_mul_f32 v70, v65, v70 :: v_dual_mul_f32 v103, v55, v80
	v_dual_fmac_f32 v104, v38, v45 :: v_dual_fmac_f32 v39, v84, v71
	v_mul_f32_e32 v38, v54, v76
	v_mul_f32_e32 v43, v85, v76
	;; [unrolled: 1-line block ×4, first 2 shown]
	v_dual_mul_f32 v106, v55, v82 :: v_dual_mul_f32 v61, v88, v80
	v_dual_mul_f32 v64, v88, v82 :: v_dual_add_f32 v23, v23, v41
	v_dual_fmac_f32 v116, v50, v69 :: v_dual_add_f32 v27, v27, v47
	v_mul_f32_e32 v109, v57, v92
	v_mul_f32_e32 v76, v85, v78
	;; [unrolled: 1-line block ×3, first 2 shown]
	v_dual_mul_f32 v80, v87, v82 :: v_dual_add_f32 v29, v29, v107
	v_fma_f32 v82, v49, v67, -v113
	v_fma_f32 v49, v49, v69, -v115
	v_dual_fmac_f32 v114, v50, v67 :: v_dual_add_f32 v25, v25, v48
	v_dual_mul_f32 v50, v58, v92 :: v_dual_add_f32 v23, v23, v59
	v_mul_f32_e32 v111, v58, v94
	s_delay_alu instid0(VALU_DEP_4) | instskip(SKIP_4) | instid1(VALU_DEP_4)
	v_dual_mul_f32 v112, v57, v94 :: v_dual_add_f32 v27, v27, v49
	v_fma_f32 v113, v65, v67, -v117
	v_dual_fmac_f32 v68, v66, v67 :: v_dual_add_f32 v29, v29, v82
	v_fma_f32 v65, v65, v69, -v118
	v_fmac_f32_e32 v70, v66, v69
	v_dual_mul_f32 v66, v90, v92 :: v_dual_add_f32 v25, v25, v113
	v_mul_f32_e32 v67, v89, v92
	v_mul_f32_e32 v69, v90, v94
	v_dual_mul_f32 v92, v89, v94 :: v_dual_add_f32 v23, v23, v65
	v_fma_f32 v94, v51, v71, -v119
	v_fma_f32 v51, v51, v73, -v121
	v_fmac_f32_e32 v122, v52, v73
	v_fma_f32 v33, v83, v71, -v33
	v_fmac_f32_e32 v120, v52, v71
	v_fma_f32 v40, v83, v73, -v40
	v_fma_f32 v52, v53, v77, -v99
	v_fmac_f32_e32 v103, v56, v79
	v_fma_f32 v38, v53, v75, -v38
	v_add_f32_e32 v29, v29, v94
	v_dual_add_f32 v27, v27, v51 :: v_dual_fmac_f32 v72, v84, v73
	v_add_f32_e32 v23, v23, v40
	v_fma_f32 v42, v85, v75, -v42
	v_fmac_f32_e32 v43, v86, v75
	v_dual_fmac_f32 v100, v54, v77 :: v_dual_add_f32 v29, v29, v38
	v_fma_f32 v45, v85, v77, -v45
	v_fma_f32 v53, v55, v79, -v78
	;; [unrolled: 1-line block ×3, first 2 shown]
	v_fmac_f32_e32 v109, v58, v91
	v_dual_fmac_f32 v76, v86, v77 :: v_dual_add_f32 v27, v27, v52
	v_add_f32_e32 v25, v25, v33
	v_fma_f32 v55, v87, v79, -v61
	v_fmac_f32_e32 v80, v88, v81
	v_fma_f32 v50, v57, v91, -v50
	v_fma_f32 v57, v57, v93, -v111
	v_dual_fmac_f32 v67, v90, v91 :: v_dual_fmac_f32 v106, v56, v81
	v_add_f32_e32 v25, v25, v42
	v_fma_f32 v56, v87, v81, -v64
	v_dual_add_f32 v30, v30, v96 :: v_dual_add_f32 v23, v23, v45
	v_dual_add_f32 v28, v28, v98 :: v_dual_add_f32 v29, v29, v53
	;; [unrolled: 1-line block ×3, first 2 shown]
	v_add_f32_e32 v24, v24, v34
	v_dual_fmac_f32 v63, v88, v79 :: v_dual_fmac_f32 v112, v58, v93
	v_add_f32_e32 v25, v25, v55
	v_fma_f32 v58, v89, v91, -v66
	v_fma_f32 v61, v89, v93, -v69
	v_dual_fmac_f32 v92, v90, v93 :: v_dual_add_f32 v23, v23, v56
	v_add_f32_e32 v30, v30, v102
	s_delay_alu instid0(VALU_DEP_4) | instskip(SKIP_2) | instid1(VALU_DEP_3)
	v_dual_add_f32 v28, v28, v104 :: v_dual_add_f32 v25, v25, v58
	v_dual_add_f32 v29, v29, v50 :: v_dual_add_f32 v26, v26, v44
	;; [unrolled: 1-line block ×4, first 2 shown]
	v_add_f32_e32 v30, v30, v108
	s_delay_alu instid0(VALU_DEP_4) | instskip(NEXT) | instid1(VALU_DEP_4)
	v_add_f32_e32 v26, v26, v60
	v_add_f32_e32 v24, v24, v62
	s_delay_alu instid0(VALU_DEP_4) | instskip(NEXT) | instid1(VALU_DEP_4)
	v_add_f32_e32 v28, v28, v116
	;; [unrolled: 3-line block ×11, first 2 shown]
	v_add_f32_e32 v24, v24, v92
	s_wait_alu 0xfffe
	s_cbranch_vccnz .LBB245_5
.LBB245_6:                              ;   in Loop: Header=BB245_3 Depth=1
	s_wait_loadcnt 0x0
	v_add_co_u32 v10, vcc_lo, v8, s14
	s_wait_alu 0xfffd
	v_add_co_ci_u32_e64 v11, null, s15, v9, vcc_lo
	s_and_b32 vcc_lo, exec_lo, s1
	s_mov_b32 s2, -1
                                        ; implicit-def: $vgpr12
                                        ; implicit-def: $vgpr8_vgpr9
	s_wait_alu 0xfffe
	s_cbranch_vccz .LBB245_8
; %bb.7:                                ;   in Loop: Header=BB245_3 Depth=1
	s_and_not1_b32 vcc_lo, exec_lo, s2
	s_wait_alu 0xfffe
	s_cbranch_vccnz .LBB245_2
	s_branch .LBB245_9
.LBB245_8:                              ;   in Loop: Header=BB245_3 Depth=1
	v_mul_f32_e32 v8, s23, v30
	v_add_co_u32 v9, vcc_lo, v10, v2
	s_wait_alu 0xfffd
	v_add_co_ci_u32_e64 v12, null, v11, v3, vcc_lo
	s_delay_alu instid0(VALU_DEP_3) | instskip(SKIP_4) | instid1(VALU_DEP_3)
	v_fma_f32 v31, v29, s22, -v8
	v_mul_f32_e32 v8, s23, v28
	v_add_co_u32 v35, vcc_lo, v9, v4
	s_wait_alu 0xfffd
	v_add_co_ci_u32_e64 v36, null, v12, v5, vcc_lo
	v_fma_f32 v33, v27, s22, -v8
	v_mul_f32_e32 v8, s23, v26
	v_add_co_u32 v9, vcc_lo, v9, s26
	s_wait_alu 0xfffd
	v_add_co_ci_u32_e64 v13, null, s27, v12, vcc_lo
	s_delay_alu instid0(VALU_DEP_3)
	v_fma_f32 v37, v25, s22, -v8
	v_mul_f32_e32 v8, s23, v24
	v_add_co_u32 v39, vcc_lo, v9, v4
	v_mul_f32_e32 v32, s22, v30
	v_mul_f32_e32 v38, s22, v26
	;; [unrolled: 1-line block ×3, first 2 shown]
	s_wait_alu 0xfffd
	v_add_co_ci_u32_e64 v40, null, v13, v5, vcc_lo
	v_mul_f32_e32 v34, s22, v28
	v_fma_f32 v13, v23, s22, -v8
	v_add_co_u32 v8, vcc_lo, 0x80, v39
	v_fmac_f32_e32 v32, s23, v29
	v_fmac_f32_e32 v38, s23, v25
	;; [unrolled: 1-line block ×3, first 2 shown]
	s_wait_alu 0xfffd
	v_add_co_ci_u32_e64 v9, null, 0, v40, vcc_lo
	v_fmac_f32_e32 v34, s23, v27
	s_clause 0x3
	flat_store_b64 v[35:36], v[31:32]
	flat_store_b64 v[35:36], v[33:34] offset:128
	flat_store_b64 v[39:40], v[37:38]
	flat_store_b32 v[39:40], v13 offset:128
	s_cbranch_execnz .LBB245_2
.LBB245_9:                              ;   in Loop: Header=BB245_3 Depth=1
	v_add_co_u32 v6, vcc_lo, v6, s16
	s_wait_alu 0xfffd
	v_add_co_ci_u32_e64 v7, null, s17, v7, vcc_lo
	s_delay_alu instid0(VALU_DEP_2) | instskip(SKIP_1) | instid1(VALU_DEP_2)
	v_add_co_u32 v12, vcc_lo, v6, v0
	s_wait_alu 0xfffd
	v_add_co_ci_u32_e64 v13, null, v7, v1, vcc_lo
	s_delay_alu instid0(VALU_DEP_2) | instskip(SKIP_1) | instid1(VALU_DEP_2)
	v_add_co_u32 v6, vcc_lo, v12, v4
	s_wait_alu 0xfffd
	v_add_co_ci_u32_e64 v7, null, v13, v5, vcc_lo
	v_add_co_u32 v34, vcc_lo, v10, v2
	s_wait_alu 0xfffd
	v_add_co_ci_u32_e64 v35, null, v11, v3, vcc_lo
	flat_load_b64 v[8:9], v[6:7]
	v_mul_f32_e32 v31, s23, v30
	s_wait_loadcnt_dscnt 0x0
	v_dual_mul_f32 v30, s22, v30 :: v_dual_mul_f32 v33, s36, v9
	v_mul_f32_e32 v32, s37, v9
	s_delay_alu instid0(VALU_DEP_3) | instskip(NEXT) | instid1(VALU_DEP_3)
	v_fma_f32 v10, v29, s22, -v31
	v_dual_fmac_f32 v30, s23, v29 :: v_dual_fmac_f32 v33, s37, v8
	s_delay_alu instid0(VALU_DEP_3) | instskip(SKIP_3) | instid1(VALU_DEP_3)
	v_fma_f32 v11, v8, s36, -v32
	v_add_co_u32 v8, vcc_lo, v34, v4
	s_wait_alu 0xfffd
	v_add_co_ci_u32_e64 v9, null, v35, v5, vcc_lo
	v_add_f32_e32 v10, v10, v11
	v_add_f32_e32 v11, v30, v33
	v_add_co_u32 v12, vcc_lo, v12, s24
	s_wait_alu 0xfffd
	v_add_co_ci_u32_e64 v13, null, s25, v13, vcc_lo
	flat_store_b64 v[8:9], v[10:11]
	flat_load_b64 v[6:7], v[6:7] offset:128
	v_mul_f32_e32 v10, s23, v28
	v_mul_f32_e32 v11, s22, v28
	s_delay_alu instid0(VALU_DEP_2) | instskip(NEXT) | instid1(VALU_DEP_2)
	v_fma_f32 v10, v27, s22, -v10
	v_fmac_f32_e32 v11, s23, v27
	s_wait_loadcnt_dscnt 0x0
	v_mul_f32_e32 v28, s37, v7
	v_mul_f32_e32 v7, s36, v7
	s_delay_alu instid0(VALU_DEP_1) | instskip(NEXT) | instid1(VALU_DEP_3)
	v_fmac_f32_e32 v7, s37, v6
	v_fma_f32 v27, v6, s36, -v28
	s_delay_alu instid0(VALU_DEP_2) | instskip(NEXT) | instid1(VALU_DEP_2)
	v_add_f32_e32 v7, v11, v7
	v_add_f32_e32 v6, v10, v27
	v_add_co_u32 v10, vcc_lo, v12, v4
	s_wait_alu 0xfffd
	v_add_co_ci_u32_e64 v11, null, v13, v5, vcc_lo
	flat_store_b64 v[8:9], v[6:7] offset:128
	v_mul_f32_e32 v8, s23, v26
	v_mul_f32_e32 v9, s22, v26
	flat_load_b64 v[6:7], v[10:11]
	v_fma_f32 v8, v25, s22, -v8
	s_wait_loadcnt_dscnt 0x0
	v_dual_fmac_f32 v9, s23, v25 :: v_dual_mul_f32 v12, s37, v7
	v_mul_f32_e32 v13, s36, v7
	v_add_co_u32 v7, vcc_lo, v34, s26
	s_wait_alu 0xfffd
	v_add_co_ci_u32_e64 v26, null, s27, v35, vcc_lo
	v_fma_f32 v12, v6, s36, -v12
	v_fmac_f32_e32 v13, s37, v6
	v_add_co_u32 v6, vcc_lo, v7, v4
	s_wait_alu 0xfffd
	v_add_co_ci_u32_e64 v7, null, v26, v5, vcc_lo
	s_delay_alu instid0(VALU_DEP_3) | instskip(SKIP_4) | instid1(VALU_DEP_2)
	v_dual_add_f32 v8, v8, v12 :: v_dual_add_f32 v9, v9, v13
	flat_store_b64 v[6:7], v[8:9]
	flat_load_b64 v[8:9], v[10:11] offset:128
	v_mul_f32_e32 v10, s23, v24
	v_mul_f32_e32 v11, s22, v24
	v_fma_f32 v10, v23, s22, -v10
	s_wait_loadcnt_dscnt 0x0
	s_delay_alu instid0(VALU_DEP_2) | instskip(SKIP_1) | instid1(VALU_DEP_2)
	v_dual_fmac_f32 v11, s23, v23 :: v_dual_mul_f32 v12, s37, v9
	v_mul_f32_e32 v9, s36, v9
	v_fma_f32 v12, v8, s36, -v12
	s_delay_alu instid0(VALU_DEP_2) | instskip(SKIP_1) | instid1(VALU_DEP_3)
	v_fmac_f32_e32 v9, s37, v8
	v_add_co_u32 v8, vcc_lo, 0x80, v6
	v_add_f32_e32 v10, v10, v12
	s_delay_alu instid0(VALU_DEP_3)
	v_add_f32_e32 v12, v11, v9
	s_wait_alu 0xfffd
	v_add_co_ci_u32_e64 v9, null, 0, v7, vcc_lo
	flat_store_b32 v[6:7], v10 offset:128
	s_branch .LBB245_2
.LBB245_10:
	s_nop 0
	s_sendmsg sendmsg(MSG_DEALLOC_VGPRS)
	s_endpgm
	.section	.rodata,"a",@progbits
	.p2align	6, 0x0
	.amdhsa_kernel _ZN12_GLOBAL__N_127rocblas_gemm_batched_kernelI19rocblas_complex_numIfELi16ELi16ELi32ELi32ELi8ELi32ELi8ELi8ELi32ELc78ELc84EKPKS2_S5_KPS2_EEvlllT_PT11_llSA_llS8_PT12_llPT13_lli
		.amdhsa_group_segment_fixed_size 4096
		.amdhsa_private_segment_fixed_size 0
		.amdhsa_kernarg_size 140
		.amdhsa_user_sgpr_count 2
		.amdhsa_user_sgpr_dispatch_ptr 0
		.amdhsa_user_sgpr_queue_ptr 0
		.amdhsa_user_sgpr_kernarg_segment_ptr 1
		.amdhsa_user_sgpr_dispatch_id 0
		.amdhsa_user_sgpr_private_segment_size 0
		.amdhsa_wavefront_size32 1
		.amdhsa_uses_dynamic_stack 0
		.amdhsa_enable_private_segment 0
		.amdhsa_system_sgpr_workgroup_id_x 1
		.amdhsa_system_sgpr_workgroup_id_y 1
		.amdhsa_system_sgpr_workgroup_id_z 1
		.amdhsa_system_sgpr_workgroup_info 0
		.amdhsa_system_vgpr_workitem_id 1
		.amdhsa_next_free_vgpr 123
		.amdhsa_next_free_sgpr 39
		.amdhsa_reserve_vcc 1
		.amdhsa_float_round_mode_32 0
		.amdhsa_float_round_mode_16_64 0
		.amdhsa_float_denorm_mode_32 3
		.amdhsa_float_denorm_mode_16_64 3
		.amdhsa_fp16_overflow 0
		.amdhsa_workgroup_processor_mode 1
		.amdhsa_memory_ordered 1
		.amdhsa_forward_progress 1
		.amdhsa_inst_pref_size 23
		.amdhsa_round_robin_scheduling 0
		.amdhsa_exception_fp_ieee_invalid_op 0
		.amdhsa_exception_fp_denorm_src 0
		.amdhsa_exception_fp_ieee_div_zero 0
		.amdhsa_exception_fp_ieee_overflow 0
		.amdhsa_exception_fp_ieee_underflow 0
		.amdhsa_exception_fp_ieee_inexact 0
		.amdhsa_exception_int_div_zero 0
	.end_amdhsa_kernel
	.section	.text._ZN12_GLOBAL__N_127rocblas_gemm_batched_kernelI19rocblas_complex_numIfELi16ELi16ELi32ELi32ELi8ELi32ELi8ELi8ELi32ELc78ELc84EKPKS2_S5_KPS2_EEvlllT_PT11_llSA_llS8_PT12_llPT13_lli,"axG",@progbits,_ZN12_GLOBAL__N_127rocblas_gemm_batched_kernelI19rocblas_complex_numIfELi16ELi16ELi32ELi32ELi8ELi32ELi8ELi8ELi32ELc78ELc84EKPKS2_S5_KPS2_EEvlllT_PT11_llSA_llS8_PT12_llPT13_lli,comdat
.Lfunc_end245:
	.size	_ZN12_GLOBAL__N_127rocblas_gemm_batched_kernelI19rocblas_complex_numIfELi16ELi16ELi32ELi32ELi8ELi32ELi8ELi8ELi32ELc78ELc84EKPKS2_S5_KPS2_EEvlllT_PT11_llSA_llS8_PT12_llPT13_lli, .Lfunc_end245-_ZN12_GLOBAL__N_127rocblas_gemm_batched_kernelI19rocblas_complex_numIfELi16ELi16ELi32ELi32ELi8ELi32ELi8ELi8ELi32ELc78ELc84EKPKS2_S5_KPS2_EEvlllT_PT11_llSA_llS8_PT12_llPT13_lli
                                        ; -- End function
	.set _ZN12_GLOBAL__N_127rocblas_gemm_batched_kernelI19rocblas_complex_numIfELi16ELi16ELi32ELi32ELi8ELi32ELi8ELi8ELi32ELc78ELc84EKPKS2_S5_KPS2_EEvlllT_PT11_llSA_llS8_PT12_llPT13_lli.num_vgpr, 123
	.set _ZN12_GLOBAL__N_127rocblas_gemm_batched_kernelI19rocblas_complex_numIfELi16ELi16ELi32ELi32ELi8ELi32ELi8ELi8ELi32ELc78ELc84EKPKS2_S5_KPS2_EEvlllT_PT11_llSA_llS8_PT12_llPT13_lli.num_agpr, 0
	.set _ZN12_GLOBAL__N_127rocblas_gemm_batched_kernelI19rocblas_complex_numIfELi16ELi16ELi32ELi32ELi8ELi32ELi8ELi8ELi32ELc78ELc84EKPKS2_S5_KPS2_EEvlllT_PT11_llSA_llS8_PT12_llPT13_lli.numbered_sgpr, 39
	.set _ZN12_GLOBAL__N_127rocblas_gemm_batched_kernelI19rocblas_complex_numIfELi16ELi16ELi32ELi32ELi8ELi32ELi8ELi8ELi32ELc78ELc84EKPKS2_S5_KPS2_EEvlllT_PT11_llSA_llS8_PT12_llPT13_lli.num_named_barrier, 0
	.set _ZN12_GLOBAL__N_127rocblas_gemm_batched_kernelI19rocblas_complex_numIfELi16ELi16ELi32ELi32ELi8ELi32ELi8ELi8ELi32ELc78ELc84EKPKS2_S5_KPS2_EEvlllT_PT11_llSA_llS8_PT12_llPT13_lli.private_seg_size, 0
	.set _ZN12_GLOBAL__N_127rocblas_gemm_batched_kernelI19rocblas_complex_numIfELi16ELi16ELi32ELi32ELi8ELi32ELi8ELi8ELi32ELc78ELc84EKPKS2_S5_KPS2_EEvlllT_PT11_llSA_llS8_PT12_llPT13_lli.uses_vcc, 1
	.set _ZN12_GLOBAL__N_127rocblas_gemm_batched_kernelI19rocblas_complex_numIfELi16ELi16ELi32ELi32ELi8ELi32ELi8ELi8ELi32ELc78ELc84EKPKS2_S5_KPS2_EEvlllT_PT11_llSA_llS8_PT12_llPT13_lli.uses_flat_scratch, 1
	.set _ZN12_GLOBAL__N_127rocblas_gemm_batched_kernelI19rocblas_complex_numIfELi16ELi16ELi32ELi32ELi8ELi32ELi8ELi8ELi32ELc78ELc84EKPKS2_S5_KPS2_EEvlllT_PT11_llSA_llS8_PT12_llPT13_lli.has_dyn_sized_stack, 0
	.set _ZN12_GLOBAL__N_127rocblas_gemm_batched_kernelI19rocblas_complex_numIfELi16ELi16ELi32ELi32ELi8ELi32ELi8ELi8ELi32ELc78ELc84EKPKS2_S5_KPS2_EEvlllT_PT11_llSA_llS8_PT12_llPT13_lli.has_recursion, 0
	.set _ZN12_GLOBAL__N_127rocblas_gemm_batched_kernelI19rocblas_complex_numIfELi16ELi16ELi32ELi32ELi8ELi32ELi8ELi8ELi32ELc78ELc84EKPKS2_S5_KPS2_EEvlllT_PT11_llSA_llS8_PT12_llPT13_lli.has_indirect_call, 0
	.section	.AMDGPU.csdata,"",@progbits
; Kernel info:
; codeLenInByte = 2880
; TotalNumSgprs: 41
; NumVgprs: 123
; ScratchSize: 0
; MemoryBound: 0
; FloatMode: 240
; IeeeMode: 1
; LDSByteSize: 4096 bytes/workgroup (compile time only)
; SGPRBlocks: 0
; VGPRBlocks: 15
; NumSGPRsForWavesPerEU: 41
; NumVGPRsForWavesPerEU: 123
; Occupancy: 10
; WaveLimiterHint : 1
; COMPUTE_PGM_RSRC2:SCRATCH_EN: 0
; COMPUTE_PGM_RSRC2:USER_SGPR: 2
; COMPUTE_PGM_RSRC2:TRAP_HANDLER: 0
; COMPUTE_PGM_RSRC2:TGID_X_EN: 1
; COMPUTE_PGM_RSRC2:TGID_Y_EN: 1
; COMPUTE_PGM_RSRC2:TGID_Z_EN: 1
; COMPUTE_PGM_RSRC2:TIDIG_COMP_CNT: 1
	.section	.text._ZN12_GLOBAL__N_127rocblas_gemm_batched_kernelI19rocblas_complex_numIfELi16ELi16ELi32ELi32ELi8ELi32ELi8ELi8ELi32ELc84ELc84EKPKS2_S5_KPS2_EEvlllT_PT11_llSA_llS8_PT12_llPT13_lli,"axG",@progbits,_ZN12_GLOBAL__N_127rocblas_gemm_batched_kernelI19rocblas_complex_numIfELi16ELi16ELi32ELi32ELi8ELi32ELi8ELi8ELi32ELc84ELc84EKPKS2_S5_KPS2_EEvlllT_PT11_llSA_llS8_PT12_llPT13_lli,comdat
	.globl	_ZN12_GLOBAL__N_127rocblas_gemm_batched_kernelI19rocblas_complex_numIfELi16ELi16ELi32ELi32ELi8ELi32ELi8ELi8ELi32ELc84ELc84EKPKS2_S5_KPS2_EEvlllT_PT11_llSA_llS8_PT12_llPT13_lli ; -- Begin function _ZN12_GLOBAL__N_127rocblas_gemm_batched_kernelI19rocblas_complex_numIfELi16ELi16ELi32ELi32ELi8ELi32ELi8ELi8ELi32ELc84ELc84EKPKS2_S5_KPS2_EEvlllT_PT11_llSA_llS8_PT12_llPT13_lli
	.p2align	8
	.type	_ZN12_GLOBAL__N_127rocblas_gemm_batched_kernelI19rocblas_complex_numIfELi16ELi16ELi32ELi32ELi8ELi32ELi8ELi8ELi32ELc84ELc84EKPKS2_S5_KPS2_EEvlllT_PT11_llSA_llS8_PT12_llPT13_lli,@function
_ZN12_GLOBAL__N_127rocblas_gemm_batched_kernelI19rocblas_complex_numIfELi16ELi16ELi32ELi32ELi8ELi32ELi8ELi8ELi32ELc84ELc84EKPKS2_S5_KPS2_EEvlllT_PT11_llSA_llS8_PT12_llPT13_lli: ; @_ZN12_GLOBAL__N_127rocblas_gemm_batched_kernelI19rocblas_complex_numIfELi16ELi16ELi32ELi32ELi8ELi32ELi8ELi8ELi32ELc84ELc84EKPKS2_S5_KPS2_EEvlllT_PT11_llSA_llS8_PT12_llPT13_lli
; %bb.0:
	s_load_b32 s33, s[0:1], 0x88
	s_lshr_b32 s34, ttmp7, 16
	s_wait_kmcnt 0x0
	s_cmp_ge_i32 s34, s33
	s_cbranch_scc1 .LBB246_10
; %bb.1:
	v_dual_mov_b32 v14, 0 :: v_dual_and_b32 v11, 0x3ff, v0
	v_bfe_u32 v6, v0, 10, 10
	s_clause 0x3
	s_load_b128 s[28:31], s[0:1], 0x40
	s_load_b128 s[20:23], s[0:1], 0x10
	s_load_b256 s[4:11], s[0:1], 0x20
	s_load_b128 s[24:27], s[0:1], 0x78
	s_lshl_b32 s3, ttmp7, 5
	s_clause 0x1
	s_load_b64 s[36:37], s[0:1], 0x50
	s_load_b256 s[12:19], s[0:1], 0x58
	v_lshl_add_u32 v2, v6, 4, v11
	s_and_b32 s38, s3, 0x1fffe0
	v_and_b32_e32 v4, 7, v0
	s_mov_b32 s2, ttmp9
	v_add_nc_u32_e32 v10, s38, v6
	v_lshrrev_b32_e32 v3, 3, v2
	v_and_b32_e32 v7, 31, v2
	v_lshlrev_b32_e32 v5, 3, v4
	v_lshl_add_u32 v18, v6, 6, 0x800
	v_lshrrev_b32_e32 v12, 5, v2
	v_add_co_u32 v0, s3, v3, s38
	s_delay_alu instid0(VALU_DEP_1)
	v_add_co_ci_u32_e64 v1, null, 0, 0, s3
	s_ashr_i32 s3, ttmp9, 31
	v_lshlrev_b32_e32 v8, 3, v7
	s_wait_alu 0xfffe
	s_lshl_b64 s[0:1], s[2:3], 5
	s_wait_kmcnt 0x0
	v_mad_co_u64_u32 v[0:1], null, s28, v4, v[0:1]
	v_or_b32_e32 v7, s0, v7
	v_lshl_or_b32 v5, v3, 6, v5
	s_or_b32 s2, s36, s37
	v_lshl_or_b32 v16, v12, 8, v8
	s_wait_alu 0xfffe
	s_bitset0_b32 s2, 31
	v_mul_lo_u32 v13, s7, v7
	v_mad_co_u64_u32 v[6:7], null, s6, v7, 0
	v_mad_co_u64_u32 v[1:2], null, s29, v4, v[1:2]
	;; [unrolled: 1-line block ×3, first 2 shown]
	v_add_nc_u32_e32 v17, 0x800, v5
	v_mad_co_u64_u32 v[4:5], null, v10, s14, 0
	s_wait_alu 0xfffe
	s_cmp_eq_u32 s2, 0
	s_mul_i32 s2, s6, s1
	v_lshlrev_b32_e32 v15, 3, v11
	s_wait_alu 0xfffe
	v_add3_u32 v7, v7, s2, v13
	s_cselect_b32 s38, -1, 0
	v_cmp_gt_i64_e64 s6, s[20:21], 0
	v_mad_co_u64_u32 v[8:9], null, v10, s25, v[3:4]
	v_mad_co_u64_u32 v[9:10], null, v10, s15, v[5:6]
	v_lshlrev_b64_e32 v[6:7], 3, v[6:7]
	v_add_co_u32 v10, s0, s0, v11
	s_wait_alu 0xf1ff
	v_add_co_ci_u32_e64 v11, null, s1, 0, s0
	s_lshl_b64 s[0:1], s[8:9], 3
	v_dual_mov_b32 v3, v8 :: v_dual_lshlrev_b32 v8, 3, v12
	s_wait_alu 0xfffe
	v_add_co_u32 v6, vcc_lo, v6, s0
	v_lshlrev_b64_e32 v[0:1], 3, v[0:1]
	v_add_co_ci_u32_e64 v7, null, s1, v7, vcc_lo
	s_delay_alu instid0(VALU_DEP_3)
	v_add_co_u32 v19, vcc_lo, v6, v8
	v_cndmask_b32_e64 v6, 0, 1, s6
	s_lshl_b64 s[0:1], s[30:31], 3
	v_mov_b32_e32 v5, v9
	s_wait_alu 0xfffd
	v_add_co_ci_u32_e64 v20, null, 0, v7, vcc_lo
	s_wait_alu 0xfffe
	v_add_co_u32 v21, vcc_lo, s0, v0
	v_cmp_ne_u32_e64 s0, 1, v6
	v_cndmask_b32_e64 v6, 0, 1, s38
	s_wait_alu 0xfffd
	v_add_co_ci_u32_e64 v22, null, s1, v1, vcc_lo
	v_lshlrev_b64_e32 v[0:1], 3, v[4:5]
	v_lshlrev_b64_e32 v[2:3], 3, v[2:3]
	;; [unrolled: 1-line block ×3, first 2 shown]
	v_cmp_ne_u32_e64 s1, 1, v6
	s_lshl_b64 s[2:3], s[24:25], 4
	s_lshl_b64 s[24:25], s[14:15], 4
	s_mov_b32 s35, 0
	s_lshl_b64 s[6:7], s[28:29], 6
	s_lshl_b64 s[8:9], s[26:27], 3
	;; [unrolled: 1-line block ×3, first 2 shown]
	s_wait_alu 0xfffe
	s_lshl_b64 s[16:17], s[24:25], 3
	s_lshl_b64 s[24:25], s[2:3], 3
	s_branch .LBB246_3
.LBB246_2:                              ;   in Loop: Header=BB246_3 Depth=1
	s_add_co_i32 s34, s34, 0x10000
	flat_store_b32 v[8:9], v12 offset:4
	s_cmp_lt_i32 s34, s33
	s_cbranch_scc0 .LBB246_10
.LBB246_3:                              ; =>This Loop Header: Depth=1
                                        ;     Child Loop BB246_5 Depth 2
	s_lshl_b64 s[2:3], s[34:35], 3
	v_dual_mov_b32 v29, 0 :: v_dual_mov_b32 v30, 0
	s_wait_alu 0xfffe
	s_add_nc_u64 s[26:27], s[12:13], s[2:3]
	s_add_nc_u64 s[28:29], s[18:19], s[2:3]
	s_clause 0x1
	global_load_b64 v[6:7], v14, s[26:27]
	global_load_b64 v[8:9], v14, s[28:29]
	v_dual_mov_b32 v27, 0 :: v_dual_mov_b32 v28, 0
	v_dual_mov_b32 v25, 0 :: v_dual_mov_b32 v26, 0
	;; [unrolled: 1-line block ×3, first 2 shown]
	s_and_b32 vcc_lo, exec_lo, s0
	s_wait_alu 0xfffe
	s_cbranch_vccnz .LBB246_6
; %bb.4:                                ;   in Loop: Header=BB246_3 Depth=1
	s_add_nc_u64 s[26:27], s[4:5], s[2:3]
	s_add_nc_u64 s[2:3], s[10:11], s[2:3]
	s_clause 0x1
	global_load_b64 v[10:11], v14, s[26:27]
	global_load_b64 v[12:13], v14, s[2:3]
	v_dual_mov_b32 v24, 0 :: v_dual_mov_b32 v23, 0
	v_dual_mov_b32 v26, 0 :: v_dual_mov_b32 v25, 0
	;; [unrolled: 1-line block ×4, first 2 shown]
	s_mov_b64 s[26:27], 0
	s_wait_loadcnt 0x1
	v_add_co_u32 v10, vcc_lo, v10, v19
	s_wait_alu 0xfffd
	v_add_co_ci_u32_e64 v11, null, v11, v20, vcc_lo
	s_wait_loadcnt 0x0
	v_add_co_u32 v12, vcc_lo, v12, v21
	s_wait_alu 0xfffd
	v_add_co_ci_u32_e64 v13, null, v13, v22, vcc_lo
.LBB246_5:                              ;   Parent Loop BB246_3 Depth=1
                                        ; =>  This Inner Loop Header: Depth=2
	flat_load_b64 v[31:32], v[10:11]
	s_wait_alu 0xfffe
	s_add_nc_u64 s[26:27], s[26:27], 8
	v_add_co_u32 v10, vcc_lo, v10, 64
	s_wait_alu 0xfffe
	v_cmp_lt_i64_e64 s2, s[26:27], s[20:21]
	s_wait_alu 0xfffd
	v_add_co_ci_u32_e64 v11, null, 0, v11, vcc_lo
	s_and_b32 vcc_lo, exec_lo, s2
	s_wait_loadcnt_dscnt 0x0
	ds_store_b64 v16, v[31:32]
	flat_load_b64 v[31:32], v[12:13]
	v_add_co_u32 v12, s2, v12, s6
	s_wait_alu 0xf1ff
	v_add_co_ci_u32_e64 v13, null, s7, v13, s2
	s_wait_loadcnt_dscnt 0x0
	ds_store_b64 v17, v[31:32]
	s_wait_dscnt 0x0
	s_barrier_signal -1
	s_barrier_wait -1
	global_inv scope:SCOPE_SE
	ds_load_2addr_b64 v[31:34], v15 offset1:16
	ds_load_b128 v[35:38], v18
	ds_load_b128 v[39:42], v18 offset:1024
	ds_load_2addr_b64 v[43:46], v15 offset0:32 offset1:48
	ds_load_b128 v[47:50], v18 offset:16
	ds_load_b128 v[51:54], v18 offset:32
	;; [unrolled: 1-line block ×3, first 2 shown]
	ds_load_2addr_b64 v[59:62], v15 offset0:64 offset1:80
	ds_load_b128 v[63:66], v18 offset:1040
	ds_load_2addr_b64 v[67:70], v15 offset0:96 offset1:112
	ds_load_2addr_b64 v[71:74], v15 offset0:128 offset1:144
	;; [unrolled: 1-line block ×4, first 2 shown]
	ds_load_b128 v[83:86], v18 offset:1056
	ds_load_b128 v[87:90], v18 offset:1072
	ds_load_2addr_b64 v[91:94], v15 offset0:224 offset1:240
	s_wait_loadcnt_dscnt 0x0
	s_barrier_signal -1
	s_barrier_wait -1
	global_inv scope:SCOPE_SE
	v_dual_mul_f32 v95, v36, v32 :: v_dual_mul_f32 v98, v35, v34
	v_dual_mul_f32 v96, v35, v32 :: v_dual_mul_f32 v97, v36, v34
	v_mul_f32_e32 v99, v40, v32
	v_dual_mul_f32 v32, v39, v32 :: v_dual_mul_f32 v103, v38, v46
	v_dual_mul_f32 v100, v40, v34 :: v_dual_mul_f32 v101, v38, v44
	v_mul_f32_e32 v34, v39, v34
	v_dual_mul_f32 v102, v37, v44 :: v_dual_mul_f32 v109, v48, v62
	v_dual_mul_f32 v104, v37, v46 :: v_dual_mul_f32 v105, v42, v44
	;; [unrolled: 1-line block ×7, first 2 shown]
	v_mul_f32_e32 v60, v63, v60
	v_dual_mul_f32 v112, v64, v62 :: v_dual_mul_f32 v117, v66, v68
	v_fma_f32 v95, v35, v31, -v95
	v_fmac_f32_e32 v96, v36, v31
	v_fma_f32 v35, v35, v33, -v97
	v_fmac_f32_e32 v98, v36, v33
	v_fma_f32 v36, v39, v31, -v99
	v_dual_mul_f32 v62, v63, v62 :: v_dual_mul_f32 v119, v52, v72
	v_mul_f32_e32 v116, v49, v70
	v_mul_f32_e32 v118, v66, v70
	;; [unrolled: 1-line block ×3, first 2 shown]
	v_dual_mul_f32 v122, v51, v74 :: v_dual_mul_f32 v97, v53, v76
	v_fmac_f32_e32 v32, v40, v31
	v_fma_f32 v31, v39, v33, -v100
	v_fmac_f32_e32 v34, v40, v33
	v_mul_f32_e32 v33, v84, v72
	v_dual_mul_f32 v39, v83, v72 :: v_dual_mul_f32 v40, v84, v74
	v_dual_fmac_f32 v97, v54, v75 :: v_dual_mul_f32 v72, v83, v74
	v_fma_f32 v74, v37, v43, -v101
	v_dual_fmac_f32 v102, v38, v43 :: v_dual_add_f32 v25, v25, v36
	v_fma_f32 v37, v37, v45, -v103
	v_mul_f32_e32 v99, v54, v78
	v_fma_f32 v101, v41, v43, -v105
	v_fma_f32 v107, v47, v59, -v107
	v_fmac_f32_e32 v108, v48, v59
	v_dual_fmac_f32 v110, v48, v61 :: v_dual_add_f32 v29, v29, v95
	v_fmac_f32_e32 v44, v42, v43
	v_fma_f32 v48, v63, v59, -v111
	v_dual_fmac_f32 v60, v64, v59 :: v_dual_add_f32 v25, v25, v101
	v_fma_f32 v59, v63, v61, -v112
	v_dual_mul_f32 v63, v87, v80 :: v_dual_fmac_f32 v46, v42, v45
	v_dual_mul_f32 v42, v86, v76 :: v_dual_add_f32 v27, v27, v35
	v_fma_f32 v41, v41, v45, -v106
	v_fma_f32 v47, v47, v61, -v109
	v_dual_fmac_f32 v62, v64, v61 :: v_dual_add_f32 v23, v23, v31
	v_add_f32_e32 v29, v29, v74
	v_dual_add_f32 v27, v27, v37 :: v_dual_mul_f32 v114, v49, v68
	v_dual_mul_f32 v68, v65, v68 :: v_dual_mul_f32 v105, v56, v82
	v_dual_mul_f32 v70, v65, v70 :: v_dual_mul_f32 v103, v55, v80
	v_dual_fmac_f32 v104, v38, v45 :: v_dual_fmac_f32 v39, v84, v71
	v_mul_f32_e32 v38, v54, v76
	v_mul_f32_e32 v43, v85, v76
	;; [unrolled: 1-line block ×4, first 2 shown]
	v_dual_mul_f32 v106, v55, v82 :: v_dual_mul_f32 v61, v88, v80
	v_dual_mul_f32 v64, v88, v82 :: v_dual_add_f32 v23, v23, v41
	v_dual_fmac_f32 v116, v50, v69 :: v_dual_add_f32 v27, v27, v47
	v_mul_f32_e32 v109, v57, v92
	v_mul_f32_e32 v76, v85, v78
	;; [unrolled: 1-line block ×3, first 2 shown]
	v_dual_mul_f32 v80, v87, v82 :: v_dual_add_f32 v29, v29, v107
	v_fma_f32 v82, v49, v67, -v113
	v_fma_f32 v49, v49, v69, -v115
	v_dual_fmac_f32 v114, v50, v67 :: v_dual_add_f32 v25, v25, v48
	v_dual_mul_f32 v50, v58, v92 :: v_dual_add_f32 v23, v23, v59
	v_mul_f32_e32 v111, v58, v94
	s_delay_alu instid0(VALU_DEP_4) | instskip(SKIP_4) | instid1(VALU_DEP_4)
	v_dual_mul_f32 v112, v57, v94 :: v_dual_add_f32 v27, v27, v49
	v_fma_f32 v113, v65, v67, -v117
	v_dual_fmac_f32 v68, v66, v67 :: v_dual_add_f32 v29, v29, v82
	v_fma_f32 v65, v65, v69, -v118
	v_fmac_f32_e32 v70, v66, v69
	v_dual_mul_f32 v66, v90, v92 :: v_dual_add_f32 v25, v25, v113
	v_mul_f32_e32 v67, v89, v92
	v_mul_f32_e32 v69, v90, v94
	v_dual_mul_f32 v92, v89, v94 :: v_dual_add_f32 v23, v23, v65
	v_fma_f32 v94, v51, v71, -v119
	v_fma_f32 v51, v51, v73, -v121
	v_fmac_f32_e32 v122, v52, v73
	v_fma_f32 v33, v83, v71, -v33
	v_fmac_f32_e32 v120, v52, v71
	v_fma_f32 v40, v83, v73, -v40
	v_fma_f32 v52, v53, v77, -v99
	v_fmac_f32_e32 v103, v56, v79
	v_fma_f32 v38, v53, v75, -v38
	v_add_f32_e32 v29, v29, v94
	v_dual_add_f32 v27, v27, v51 :: v_dual_fmac_f32 v72, v84, v73
	v_add_f32_e32 v23, v23, v40
	v_fma_f32 v42, v85, v75, -v42
	v_fmac_f32_e32 v43, v86, v75
	v_dual_fmac_f32 v100, v54, v77 :: v_dual_add_f32 v29, v29, v38
	v_fma_f32 v45, v85, v77, -v45
	v_fma_f32 v53, v55, v79, -v78
	;; [unrolled: 1-line block ×3, first 2 shown]
	v_fmac_f32_e32 v109, v58, v91
	v_dual_fmac_f32 v76, v86, v77 :: v_dual_add_f32 v27, v27, v52
	v_add_f32_e32 v25, v25, v33
	v_fma_f32 v55, v87, v79, -v61
	v_fmac_f32_e32 v80, v88, v81
	v_fma_f32 v50, v57, v91, -v50
	v_fma_f32 v57, v57, v93, -v111
	v_dual_fmac_f32 v67, v90, v91 :: v_dual_fmac_f32 v106, v56, v81
	v_add_f32_e32 v25, v25, v42
	v_fma_f32 v56, v87, v81, -v64
	v_dual_add_f32 v30, v30, v96 :: v_dual_add_f32 v23, v23, v45
	v_dual_add_f32 v28, v28, v98 :: v_dual_add_f32 v29, v29, v53
	;; [unrolled: 1-line block ×3, first 2 shown]
	v_add_f32_e32 v24, v24, v34
	v_dual_fmac_f32 v63, v88, v79 :: v_dual_fmac_f32 v112, v58, v93
	v_add_f32_e32 v25, v25, v55
	v_fma_f32 v58, v89, v91, -v66
	v_fma_f32 v61, v89, v93, -v69
	v_dual_fmac_f32 v92, v90, v93 :: v_dual_add_f32 v23, v23, v56
	v_add_f32_e32 v30, v30, v102
	s_delay_alu instid0(VALU_DEP_4) | instskip(SKIP_2) | instid1(VALU_DEP_3)
	v_dual_add_f32 v28, v28, v104 :: v_dual_add_f32 v25, v25, v58
	v_dual_add_f32 v29, v29, v50 :: v_dual_add_f32 v26, v26, v44
	;; [unrolled: 1-line block ×4, first 2 shown]
	v_add_f32_e32 v30, v30, v108
	s_delay_alu instid0(VALU_DEP_4) | instskip(NEXT) | instid1(VALU_DEP_4)
	v_add_f32_e32 v26, v26, v60
	v_add_f32_e32 v24, v24, v62
	s_delay_alu instid0(VALU_DEP_4) | instskip(NEXT) | instid1(VALU_DEP_4)
	v_add_f32_e32 v28, v28, v116
	;; [unrolled: 3-line block ×11, first 2 shown]
	v_add_f32_e32 v24, v24, v92
	s_wait_alu 0xfffe
	s_cbranch_vccnz .LBB246_5
.LBB246_6:                              ;   in Loop: Header=BB246_3 Depth=1
	s_wait_loadcnt 0x0
	v_add_co_u32 v10, vcc_lo, v8, s8
	s_wait_alu 0xfffd
	v_add_co_ci_u32_e64 v11, null, s9, v9, vcc_lo
	s_and_b32 vcc_lo, exec_lo, s1
	s_mov_b32 s2, -1
                                        ; implicit-def: $vgpr12
                                        ; implicit-def: $vgpr8_vgpr9
	s_wait_alu 0xfffe
	s_cbranch_vccz .LBB246_8
; %bb.7:                                ;   in Loop: Header=BB246_3 Depth=1
	s_and_not1_b32 vcc_lo, exec_lo, s2
	s_wait_alu 0xfffe
	s_cbranch_vccnz .LBB246_2
	s_branch .LBB246_9
.LBB246_8:                              ;   in Loop: Header=BB246_3 Depth=1
	v_mul_f32_e32 v8, s23, v30
	v_add_co_u32 v9, vcc_lo, v10, v2
	s_wait_alu 0xfffd
	v_add_co_ci_u32_e64 v12, null, v11, v3, vcc_lo
	s_delay_alu instid0(VALU_DEP_3) | instskip(SKIP_4) | instid1(VALU_DEP_3)
	v_fma_f32 v31, v29, s22, -v8
	v_mul_f32_e32 v8, s23, v28
	v_add_co_u32 v35, vcc_lo, v9, v4
	s_wait_alu 0xfffd
	v_add_co_ci_u32_e64 v36, null, v12, v5, vcc_lo
	v_fma_f32 v33, v27, s22, -v8
	v_mul_f32_e32 v8, s23, v26
	v_add_co_u32 v9, vcc_lo, v9, s24
	s_wait_alu 0xfffd
	v_add_co_ci_u32_e64 v13, null, s25, v12, vcc_lo
	s_delay_alu instid0(VALU_DEP_3)
	v_fma_f32 v37, v25, s22, -v8
	v_mul_f32_e32 v8, s23, v24
	v_add_co_u32 v39, vcc_lo, v9, v4
	v_mul_f32_e32 v32, s22, v30
	v_mul_f32_e32 v38, s22, v26
	;; [unrolled: 1-line block ×3, first 2 shown]
	s_wait_alu 0xfffd
	v_add_co_ci_u32_e64 v40, null, v13, v5, vcc_lo
	v_mul_f32_e32 v34, s22, v28
	v_fma_f32 v13, v23, s22, -v8
	v_add_co_u32 v8, vcc_lo, 0x80, v39
	v_fmac_f32_e32 v32, s23, v29
	v_fmac_f32_e32 v38, s23, v25
	v_fmac_f32_e32 v12, s23, v23
	s_wait_alu 0xfffd
	v_add_co_ci_u32_e64 v9, null, 0, v40, vcc_lo
	v_fmac_f32_e32 v34, s23, v27
	s_clause 0x3
	flat_store_b64 v[35:36], v[31:32]
	flat_store_b64 v[35:36], v[33:34] offset:128
	flat_store_b64 v[39:40], v[37:38]
	flat_store_b32 v[39:40], v13 offset:128
	s_cbranch_execnz .LBB246_2
.LBB246_9:                              ;   in Loop: Header=BB246_3 Depth=1
	v_add_co_u32 v6, vcc_lo, v6, s14
	s_wait_alu 0xfffd
	v_add_co_ci_u32_e64 v7, null, s15, v7, vcc_lo
	s_delay_alu instid0(VALU_DEP_2) | instskip(SKIP_1) | instid1(VALU_DEP_2)
	v_add_co_u32 v12, vcc_lo, v6, v0
	s_wait_alu 0xfffd
	v_add_co_ci_u32_e64 v13, null, v7, v1, vcc_lo
	s_delay_alu instid0(VALU_DEP_2) | instskip(SKIP_1) | instid1(VALU_DEP_2)
	v_add_co_u32 v6, vcc_lo, v12, v4
	s_wait_alu 0xfffd
	v_add_co_ci_u32_e64 v7, null, v13, v5, vcc_lo
	v_add_co_u32 v34, vcc_lo, v10, v2
	s_wait_alu 0xfffd
	v_add_co_ci_u32_e64 v35, null, v11, v3, vcc_lo
	flat_load_b64 v[8:9], v[6:7]
	v_mul_f32_e32 v31, s23, v30
	s_wait_loadcnt_dscnt 0x0
	v_dual_mul_f32 v30, s22, v30 :: v_dual_mul_f32 v33, s36, v9
	v_mul_f32_e32 v32, s37, v9
	s_delay_alu instid0(VALU_DEP_3) | instskip(NEXT) | instid1(VALU_DEP_3)
	v_fma_f32 v10, v29, s22, -v31
	v_dual_fmac_f32 v30, s23, v29 :: v_dual_fmac_f32 v33, s37, v8
	s_delay_alu instid0(VALU_DEP_3) | instskip(SKIP_3) | instid1(VALU_DEP_3)
	v_fma_f32 v11, v8, s36, -v32
	v_add_co_u32 v8, vcc_lo, v34, v4
	s_wait_alu 0xfffd
	v_add_co_ci_u32_e64 v9, null, v35, v5, vcc_lo
	v_add_f32_e32 v10, v10, v11
	v_add_f32_e32 v11, v30, v33
	v_add_co_u32 v12, vcc_lo, v12, s16
	s_wait_alu 0xfffd
	v_add_co_ci_u32_e64 v13, null, s17, v13, vcc_lo
	flat_store_b64 v[8:9], v[10:11]
	flat_load_b64 v[6:7], v[6:7] offset:128
	v_mul_f32_e32 v10, s23, v28
	v_mul_f32_e32 v11, s22, v28
	s_delay_alu instid0(VALU_DEP_2) | instskip(NEXT) | instid1(VALU_DEP_2)
	v_fma_f32 v10, v27, s22, -v10
	v_fmac_f32_e32 v11, s23, v27
	s_wait_loadcnt_dscnt 0x0
	v_mul_f32_e32 v28, s37, v7
	v_mul_f32_e32 v7, s36, v7
	s_delay_alu instid0(VALU_DEP_1) | instskip(NEXT) | instid1(VALU_DEP_3)
	v_fmac_f32_e32 v7, s37, v6
	v_fma_f32 v27, v6, s36, -v28
	s_delay_alu instid0(VALU_DEP_2) | instskip(NEXT) | instid1(VALU_DEP_2)
	v_add_f32_e32 v7, v11, v7
	v_add_f32_e32 v6, v10, v27
	v_add_co_u32 v10, vcc_lo, v12, v4
	s_wait_alu 0xfffd
	v_add_co_ci_u32_e64 v11, null, v13, v5, vcc_lo
	flat_store_b64 v[8:9], v[6:7] offset:128
	v_mul_f32_e32 v8, s23, v26
	v_mul_f32_e32 v9, s22, v26
	flat_load_b64 v[6:7], v[10:11]
	v_fma_f32 v8, v25, s22, -v8
	s_wait_loadcnt_dscnt 0x0
	v_dual_fmac_f32 v9, s23, v25 :: v_dual_mul_f32 v12, s37, v7
	v_mul_f32_e32 v13, s36, v7
	v_add_co_u32 v7, vcc_lo, v34, s24
	s_wait_alu 0xfffd
	v_add_co_ci_u32_e64 v26, null, s25, v35, vcc_lo
	v_fma_f32 v12, v6, s36, -v12
	v_fmac_f32_e32 v13, s37, v6
	v_add_co_u32 v6, vcc_lo, v7, v4
	s_wait_alu 0xfffd
	v_add_co_ci_u32_e64 v7, null, v26, v5, vcc_lo
	s_delay_alu instid0(VALU_DEP_3) | instskip(SKIP_4) | instid1(VALU_DEP_2)
	v_dual_add_f32 v8, v8, v12 :: v_dual_add_f32 v9, v9, v13
	flat_store_b64 v[6:7], v[8:9]
	flat_load_b64 v[8:9], v[10:11] offset:128
	v_mul_f32_e32 v10, s23, v24
	v_mul_f32_e32 v11, s22, v24
	v_fma_f32 v10, v23, s22, -v10
	s_wait_loadcnt_dscnt 0x0
	s_delay_alu instid0(VALU_DEP_2) | instskip(SKIP_1) | instid1(VALU_DEP_2)
	v_dual_fmac_f32 v11, s23, v23 :: v_dual_mul_f32 v12, s37, v9
	v_mul_f32_e32 v9, s36, v9
	v_fma_f32 v12, v8, s36, -v12
	s_delay_alu instid0(VALU_DEP_2) | instskip(SKIP_1) | instid1(VALU_DEP_3)
	v_fmac_f32_e32 v9, s37, v8
	v_add_co_u32 v8, vcc_lo, 0x80, v6
	v_add_f32_e32 v10, v10, v12
	s_delay_alu instid0(VALU_DEP_3)
	v_add_f32_e32 v12, v11, v9
	s_wait_alu 0xfffd
	v_add_co_ci_u32_e64 v9, null, 0, v7, vcc_lo
	flat_store_b32 v[6:7], v10 offset:128
	s_branch .LBB246_2
.LBB246_10:
	s_nop 0
	s_sendmsg sendmsg(MSG_DEALLOC_VGPRS)
	s_endpgm
	.section	.rodata,"a",@progbits
	.p2align	6, 0x0
	.amdhsa_kernel _ZN12_GLOBAL__N_127rocblas_gemm_batched_kernelI19rocblas_complex_numIfELi16ELi16ELi32ELi32ELi8ELi32ELi8ELi8ELi32ELc84ELc84EKPKS2_S5_KPS2_EEvlllT_PT11_llSA_llS8_PT12_llPT13_lli
		.amdhsa_group_segment_fixed_size 4096
		.amdhsa_private_segment_fixed_size 0
		.amdhsa_kernarg_size 140
		.amdhsa_user_sgpr_count 2
		.amdhsa_user_sgpr_dispatch_ptr 0
		.amdhsa_user_sgpr_queue_ptr 0
		.amdhsa_user_sgpr_kernarg_segment_ptr 1
		.amdhsa_user_sgpr_dispatch_id 0
		.amdhsa_user_sgpr_private_segment_size 0
		.amdhsa_wavefront_size32 1
		.amdhsa_uses_dynamic_stack 0
		.amdhsa_enable_private_segment 0
		.amdhsa_system_sgpr_workgroup_id_x 1
		.amdhsa_system_sgpr_workgroup_id_y 1
		.amdhsa_system_sgpr_workgroup_id_z 1
		.amdhsa_system_sgpr_workgroup_info 0
		.amdhsa_system_vgpr_workitem_id 1
		.amdhsa_next_free_vgpr 123
		.amdhsa_next_free_sgpr 39
		.amdhsa_reserve_vcc 1
		.amdhsa_float_round_mode_32 0
		.amdhsa_float_round_mode_16_64 0
		.amdhsa_float_denorm_mode_32 3
		.amdhsa_float_denorm_mode_16_64 3
		.amdhsa_fp16_overflow 0
		.amdhsa_workgroup_processor_mode 1
		.amdhsa_memory_ordered 1
		.amdhsa_forward_progress 1
		.amdhsa_inst_pref_size 23
		.amdhsa_round_robin_scheduling 0
		.amdhsa_exception_fp_ieee_invalid_op 0
		.amdhsa_exception_fp_denorm_src 0
		.amdhsa_exception_fp_ieee_div_zero 0
		.amdhsa_exception_fp_ieee_overflow 0
		.amdhsa_exception_fp_ieee_underflow 0
		.amdhsa_exception_fp_ieee_inexact 0
		.amdhsa_exception_int_div_zero 0
	.end_amdhsa_kernel
	.section	.text._ZN12_GLOBAL__N_127rocblas_gemm_batched_kernelI19rocblas_complex_numIfELi16ELi16ELi32ELi32ELi8ELi32ELi8ELi8ELi32ELc84ELc84EKPKS2_S5_KPS2_EEvlllT_PT11_llSA_llS8_PT12_llPT13_lli,"axG",@progbits,_ZN12_GLOBAL__N_127rocblas_gemm_batched_kernelI19rocblas_complex_numIfELi16ELi16ELi32ELi32ELi8ELi32ELi8ELi8ELi32ELc84ELc84EKPKS2_S5_KPS2_EEvlllT_PT11_llSA_llS8_PT12_llPT13_lli,comdat
.Lfunc_end246:
	.size	_ZN12_GLOBAL__N_127rocblas_gemm_batched_kernelI19rocblas_complex_numIfELi16ELi16ELi32ELi32ELi8ELi32ELi8ELi8ELi32ELc84ELc84EKPKS2_S5_KPS2_EEvlllT_PT11_llSA_llS8_PT12_llPT13_lli, .Lfunc_end246-_ZN12_GLOBAL__N_127rocblas_gemm_batched_kernelI19rocblas_complex_numIfELi16ELi16ELi32ELi32ELi8ELi32ELi8ELi8ELi32ELc84ELc84EKPKS2_S5_KPS2_EEvlllT_PT11_llSA_llS8_PT12_llPT13_lli
                                        ; -- End function
	.set _ZN12_GLOBAL__N_127rocblas_gemm_batched_kernelI19rocblas_complex_numIfELi16ELi16ELi32ELi32ELi8ELi32ELi8ELi8ELi32ELc84ELc84EKPKS2_S5_KPS2_EEvlllT_PT11_llSA_llS8_PT12_llPT13_lli.num_vgpr, 123
	.set _ZN12_GLOBAL__N_127rocblas_gemm_batched_kernelI19rocblas_complex_numIfELi16ELi16ELi32ELi32ELi8ELi32ELi8ELi8ELi32ELc84ELc84EKPKS2_S5_KPS2_EEvlllT_PT11_llSA_llS8_PT12_llPT13_lli.num_agpr, 0
	.set _ZN12_GLOBAL__N_127rocblas_gemm_batched_kernelI19rocblas_complex_numIfELi16ELi16ELi32ELi32ELi8ELi32ELi8ELi8ELi32ELc84ELc84EKPKS2_S5_KPS2_EEvlllT_PT11_llSA_llS8_PT12_llPT13_lli.numbered_sgpr, 39
	.set _ZN12_GLOBAL__N_127rocblas_gemm_batched_kernelI19rocblas_complex_numIfELi16ELi16ELi32ELi32ELi8ELi32ELi8ELi8ELi32ELc84ELc84EKPKS2_S5_KPS2_EEvlllT_PT11_llSA_llS8_PT12_llPT13_lli.num_named_barrier, 0
	.set _ZN12_GLOBAL__N_127rocblas_gemm_batched_kernelI19rocblas_complex_numIfELi16ELi16ELi32ELi32ELi8ELi32ELi8ELi8ELi32ELc84ELc84EKPKS2_S5_KPS2_EEvlllT_PT11_llSA_llS8_PT12_llPT13_lli.private_seg_size, 0
	.set _ZN12_GLOBAL__N_127rocblas_gemm_batched_kernelI19rocblas_complex_numIfELi16ELi16ELi32ELi32ELi8ELi32ELi8ELi8ELi32ELc84ELc84EKPKS2_S5_KPS2_EEvlllT_PT11_llSA_llS8_PT12_llPT13_lli.uses_vcc, 1
	.set _ZN12_GLOBAL__N_127rocblas_gemm_batched_kernelI19rocblas_complex_numIfELi16ELi16ELi32ELi32ELi8ELi32ELi8ELi8ELi32ELc84ELc84EKPKS2_S5_KPS2_EEvlllT_PT11_llSA_llS8_PT12_llPT13_lli.uses_flat_scratch, 1
	.set _ZN12_GLOBAL__N_127rocblas_gemm_batched_kernelI19rocblas_complex_numIfELi16ELi16ELi32ELi32ELi8ELi32ELi8ELi8ELi32ELc84ELc84EKPKS2_S5_KPS2_EEvlllT_PT11_llSA_llS8_PT12_llPT13_lli.has_dyn_sized_stack, 0
	.set _ZN12_GLOBAL__N_127rocblas_gemm_batched_kernelI19rocblas_complex_numIfELi16ELi16ELi32ELi32ELi8ELi32ELi8ELi8ELi32ELc84ELc84EKPKS2_S5_KPS2_EEvlllT_PT11_llSA_llS8_PT12_llPT13_lli.has_recursion, 0
	.set _ZN12_GLOBAL__N_127rocblas_gemm_batched_kernelI19rocblas_complex_numIfELi16ELi16ELi32ELi32ELi8ELi32ELi8ELi8ELi32ELc84ELc84EKPKS2_S5_KPS2_EEvlllT_PT11_llSA_llS8_PT12_llPT13_lli.has_indirect_call, 0
	.section	.AMDGPU.csdata,"",@progbits
; Kernel info:
; codeLenInByte = 2896
; TotalNumSgprs: 41
; NumVgprs: 123
; ScratchSize: 0
; MemoryBound: 0
; FloatMode: 240
; IeeeMode: 1
; LDSByteSize: 4096 bytes/workgroup (compile time only)
; SGPRBlocks: 0
; VGPRBlocks: 15
; NumSGPRsForWavesPerEU: 41
; NumVGPRsForWavesPerEU: 123
; Occupancy: 10
; WaveLimiterHint : 1
; COMPUTE_PGM_RSRC2:SCRATCH_EN: 0
; COMPUTE_PGM_RSRC2:USER_SGPR: 2
; COMPUTE_PGM_RSRC2:TRAP_HANDLER: 0
; COMPUTE_PGM_RSRC2:TGID_X_EN: 1
; COMPUTE_PGM_RSRC2:TGID_Y_EN: 1
; COMPUTE_PGM_RSRC2:TGID_Z_EN: 1
; COMPUTE_PGM_RSRC2:TIDIG_COMP_CNT: 1
	.section	.text._ZN12_GLOBAL__N_127rocblas_gemm_batched_kernelI19rocblas_complex_numIfELi16ELi16ELi32ELi32ELi8ELi32ELi8ELi8ELi32ELc67ELc67EKPKS2_S5_KPS2_EEvlllT_PT11_llSA_llS8_PT12_llPT13_lli,"axG",@progbits,_ZN12_GLOBAL__N_127rocblas_gemm_batched_kernelI19rocblas_complex_numIfELi16ELi16ELi32ELi32ELi8ELi32ELi8ELi8ELi32ELc67ELc67EKPKS2_S5_KPS2_EEvlllT_PT11_llSA_llS8_PT12_llPT13_lli,comdat
	.globl	_ZN12_GLOBAL__N_127rocblas_gemm_batched_kernelI19rocblas_complex_numIfELi16ELi16ELi32ELi32ELi8ELi32ELi8ELi8ELi32ELc67ELc67EKPKS2_S5_KPS2_EEvlllT_PT11_llSA_llS8_PT12_llPT13_lli ; -- Begin function _ZN12_GLOBAL__N_127rocblas_gemm_batched_kernelI19rocblas_complex_numIfELi16ELi16ELi32ELi32ELi8ELi32ELi8ELi8ELi32ELc67ELc67EKPKS2_S5_KPS2_EEvlllT_PT11_llSA_llS8_PT12_llPT13_lli
	.p2align	8
	.type	_ZN12_GLOBAL__N_127rocblas_gemm_batched_kernelI19rocblas_complex_numIfELi16ELi16ELi32ELi32ELi8ELi32ELi8ELi8ELi32ELc67ELc67EKPKS2_S5_KPS2_EEvlllT_PT11_llSA_llS8_PT12_llPT13_lli,@function
_ZN12_GLOBAL__N_127rocblas_gemm_batched_kernelI19rocblas_complex_numIfELi16ELi16ELi32ELi32ELi8ELi32ELi8ELi8ELi32ELc67ELc67EKPKS2_S5_KPS2_EEvlllT_PT11_llSA_llS8_PT12_llPT13_lli: ; @_ZN12_GLOBAL__N_127rocblas_gemm_batched_kernelI19rocblas_complex_numIfELi16ELi16ELi32ELi32ELi8ELi32ELi8ELi8ELi32ELc67ELc67EKPKS2_S5_KPS2_EEvlllT_PT11_llSA_llS8_PT12_llPT13_lli
; %bb.0:
	s_load_b32 s33, s[0:1], 0x88
	s_lshr_b32 s34, ttmp7, 16
	s_wait_kmcnt 0x0
	s_cmp_ge_i32 s34, s33
	s_cbranch_scc1 .LBB247_10
; %bb.1:
	v_dual_mov_b32 v14, 0 :: v_dual_and_b32 v11, 0x3ff, v0
	v_bfe_u32 v6, v0, 10, 10
	s_clause 0x3
	s_load_b128 s[28:31], s[0:1], 0x40
	s_load_b128 s[20:23], s[0:1], 0x10
	s_load_b256 s[4:11], s[0:1], 0x20
	s_load_b128 s[24:27], s[0:1], 0x78
	s_lshl_b32 s3, ttmp7, 5
	s_clause 0x1
	s_load_b64 s[36:37], s[0:1], 0x50
	s_load_b256 s[12:19], s[0:1], 0x58
	v_lshl_add_u32 v2, v6, 4, v11
	s_and_b32 s38, s3, 0x1fffe0
	v_and_b32_e32 v4, 7, v0
	s_mov_b32 s2, ttmp9
	v_add_nc_u32_e32 v10, s38, v6
	v_lshrrev_b32_e32 v3, 3, v2
	v_and_b32_e32 v7, 31, v2
	v_lshlrev_b32_e32 v5, 3, v4
	v_lshl_add_u32 v18, v6, 6, 0x800
	v_lshrrev_b32_e32 v12, 5, v2
	v_add_co_u32 v0, s3, v3, s38
	s_delay_alu instid0(VALU_DEP_1)
	v_add_co_ci_u32_e64 v1, null, 0, 0, s3
	s_ashr_i32 s3, ttmp9, 31
	v_lshlrev_b32_e32 v8, 3, v7
	s_wait_alu 0xfffe
	s_lshl_b64 s[0:1], s[2:3], 5
	s_wait_kmcnt 0x0
	v_mad_co_u64_u32 v[0:1], null, s28, v4, v[0:1]
	v_or_b32_e32 v7, s0, v7
	v_lshl_or_b32 v5, v3, 6, v5
	s_or_b32 s2, s36, s37
	v_lshl_or_b32 v16, v12, 8, v8
	s_wait_alu 0xfffe
	s_bitset0_b32 s2, 31
	v_mul_lo_u32 v13, s7, v7
	v_mad_co_u64_u32 v[6:7], null, s6, v7, 0
	v_mad_co_u64_u32 v[1:2], null, s29, v4, v[1:2]
	;; [unrolled: 1-line block ×3, first 2 shown]
	v_add_nc_u32_e32 v17, 0x800, v5
	v_mad_co_u64_u32 v[4:5], null, v10, s14, 0
	s_wait_alu 0xfffe
	s_cmp_eq_u32 s2, 0
	s_mul_i32 s2, s6, s1
	v_lshlrev_b32_e32 v15, 3, v11
	s_wait_alu 0xfffe
	v_add3_u32 v7, v7, s2, v13
	s_cselect_b32 s38, -1, 0
	v_lshlrev_b64_e32 v[0:1], 3, v[0:1]
	v_mad_co_u64_u32 v[8:9], null, v10, s25, v[3:4]
	v_mad_co_u64_u32 v[9:10], null, v10, s15, v[5:6]
	v_lshlrev_b64_e32 v[6:7], 3, v[6:7]
	v_add_co_u32 v10, s0, s0, v11
	s_wait_alu 0xf1ff
	v_add_co_ci_u32_e64 v11, null, s1, 0, s0
	s_lshl_b64 s[0:1], s[8:9], 3
	v_dual_mov_b32 v3, v8 :: v_dual_lshlrev_b32 v8, 3, v12
	s_wait_alu 0xfffe
	v_add_co_u32 v6, vcc_lo, v6, s0
	s_delay_alu instid0(VALU_DEP_1)
	v_add_co_ci_u32_e64 v7, null, s1, v7, vcc_lo
	s_lshl_b64 s[0:1], s[30:31], 3
	v_add_co_u32 v19, vcc_lo, v6, v8
	s_wait_alu 0xfffd
	v_add_co_ci_u32_e64 v20, null, 0, v7, vcc_lo
	s_wait_alu 0xfffe
	v_add_co_u32 v0, vcc_lo, s0, v0
	v_cmp_gt_i64_e64 s0, s[20:21], 0
	v_mov_b32_e32 v5, v9
	s_wait_alu 0xfffd
	v_add_co_ci_u32_e64 v21, null, s1, v1, vcc_lo
	v_or_b32_e32 v22, 4, v0
	v_lshlrev_b64_e32 v[2:3], 3, v[2:3]
	s_wait_alu 0xf1ff
	v_cndmask_b32_e64 v6, 0, 1, s0
	v_lshlrev_b64_e32 v[0:1], 3, v[4:5]
	v_lshlrev_b64_e32 v[4:5], 3, v[10:11]
	s_lshl_b64 s[2:3], s[24:25], 4
	s_lshl_b64 s[24:25], s[14:15], 4
	v_cmp_ne_u32_e64 s0, 1, v6
	v_cndmask_b32_e64 v6, 0, 1, s38
	s_mov_b32 s35, 0
	s_lshl_b64 s[6:7], s[28:29], 6
	s_lshl_b64 s[8:9], s[26:27], 3
	;; [unrolled: 1-line block ×3, first 2 shown]
	v_cmp_ne_u32_e64 s1, 1, v6
	s_wait_alu 0xfffe
	s_lshl_b64 s[16:17], s[24:25], 3
	s_lshl_b64 s[24:25], s[2:3], 3
	s_branch .LBB247_3
.LBB247_2:                              ;   in Loop: Header=BB247_3 Depth=1
	s_add_co_i32 s34, s34, 0x10000
	flat_store_b32 v[8:9], v12 offset:4
	s_cmp_lt_i32 s34, s33
	s_cbranch_scc0 .LBB247_10
.LBB247_3:                              ; =>This Loop Header: Depth=1
                                        ;     Child Loop BB247_5 Depth 2
	s_lshl_b64 s[2:3], s[34:35], 3
	v_dual_mov_b32 v29, 0 :: v_dual_mov_b32 v30, 0
	s_wait_alu 0xfffe
	s_add_nc_u64 s[26:27], s[12:13], s[2:3]
	s_add_nc_u64 s[28:29], s[18:19], s[2:3]
	s_clause 0x1
	global_load_b64 v[6:7], v14, s[26:27]
	global_load_b64 v[8:9], v14, s[28:29]
	v_dual_mov_b32 v27, 0 :: v_dual_mov_b32 v28, 0
	v_dual_mov_b32 v25, 0 :: v_dual_mov_b32 v26, 0
	;; [unrolled: 1-line block ×3, first 2 shown]
	s_and_b32 vcc_lo, exec_lo, s0
	s_wait_alu 0xfffe
	s_cbranch_vccnz .LBB247_6
; %bb.4:                                ;   in Loop: Header=BB247_3 Depth=1
	s_add_nc_u64 s[26:27], s[4:5], s[2:3]
	s_add_nc_u64 s[2:3], s[10:11], s[2:3]
	s_clause 0x1
	global_load_b64 v[10:11], v14, s[26:27]
	global_load_b64 v[12:13], v14, s[2:3]
	v_dual_mov_b32 v24, 0 :: v_dual_mov_b32 v23, 0
	v_dual_mov_b32 v26, 0 :: v_dual_mov_b32 v25, 0
	;; [unrolled: 1-line block ×4, first 2 shown]
	s_mov_b64 s[26:27], 0
	s_wait_loadcnt 0x1
	v_add_co_u32 v10, vcc_lo, v10, v19
	s_wait_alu 0xfffd
	v_add_co_ci_u32_e64 v11, null, v11, v20, vcc_lo
	s_wait_loadcnt 0x0
	v_add_co_u32 v12, vcc_lo, v12, v22
	s_wait_alu 0xfffd
	v_add_co_ci_u32_e64 v13, null, v13, v21, vcc_lo
.LBB247_5:                              ;   Parent Loop BB247_3 Depth=1
                                        ; =>  This Inner Loop Header: Depth=2
	flat_load_b64 v[31:32], v[10:11]
	s_wait_alu 0xfffe
	s_add_nc_u64 s[26:27], s[26:27], 8
	v_add_co_u32 v10, vcc_lo, v10, 64
	s_wait_alu 0xfffe
	v_cmp_lt_i64_e64 s2, s[26:27], s[20:21]
	s_wait_alu 0xfffd
	v_add_co_ci_u32_e64 v11, null, 0, v11, vcc_lo
	s_and_b32 vcc_lo, exec_lo, s2
	s_wait_loadcnt_dscnt 0x0
	v_xor_b32_e32 v32, 0x80000000, v32
	ds_store_b64 v16, v[31:32]
	flat_load_b64 v[31:32], v[12:13] offset:-4
	v_add_co_u32 v12, s2, v12, s6
	s_wait_alu 0xf1ff
	v_add_co_ci_u32_e64 v13, null, s7, v13, s2
	s_wait_loadcnt_dscnt 0x0
	v_xor_b32_e32 v32, 0x80000000, v32
	ds_store_b64 v17, v[31:32]
	s_wait_dscnt 0x0
	s_barrier_signal -1
	s_barrier_wait -1
	global_inv scope:SCOPE_SE
	ds_load_2addr_b64 v[31:34], v15 offset1:16
	ds_load_b128 v[35:38], v18
	ds_load_b128 v[39:42], v18 offset:1024
	ds_load_2addr_b64 v[43:46], v15 offset0:32 offset1:48
	ds_load_b128 v[47:50], v18 offset:16
	ds_load_b128 v[51:54], v18 offset:32
	ds_load_b128 v[55:58], v18 offset:48
	ds_load_2addr_b64 v[59:62], v15 offset0:64 offset1:80
	ds_load_b128 v[63:66], v18 offset:1040
	ds_load_2addr_b64 v[67:70], v15 offset0:96 offset1:112
	ds_load_2addr_b64 v[71:74], v15 offset0:128 offset1:144
	;; [unrolled: 1-line block ×4, first 2 shown]
	ds_load_b128 v[83:86], v18 offset:1056
	ds_load_b128 v[87:90], v18 offset:1072
	ds_load_2addr_b64 v[91:94], v15 offset0:224 offset1:240
	s_wait_loadcnt_dscnt 0x0
	s_barrier_signal -1
	s_barrier_wait -1
	global_inv scope:SCOPE_SE
	v_dual_mul_f32 v95, v36, v32 :: v_dual_mul_f32 v98, v35, v34
	v_dual_mul_f32 v96, v35, v32 :: v_dual_mul_f32 v97, v36, v34
	v_mul_f32_e32 v99, v40, v32
	v_dual_mul_f32 v32, v39, v32 :: v_dual_mul_f32 v103, v38, v46
	v_dual_mul_f32 v100, v40, v34 :: v_dual_mul_f32 v101, v38, v44
	v_mul_f32_e32 v34, v39, v34
	v_dual_mul_f32 v102, v37, v44 :: v_dual_mul_f32 v109, v48, v62
	v_dual_mul_f32 v104, v37, v46 :: v_dual_mul_f32 v105, v42, v44
	v_dual_mul_f32 v44, v41, v44 :: v_dual_mul_f32 v115, v50, v70
	v_dual_mul_f32 v106, v42, v46 :: v_dual_mul_f32 v107, v48, v60
	v_dual_mul_f32 v46, v41, v46 :: v_dual_mul_f32 v111, v64, v60
	v_dual_mul_f32 v108, v47, v60 :: v_dual_mul_f32 v121, v52, v74
	v_dual_mul_f32 v110, v47, v62 :: v_dual_mul_f32 v113, v50, v68
	v_mul_f32_e32 v60, v63, v60
	v_dual_mul_f32 v112, v64, v62 :: v_dual_mul_f32 v117, v66, v68
	v_fma_f32 v95, v35, v31, -v95
	v_fmac_f32_e32 v96, v36, v31
	v_fma_f32 v35, v35, v33, -v97
	v_fmac_f32_e32 v98, v36, v33
	v_fma_f32 v36, v39, v31, -v99
	v_dual_mul_f32 v62, v63, v62 :: v_dual_mul_f32 v119, v52, v72
	v_mul_f32_e32 v116, v49, v70
	v_mul_f32_e32 v118, v66, v70
	;; [unrolled: 1-line block ×3, first 2 shown]
	v_dual_mul_f32 v122, v51, v74 :: v_dual_mul_f32 v97, v53, v76
	v_fmac_f32_e32 v32, v40, v31
	v_fma_f32 v31, v39, v33, -v100
	v_fmac_f32_e32 v34, v40, v33
	v_mul_f32_e32 v33, v84, v72
	v_dual_mul_f32 v39, v83, v72 :: v_dual_mul_f32 v40, v84, v74
	v_dual_fmac_f32 v97, v54, v75 :: v_dual_mul_f32 v72, v83, v74
	v_fma_f32 v74, v37, v43, -v101
	v_dual_fmac_f32 v102, v38, v43 :: v_dual_add_f32 v25, v25, v36
	v_fma_f32 v37, v37, v45, -v103
	v_mul_f32_e32 v99, v54, v78
	v_fma_f32 v101, v41, v43, -v105
	v_fma_f32 v107, v47, v59, -v107
	v_fmac_f32_e32 v108, v48, v59
	v_dual_fmac_f32 v110, v48, v61 :: v_dual_add_f32 v29, v29, v95
	v_fmac_f32_e32 v44, v42, v43
	v_fma_f32 v48, v63, v59, -v111
	v_dual_fmac_f32 v60, v64, v59 :: v_dual_add_f32 v25, v25, v101
	v_fma_f32 v59, v63, v61, -v112
	v_dual_mul_f32 v63, v87, v80 :: v_dual_fmac_f32 v46, v42, v45
	v_dual_mul_f32 v42, v86, v76 :: v_dual_add_f32 v27, v27, v35
	v_fma_f32 v41, v41, v45, -v106
	v_fma_f32 v47, v47, v61, -v109
	v_dual_fmac_f32 v62, v64, v61 :: v_dual_add_f32 v23, v23, v31
	v_add_f32_e32 v29, v29, v74
	v_dual_add_f32 v27, v27, v37 :: v_dual_mul_f32 v114, v49, v68
	v_dual_mul_f32 v68, v65, v68 :: v_dual_mul_f32 v105, v56, v82
	v_dual_mul_f32 v70, v65, v70 :: v_dual_mul_f32 v103, v55, v80
	v_dual_fmac_f32 v104, v38, v45 :: v_dual_fmac_f32 v39, v84, v71
	v_mul_f32_e32 v38, v54, v76
	v_mul_f32_e32 v43, v85, v76
	;; [unrolled: 1-line block ×4, first 2 shown]
	v_dual_mul_f32 v106, v55, v82 :: v_dual_mul_f32 v61, v88, v80
	v_dual_mul_f32 v64, v88, v82 :: v_dual_add_f32 v23, v23, v41
	v_dual_fmac_f32 v116, v50, v69 :: v_dual_add_f32 v27, v27, v47
	v_mul_f32_e32 v109, v57, v92
	v_mul_f32_e32 v76, v85, v78
	;; [unrolled: 1-line block ×3, first 2 shown]
	v_dual_mul_f32 v80, v87, v82 :: v_dual_add_f32 v29, v29, v107
	v_fma_f32 v82, v49, v67, -v113
	v_fma_f32 v49, v49, v69, -v115
	v_dual_fmac_f32 v114, v50, v67 :: v_dual_add_f32 v25, v25, v48
	v_dual_mul_f32 v50, v58, v92 :: v_dual_add_f32 v23, v23, v59
	v_mul_f32_e32 v111, v58, v94
	s_delay_alu instid0(VALU_DEP_4) | instskip(SKIP_4) | instid1(VALU_DEP_4)
	v_dual_mul_f32 v112, v57, v94 :: v_dual_add_f32 v27, v27, v49
	v_fma_f32 v113, v65, v67, -v117
	v_dual_fmac_f32 v68, v66, v67 :: v_dual_add_f32 v29, v29, v82
	v_fma_f32 v65, v65, v69, -v118
	v_fmac_f32_e32 v70, v66, v69
	v_dual_mul_f32 v66, v90, v92 :: v_dual_add_f32 v25, v25, v113
	v_mul_f32_e32 v67, v89, v92
	v_mul_f32_e32 v69, v90, v94
	v_dual_mul_f32 v92, v89, v94 :: v_dual_add_f32 v23, v23, v65
	v_fma_f32 v94, v51, v71, -v119
	v_fma_f32 v51, v51, v73, -v121
	v_fmac_f32_e32 v122, v52, v73
	v_fma_f32 v33, v83, v71, -v33
	v_fmac_f32_e32 v120, v52, v71
	v_fma_f32 v40, v83, v73, -v40
	v_fma_f32 v52, v53, v77, -v99
	v_fmac_f32_e32 v103, v56, v79
	v_fma_f32 v38, v53, v75, -v38
	v_add_f32_e32 v29, v29, v94
	v_dual_add_f32 v27, v27, v51 :: v_dual_fmac_f32 v72, v84, v73
	v_add_f32_e32 v23, v23, v40
	v_fma_f32 v42, v85, v75, -v42
	v_fmac_f32_e32 v43, v86, v75
	v_dual_fmac_f32 v100, v54, v77 :: v_dual_add_f32 v29, v29, v38
	v_fma_f32 v45, v85, v77, -v45
	v_fma_f32 v53, v55, v79, -v78
	v_fma_f32 v54, v55, v81, -v105
	v_fmac_f32_e32 v109, v58, v91
	v_dual_fmac_f32 v76, v86, v77 :: v_dual_add_f32 v27, v27, v52
	v_add_f32_e32 v25, v25, v33
	v_fma_f32 v55, v87, v79, -v61
	v_fmac_f32_e32 v80, v88, v81
	v_fma_f32 v50, v57, v91, -v50
	v_fma_f32 v57, v57, v93, -v111
	v_dual_fmac_f32 v67, v90, v91 :: v_dual_fmac_f32 v106, v56, v81
	v_add_f32_e32 v25, v25, v42
	v_fma_f32 v56, v87, v81, -v64
	v_dual_add_f32 v30, v30, v96 :: v_dual_add_f32 v23, v23, v45
	v_dual_add_f32 v28, v28, v98 :: v_dual_add_f32 v29, v29, v53
	;; [unrolled: 1-line block ×3, first 2 shown]
	v_add_f32_e32 v24, v24, v34
	v_dual_fmac_f32 v63, v88, v79 :: v_dual_fmac_f32 v112, v58, v93
	v_add_f32_e32 v25, v25, v55
	v_fma_f32 v58, v89, v91, -v66
	v_fma_f32 v61, v89, v93, -v69
	v_dual_fmac_f32 v92, v90, v93 :: v_dual_add_f32 v23, v23, v56
	v_add_f32_e32 v30, v30, v102
	s_delay_alu instid0(VALU_DEP_4) | instskip(SKIP_2) | instid1(VALU_DEP_3)
	v_dual_add_f32 v28, v28, v104 :: v_dual_add_f32 v25, v25, v58
	v_dual_add_f32 v29, v29, v50 :: v_dual_add_f32 v26, v26, v44
	;; [unrolled: 1-line block ×4, first 2 shown]
	v_add_f32_e32 v30, v30, v108
	s_delay_alu instid0(VALU_DEP_4) | instskip(NEXT) | instid1(VALU_DEP_4)
	v_add_f32_e32 v26, v26, v60
	v_add_f32_e32 v24, v24, v62
	s_delay_alu instid0(VALU_DEP_4) | instskip(NEXT) | instid1(VALU_DEP_4)
	v_add_f32_e32 v28, v28, v116
	;; [unrolled: 3-line block ×11, first 2 shown]
	v_add_f32_e32 v24, v24, v92
	s_wait_alu 0xfffe
	s_cbranch_vccnz .LBB247_5
.LBB247_6:                              ;   in Loop: Header=BB247_3 Depth=1
	s_wait_loadcnt 0x0
	v_add_co_u32 v10, vcc_lo, v8, s8
	s_wait_alu 0xfffd
	v_add_co_ci_u32_e64 v11, null, s9, v9, vcc_lo
	s_and_b32 vcc_lo, exec_lo, s1
	s_mov_b32 s2, -1
                                        ; implicit-def: $vgpr12
                                        ; implicit-def: $vgpr8_vgpr9
	s_wait_alu 0xfffe
	s_cbranch_vccz .LBB247_8
; %bb.7:                                ;   in Loop: Header=BB247_3 Depth=1
	s_and_not1_b32 vcc_lo, exec_lo, s2
	s_wait_alu 0xfffe
	s_cbranch_vccnz .LBB247_2
	s_branch .LBB247_9
.LBB247_8:                              ;   in Loop: Header=BB247_3 Depth=1
	v_mul_f32_e32 v8, s23, v30
	v_add_co_u32 v9, vcc_lo, v10, v2
	s_wait_alu 0xfffd
	v_add_co_ci_u32_e64 v12, null, v11, v3, vcc_lo
	s_delay_alu instid0(VALU_DEP_3) | instskip(SKIP_4) | instid1(VALU_DEP_3)
	v_fma_f32 v31, v29, s22, -v8
	v_mul_f32_e32 v8, s23, v28
	v_add_co_u32 v35, vcc_lo, v9, v4
	s_wait_alu 0xfffd
	v_add_co_ci_u32_e64 v36, null, v12, v5, vcc_lo
	v_fma_f32 v33, v27, s22, -v8
	v_mul_f32_e32 v8, s23, v26
	v_add_co_u32 v9, vcc_lo, v9, s24
	s_wait_alu 0xfffd
	v_add_co_ci_u32_e64 v13, null, s25, v12, vcc_lo
	s_delay_alu instid0(VALU_DEP_3)
	v_fma_f32 v37, v25, s22, -v8
	v_mul_f32_e32 v8, s23, v24
	v_add_co_u32 v39, vcc_lo, v9, v4
	v_mul_f32_e32 v32, s22, v30
	v_mul_f32_e32 v38, s22, v26
	;; [unrolled: 1-line block ×3, first 2 shown]
	s_wait_alu 0xfffd
	v_add_co_ci_u32_e64 v40, null, v13, v5, vcc_lo
	v_mul_f32_e32 v34, s22, v28
	v_fma_f32 v13, v23, s22, -v8
	v_add_co_u32 v8, vcc_lo, 0x80, v39
	v_fmac_f32_e32 v32, s23, v29
	v_fmac_f32_e32 v38, s23, v25
	;; [unrolled: 1-line block ×3, first 2 shown]
	s_wait_alu 0xfffd
	v_add_co_ci_u32_e64 v9, null, 0, v40, vcc_lo
	v_fmac_f32_e32 v34, s23, v27
	s_clause 0x3
	flat_store_b64 v[35:36], v[31:32]
	flat_store_b64 v[35:36], v[33:34] offset:128
	flat_store_b64 v[39:40], v[37:38]
	flat_store_b32 v[39:40], v13 offset:128
	s_cbranch_execnz .LBB247_2
.LBB247_9:                              ;   in Loop: Header=BB247_3 Depth=1
	v_add_co_u32 v6, vcc_lo, v6, s14
	s_wait_alu 0xfffd
	v_add_co_ci_u32_e64 v7, null, s15, v7, vcc_lo
	s_delay_alu instid0(VALU_DEP_2) | instskip(SKIP_1) | instid1(VALU_DEP_2)
	v_add_co_u32 v12, vcc_lo, v6, v0
	s_wait_alu 0xfffd
	v_add_co_ci_u32_e64 v13, null, v7, v1, vcc_lo
	s_delay_alu instid0(VALU_DEP_2) | instskip(SKIP_1) | instid1(VALU_DEP_2)
	v_add_co_u32 v6, vcc_lo, v12, v4
	s_wait_alu 0xfffd
	v_add_co_ci_u32_e64 v7, null, v13, v5, vcc_lo
	v_add_co_u32 v34, vcc_lo, v10, v2
	s_wait_alu 0xfffd
	v_add_co_ci_u32_e64 v35, null, v11, v3, vcc_lo
	flat_load_b64 v[8:9], v[6:7]
	v_mul_f32_e32 v31, s23, v30
	s_wait_loadcnt_dscnt 0x0
	v_dual_mul_f32 v30, s22, v30 :: v_dual_mul_f32 v33, s36, v9
	v_mul_f32_e32 v32, s37, v9
	s_delay_alu instid0(VALU_DEP_3) | instskip(NEXT) | instid1(VALU_DEP_3)
	v_fma_f32 v10, v29, s22, -v31
	v_dual_fmac_f32 v30, s23, v29 :: v_dual_fmac_f32 v33, s37, v8
	s_delay_alu instid0(VALU_DEP_3) | instskip(SKIP_3) | instid1(VALU_DEP_3)
	v_fma_f32 v11, v8, s36, -v32
	v_add_co_u32 v8, vcc_lo, v34, v4
	s_wait_alu 0xfffd
	v_add_co_ci_u32_e64 v9, null, v35, v5, vcc_lo
	v_add_f32_e32 v10, v10, v11
	v_add_f32_e32 v11, v30, v33
	v_add_co_u32 v12, vcc_lo, v12, s16
	s_wait_alu 0xfffd
	v_add_co_ci_u32_e64 v13, null, s17, v13, vcc_lo
	flat_store_b64 v[8:9], v[10:11]
	flat_load_b64 v[6:7], v[6:7] offset:128
	v_mul_f32_e32 v10, s23, v28
	v_mul_f32_e32 v11, s22, v28
	s_delay_alu instid0(VALU_DEP_2) | instskip(NEXT) | instid1(VALU_DEP_2)
	v_fma_f32 v10, v27, s22, -v10
	v_fmac_f32_e32 v11, s23, v27
	s_wait_loadcnt_dscnt 0x0
	v_mul_f32_e32 v28, s37, v7
	v_mul_f32_e32 v7, s36, v7
	s_delay_alu instid0(VALU_DEP_1) | instskip(NEXT) | instid1(VALU_DEP_3)
	v_fmac_f32_e32 v7, s37, v6
	v_fma_f32 v27, v6, s36, -v28
	s_delay_alu instid0(VALU_DEP_2) | instskip(NEXT) | instid1(VALU_DEP_2)
	v_add_f32_e32 v7, v11, v7
	v_add_f32_e32 v6, v10, v27
	v_add_co_u32 v10, vcc_lo, v12, v4
	s_wait_alu 0xfffd
	v_add_co_ci_u32_e64 v11, null, v13, v5, vcc_lo
	flat_store_b64 v[8:9], v[6:7] offset:128
	v_mul_f32_e32 v8, s23, v26
	v_mul_f32_e32 v9, s22, v26
	flat_load_b64 v[6:7], v[10:11]
	v_fma_f32 v8, v25, s22, -v8
	s_wait_loadcnt_dscnt 0x0
	v_dual_fmac_f32 v9, s23, v25 :: v_dual_mul_f32 v12, s37, v7
	v_mul_f32_e32 v13, s36, v7
	v_add_co_u32 v7, vcc_lo, v34, s24
	s_wait_alu 0xfffd
	v_add_co_ci_u32_e64 v26, null, s25, v35, vcc_lo
	v_fma_f32 v12, v6, s36, -v12
	v_fmac_f32_e32 v13, s37, v6
	v_add_co_u32 v6, vcc_lo, v7, v4
	s_wait_alu 0xfffd
	v_add_co_ci_u32_e64 v7, null, v26, v5, vcc_lo
	s_delay_alu instid0(VALU_DEP_3) | instskip(SKIP_4) | instid1(VALU_DEP_2)
	v_dual_add_f32 v8, v8, v12 :: v_dual_add_f32 v9, v9, v13
	flat_store_b64 v[6:7], v[8:9]
	flat_load_b64 v[8:9], v[10:11] offset:128
	v_mul_f32_e32 v10, s23, v24
	v_mul_f32_e32 v11, s22, v24
	v_fma_f32 v10, v23, s22, -v10
	s_wait_loadcnt_dscnt 0x0
	s_delay_alu instid0(VALU_DEP_2) | instskip(SKIP_1) | instid1(VALU_DEP_2)
	v_dual_fmac_f32 v11, s23, v23 :: v_dual_mul_f32 v12, s37, v9
	v_mul_f32_e32 v9, s36, v9
	v_fma_f32 v12, v8, s36, -v12
	s_delay_alu instid0(VALU_DEP_2) | instskip(SKIP_1) | instid1(VALU_DEP_3)
	v_fmac_f32_e32 v9, s37, v8
	v_add_co_u32 v8, vcc_lo, 0x80, v6
	v_add_f32_e32 v10, v10, v12
	s_delay_alu instid0(VALU_DEP_3)
	v_add_f32_e32 v12, v11, v9
	s_wait_alu 0xfffd
	v_add_co_ci_u32_e64 v9, null, 0, v7, vcc_lo
	flat_store_b32 v[6:7], v10 offset:128
	s_branch .LBB247_2
.LBB247_10:
	s_nop 0
	s_sendmsg sendmsg(MSG_DEALLOC_VGPRS)
	s_endpgm
	.section	.rodata,"a",@progbits
	.p2align	6, 0x0
	.amdhsa_kernel _ZN12_GLOBAL__N_127rocblas_gemm_batched_kernelI19rocblas_complex_numIfELi16ELi16ELi32ELi32ELi8ELi32ELi8ELi8ELi32ELc67ELc67EKPKS2_S5_KPS2_EEvlllT_PT11_llSA_llS8_PT12_llPT13_lli
		.amdhsa_group_segment_fixed_size 4096
		.amdhsa_private_segment_fixed_size 0
		.amdhsa_kernarg_size 140
		.amdhsa_user_sgpr_count 2
		.amdhsa_user_sgpr_dispatch_ptr 0
		.amdhsa_user_sgpr_queue_ptr 0
		.amdhsa_user_sgpr_kernarg_segment_ptr 1
		.amdhsa_user_sgpr_dispatch_id 0
		.amdhsa_user_sgpr_private_segment_size 0
		.amdhsa_wavefront_size32 1
		.amdhsa_uses_dynamic_stack 0
		.amdhsa_enable_private_segment 0
		.amdhsa_system_sgpr_workgroup_id_x 1
		.amdhsa_system_sgpr_workgroup_id_y 1
		.amdhsa_system_sgpr_workgroup_id_z 1
		.amdhsa_system_sgpr_workgroup_info 0
		.amdhsa_system_vgpr_workitem_id 1
		.amdhsa_next_free_vgpr 123
		.amdhsa_next_free_sgpr 39
		.amdhsa_reserve_vcc 1
		.amdhsa_float_round_mode_32 0
		.amdhsa_float_round_mode_16_64 0
		.amdhsa_float_denorm_mode_32 3
		.amdhsa_float_denorm_mode_16_64 3
		.amdhsa_fp16_overflow 0
		.amdhsa_workgroup_processor_mode 1
		.amdhsa_memory_ordered 1
		.amdhsa_forward_progress 1
		.amdhsa_inst_pref_size 23
		.amdhsa_round_robin_scheduling 0
		.amdhsa_exception_fp_ieee_invalid_op 0
		.amdhsa_exception_fp_denorm_src 0
		.amdhsa_exception_fp_ieee_div_zero 0
		.amdhsa_exception_fp_ieee_overflow 0
		.amdhsa_exception_fp_ieee_underflow 0
		.amdhsa_exception_fp_ieee_inexact 0
		.amdhsa_exception_int_div_zero 0
	.end_amdhsa_kernel
	.section	.text._ZN12_GLOBAL__N_127rocblas_gemm_batched_kernelI19rocblas_complex_numIfELi16ELi16ELi32ELi32ELi8ELi32ELi8ELi8ELi32ELc67ELc67EKPKS2_S5_KPS2_EEvlllT_PT11_llSA_llS8_PT12_llPT13_lli,"axG",@progbits,_ZN12_GLOBAL__N_127rocblas_gemm_batched_kernelI19rocblas_complex_numIfELi16ELi16ELi32ELi32ELi8ELi32ELi8ELi8ELi32ELc67ELc67EKPKS2_S5_KPS2_EEvlllT_PT11_llSA_llS8_PT12_llPT13_lli,comdat
.Lfunc_end247:
	.size	_ZN12_GLOBAL__N_127rocblas_gemm_batched_kernelI19rocblas_complex_numIfELi16ELi16ELi32ELi32ELi8ELi32ELi8ELi8ELi32ELc67ELc67EKPKS2_S5_KPS2_EEvlllT_PT11_llSA_llS8_PT12_llPT13_lli, .Lfunc_end247-_ZN12_GLOBAL__N_127rocblas_gemm_batched_kernelI19rocblas_complex_numIfELi16ELi16ELi32ELi32ELi8ELi32ELi8ELi8ELi32ELc67ELc67EKPKS2_S5_KPS2_EEvlllT_PT11_llSA_llS8_PT12_llPT13_lli
                                        ; -- End function
	.set _ZN12_GLOBAL__N_127rocblas_gemm_batched_kernelI19rocblas_complex_numIfELi16ELi16ELi32ELi32ELi8ELi32ELi8ELi8ELi32ELc67ELc67EKPKS2_S5_KPS2_EEvlllT_PT11_llSA_llS8_PT12_llPT13_lli.num_vgpr, 123
	.set _ZN12_GLOBAL__N_127rocblas_gemm_batched_kernelI19rocblas_complex_numIfELi16ELi16ELi32ELi32ELi8ELi32ELi8ELi8ELi32ELc67ELc67EKPKS2_S5_KPS2_EEvlllT_PT11_llSA_llS8_PT12_llPT13_lli.num_agpr, 0
	.set _ZN12_GLOBAL__N_127rocblas_gemm_batched_kernelI19rocblas_complex_numIfELi16ELi16ELi32ELi32ELi8ELi32ELi8ELi8ELi32ELc67ELc67EKPKS2_S5_KPS2_EEvlllT_PT11_llSA_llS8_PT12_llPT13_lli.numbered_sgpr, 39
	.set _ZN12_GLOBAL__N_127rocblas_gemm_batched_kernelI19rocblas_complex_numIfELi16ELi16ELi32ELi32ELi8ELi32ELi8ELi8ELi32ELc67ELc67EKPKS2_S5_KPS2_EEvlllT_PT11_llSA_llS8_PT12_llPT13_lli.num_named_barrier, 0
	.set _ZN12_GLOBAL__N_127rocblas_gemm_batched_kernelI19rocblas_complex_numIfELi16ELi16ELi32ELi32ELi8ELi32ELi8ELi8ELi32ELc67ELc67EKPKS2_S5_KPS2_EEvlllT_PT11_llSA_llS8_PT12_llPT13_lli.private_seg_size, 0
	.set _ZN12_GLOBAL__N_127rocblas_gemm_batched_kernelI19rocblas_complex_numIfELi16ELi16ELi32ELi32ELi8ELi32ELi8ELi8ELi32ELc67ELc67EKPKS2_S5_KPS2_EEvlllT_PT11_llSA_llS8_PT12_llPT13_lli.uses_vcc, 1
	.set _ZN12_GLOBAL__N_127rocblas_gemm_batched_kernelI19rocblas_complex_numIfELi16ELi16ELi32ELi32ELi8ELi32ELi8ELi8ELi32ELc67ELc67EKPKS2_S5_KPS2_EEvlllT_PT11_llSA_llS8_PT12_llPT13_lli.uses_flat_scratch, 1
	.set _ZN12_GLOBAL__N_127rocblas_gemm_batched_kernelI19rocblas_complex_numIfELi16ELi16ELi32ELi32ELi8ELi32ELi8ELi8ELi32ELc67ELc67EKPKS2_S5_KPS2_EEvlllT_PT11_llSA_llS8_PT12_llPT13_lli.has_dyn_sized_stack, 0
	.set _ZN12_GLOBAL__N_127rocblas_gemm_batched_kernelI19rocblas_complex_numIfELi16ELi16ELi32ELi32ELi8ELi32ELi8ELi8ELi32ELc67ELc67EKPKS2_S5_KPS2_EEvlllT_PT11_llSA_llS8_PT12_llPT13_lli.has_recursion, 0
	.set _ZN12_GLOBAL__N_127rocblas_gemm_batched_kernelI19rocblas_complex_numIfELi16ELi16ELi32ELi32ELi8ELi32ELi8ELi8ELi32ELc67ELc67EKPKS2_S5_KPS2_EEvlllT_PT11_llSA_llS8_PT12_llPT13_lli.has_indirect_call, 0
	.section	.AMDGPU.csdata,"",@progbits
; Kernel info:
; codeLenInByte = 2920
; TotalNumSgprs: 41
; NumVgprs: 123
; ScratchSize: 0
; MemoryBound: 0
; FloatMode: 240
; IeeeMode: 1
; LDSByteSize: 4096 bytes/workgroup (compile time only)
; SGPRBlocks: 0
; VGPRBlocks: 15
; NumSGPRsForWavesPerEU: 41
; NumVGPRsForWavesPerEU: 123
; Occupancy: 10
; WaveLimiterHint : 1
; COMPUTE_PGM_RSRC2:SCRATCH_EN: 0
; COMPUTE_PGM_RSRC2:USER_SGPR: 2
; COMPUTE_PGM_RSRC2:TRAP_HANDLER: 0
; COMPUTE_PGM_RSRC2:TGID_X_EN: 1
; COMPUTE_PGM_RSRC2:TGID_Y_EN: 1
; COMPUTE_PGM_RSRC2:TGID_Z_EN: 1
; COMPUTE_PGM_RSRC2:TIDIG_COMP_CNT: 1
	.section	.text._ZN12_GLOBAL__N_127rocblas_gemm_batched_kernelI19rocblas_complex_numIfELi16ELi16ELi32ELi32ELi8ELi32ELi8ELi8ELi32ELc67ELc78EKPKS2_S5_KPS2_EEvlllT_PT11_llSA_llS8_PT12_llPT13_lli,"axG",@progbits,_ZN12_GLOBAL__N_127rocblas_gemm_batched_kernelI19rocblas_complex_numIfELi16ELi16ELi32ELi32ELi8ELi32ELi8ELi8ELi32ELc67ELc78EKPKS2_S5_KPS2_EEvlllT_PT11_llSA_llS8_PT12_llPT13_lli,comdat
	.globl	_ZN12_GLOBAL__N_127rocblas_gemm_batched_kernelI19rocblas_complex_numIfELi16ELi16ELi32ELi32ELi8ELi32ELi8ELi8ELi32ELc67ELc78EKPKS2_S5_KPS2_EEvlllT_PT11_llSA_llS8_PT12_llPT13_lli ; -- Begin function _ZN12_GLOBAL__N_127rocblas_gemm_batched_kernelI19rocblas_complex_numIfELi16ELi16ELi32ELi32ELi8ELi32ELi8ELi8ELi32ELc67ELc78EKPKS2_S5_KPS2_EEvlllT_PT11_llSA_llS8_PT12_llPT13_lli
	.p2align	8
	.type	_ZN12_GLOBAL__N_127rocblas_gemm_batched_kernelI19rocblas_complex_numIfELi16ELi16ELi32ELi32ELi8ELi32ELi8ELi8ELi32ELc67ELc78EKPKS2_S5_KPS2_EEvlllT_PT11_llSA_llS8_PT12_llPT13_lli,@function
_ZN12_GLOBAL__N_127rocblas_gemm_batched_kernelI19rocblas_complex_numIfELi16ELi16ELi32ELi32ELi8ELi32ELi8ELi8ELi32ELc67ELc78EKPKS2_S5_KPS2_EEvlllT_PT11_llSA_llS8_PT12_llPT13_lli: ; @_ZN12_GLOBAL__N_127rocblas_gemm_batched_kernelI19rocblas_complex_numIfELi16ELi16ELi32ELi32ELi8ELi32ELi8ELi8ELi32ELc67ELc78EKPKS2_S5_KPS2_EEvlllT_PT11_llSA_llS8_PT12_llPT13_lli
; %bb.0:
	s_load_b32 s33, s[0:1], 0x88
	s_lshr_b32 s34, ttmp7, 16
	s_wait_kmcnt 0x0
	s_cmp_ge_i32 s34, s33
	s_cbranch_scc1 .LBB248_10
; %bb.1:
	v_dual_mov_b32 v14, 0 :: v_dual_and_b32 v11, 0x3ff, v0
	v_bfe_u32 v1, v0, 10, 10
	s_clause 0x5
	s_load_b128 s[20:23], s[0:1], 0x10
	s_load_b256 s[4:11], s[0:1], 0x20
	s_load_b128 s[24:27], s[0:1], 0x78
	s_load_b128 s[28:31], s[0:1], 0x40
	s_load_b64 s[36:37], s[0:1], 0x50
	s_load_b256 s[12:19], s[0:1], 0x58
	s_lshl_b32 s0, ttmp7, 5
	v_lshl_add_u32 v2, v1, 4, v11
	s_and_b32 s35, s0, 0x1fffe0
	s_mov_b32 s2, ttmp9
	s_ashr_i32 s3, ttmp9, 31
	v_add_nc_u32_e32 v10, s35, v1
	v_lshrrev_b32_e32 v3, 3, v2
	v_and_b32_e32 v4, 31, v2
	s_lshl_b64 s[0:1], s[2:3], 5
	v_lshrrev_b32_e32 v19, 5, v2
	v_lshl_add_u32 v18, v1, 6, 0x800
	v_add_nc_u32_e32 v12, s35, v3
	v_lshlrev_b32_e32 v17, 3, v11
	s_mov_b32 s35, 0
	s_wait_kmcnt 0x0
	s_delay_alu instid0(VALU_DEP_2) | instskip(SKIP_2) | instid1(SALU_CYCLE_1)
	v_mad_co_u64_u32 v[6:7], null, s28, v12, 0
	v_lshlrev_b32_e32 v0, 3, v0
	s_or_b32 s2, s36, s37
	s_bitset0_b32 s2, 31
	s_delay_alu instid0(VALU_DEP_1)
	v_and_b32_e32 v21, 56, v0
	v_lshlrev_b32_e32 v0, 3, v4
	v_or_b32_e32 v4, s0, v4
	s_cmp_eq_u32 s2, 0
	s_mul_i32 s2, s6, s1
	v_lshl_or_b32 v2, v3, 6, v21
	v_lshl_or_b32 v15, v19, 8, v0
	v_mul_lo_u32 v13, s7, v4
	v_mad_co_u64_u32 v[4:5], null, s6, v4, 0
	s_delay_alu instid0(VALU_DEP_4)
	v_add_nc_u32_e32 v16, 0x800, v2
	v_mad_co_u64_u32 v[2:3], null, v10, s24, 0
	v_mad_co_u64_u32 v[0:1], null, v10, s14, 0
	s_cselect_b32 s38, -1, 0
	v_add3_u32 v5, v5, s2, v13
	s_lshl_b64 s[2:3], s[24:25], 4
	s_lshl_b64 s[6:7], s[26:27], 3
	v_mad_co_u64_u32 v[8:9], null, v10, s25, v[3:4]
	v_mad_co_u64_u32 v[9:10], null, v10, s15, v[1:2]
	v_mov_b32_e32 v1, v7
	v_lshlrev_b64_e32 v[4:5], 3, v[4:5]
	v_add_co_u32 v10, s0, s0, v11
	s_wait_alu 0xf1ff
	v_add_co_ci_u32_e64 v11, null, s1, 0, s0
	v_mad_co_u64_u32 v[12:13], null, s29, v12, v[1:2]
	s_lshl_b64 s[0:1], s[8:9], 3
	v_mov_b32_e32 v3, v8
	s_wait_alu 0xfffe
	v_add_co_u32 v4, vcc_lo, v4, s0
	v_dual_mov_b32 v1, v9 :: v_dual_lshlrev_b32 v8, 3, v19
	v_mov_b32_e32 v7, v12
	v_add_co_ci_u32_e64 v9, null, s1, v5, vcc_lo
	s_delay_alu instid0(VALU_DEP_3) | instskip(NEXT) | instid1(VALU_DEP_3)
	v_add_co_u32 v8, vcc_lo, v4, v8
	v_lshlrev_b64_e32 v[4:5], 3, v[6:7]
	s_lshl_b64 s[0:1], s[30:31], 3
	s_wait_alu 0xfffd
	v_add_co_ci_u32_e64 v19, null, 0, v9, vcc_lo
	v_lshlrev_b64_e32 v[0:1], 3, v[0:1]
	v_lshlrev_b64_e32 v[2:3], 3, v[2:3]
	s_wait_alu 0xfffe
	v_add_co_u32 v4, vcc_lo, v4, s0
	v_cmp_gt_i64_e64 s0, s[20:21], 0
	s_wait_alu 0xfffd
	v_add_co_ci_u32_e64 v5, null, s1, v5, vcc_lo
	s_delay_alu instid0(VALU_DEP_3)
	v_add_co_u32 v21, vcc_lo, v4, v21
	v_or_b32_e32 v20, 4, v8
	s_wait_alu 0xf1ff
	v_cndmask_b32_e64 v6, 0, 1, s0
	s_wait_alu 0xfffd
	v_add_co_ci_u32_e64 v22, null, 0, v5, vcc_lo
	v_lshlrev_b64_e32 v[4:5], 3, v[10:11]
	s_lshl_b64 s[14:15], s[14:15], 4
	v_cmp_ne_u32_e64 s0, 1, v6
	v_cndmask_b32_e64 v6, 0, 1, s38
	s_lshl_b64 s[8:9], s[16:17], 3
	s_wait_alu 0xfffe
	s_lshl_b64 s[14:15], s[14:15], 3
	s_lshl_b64 s[16:17], s[2:3], 3
	v_cmp_ne_u32_e64 s1, 1, v6
	s_branch .LBB248_3
.LBB248_2:                              ;   in Loop: Header=BB248_3 Depth=1
	s_add_co_i32 s34, s34, 0x10000
	flat_store_b32 v[8:9], v12 offset:4
	s_wait_alu 0xfffe
	s_cmp_lt_i32 s34, s33
	s_cbranch_scc0 .LBB248_10
.LBB248_3:                              ; =>This Loop Header: Depth=1
                                        ;     Child Loop BB248_5 Depth 2
	s_lshl_b64 s[2:3], s[34:35], 3
	v_dual_mov_b32 v29, 0 :: v_dual_mov_b32 v30, 0
	s_wait_alu 0xfffe
	s_add_nc_u64 s[24:25], s[12:13], s[2:3]
	s_add_nc_u64 s[26:27], s[18:19], s[2:3]
	s_clause 0x1
	global_load_b64 v[6:7], v14, s[24:25]
	global_load_b64 v[8:9], v14, s[26:27]
	v_dual_mov_b32 v27, 0 :: v_dual_mov_b32 v28, 0
	v_dual_mov_b32 v25, 0 :: v_dual_mov_b32 v26, 0
	;; [unrolled: 1-line block ×3, first 2 shown]
	s_and_b32 vcc_lo, exec_lo, s0
	s_wait_alu 0xfffe
	s_cbranch_vccnz .LBB248_6
; %bb.4:                                ;   in Loop: Header=BB248_3 Depth=1
	s_add_nc_u64 s[24:25], s[4:5], s[2:3]
	s_add_nc_u64 s[2:3], s[10:11], s[2:3]
	s_clause 0x1
	global_load_b64 v[10:11], v14, s[24:25]
	global_load_b64 v[12:13], v14, s[2:3]
	v_dual_mov_b32 v24, 0 :: v_dual_mov_b32 v23, 0
	v_dual_mov_b32 v26, 0 :: v_dual_mov_b32 v25, 0
	v_dual_mov_b32 v28, 0 :: v_dual_mov_b32 v27, 0
	v_dual_mov_b32 v30, 0 :: v_dual_mov_b32 v29, 0
	s_mov_b64 s[24:25], 0
	s_wait_loadcnt 0x1
	v_add_co_u32 v10, vcc_lo, v10, v20
	s_wait_alu 0xfffd
	v_add_co_ci_u32_e64 v11, null, v11, v19, vcc_lo
	s_wait_loadcnt 0x0
	v_add_co_u32 v12, vcc_lo, v12, v21
	s_wait_alu 0xfffd
	v_add_co_ci_u32_e64 v13, null, v13, v22, vcc_lo
.LBB248_5:                              ;   Parent Loop BB248_3 Depth=1
                                        ; =>  This Inner Loop Header: Depth=2
	flat_load_b64 v[31:32], v[10:11] offset:-4
	s_wait_alu 0xfffe
	s_add_nc_u64 s[24:25], s[24:25], 8
	v_add_co_u32 v10, vcc_lo, v10, 64
	s_wait_alu 0xfffe
	v_cmp_lt_i64_e64 s2, s[24:25], s[20:21]
	s_wait_alu 0xfffd
	v_add_co_ci_u32_e64 v11, null, 0, v11, vcc_lo
	s_and_b32 vcc_lo, exec_lo, s2
	s_wait_loadcnt_dscnt 0x0
	v_xor_b32_e32 v32, 0x80000000, v32
	ds_store_b64 v15, v[31:32]
	flat_load_b64 v[31:32], v[12:13]
	v_add_co_u32 v12, s2, v12, 64
	s_wait_alu 0xf1ff
	v_add_co_ci_u32_e64 v13, null, 0, v13, s2
	s_wait_loadcnt_dscnt 0x0
	ds_store_b64 v16, v[31:32]
	s_wait_dscnt 0x0
	s_barrier_signal -1
	s_barrier_wait -1
	global_inv scope:SCOPE_SE
	ds_load_2addr_b64 v[31:34], v17 offset1:16
	ds_load_b128 v[35:38], v18
	ds_load_b128 v[39:42], v18 offset:1024
	ds_load_2addr_b64 v[43:46], v17 offset0:32 offset1:48
	ds_load_b128 v[47:50], v18 offset:16
	ds_load_b128 v[51:54], v18 offset:32
	;; [unrolled: 1-line block ×3, first 2 shown]
	ds_load_2addr_b64 v[59:62], v17 offset0:64 offset1:80
	ds_load_b128 v[63:66], v18 offset:1040
	ds_load_2addr_b64 v[67:70], v17 offset0:96 offset1:112
	ds_load_2addr_b64 v[71:74], v17 offset0:128 offset1:144
	;; [unrolled: 1-line block ×4, first 2 shown]
	ds_load_b128 v[83:86], v18 offset:1056
	ds_load_b128 v[87:90], v18 offset:1072
	ds_load_2addr_b64 v[91:94], v17 offset0:224 offset1:240
	s_wait_loadcnt_dscnt 0x0
	s_barrier_signal -1
	s_barrier_wait -1
	global_inv scope:SCOPE_SE
	v_dual_mul_f32 v95, v36, v32 :: v_dual_mul_f32 v98, v35, v34
	v_dual_mul_f32 v96, v35, v32 :: v_dual_mul_f32 v97, v36, v34
	v_mul_f32_e32 v99, v40, v32
	v_dual_mul_f32 v32, v39, v32 :: v_dual_mul_f32 v103, v38, v46
	v_dual_mul_f32 v100, v40, v34 :: v_dual_mul_f32 v101, v38, v44
	v_mul_f32_e32 v34, v39, v34
	v_dual_mul_f32 v102, v37, v44 :: v_dual_mul_f32 v109, v48, v62
	v_dual_mul_f32 v104, v37, v46 :: v_dual_mul_f32 v105, v42, v44
	;; [unrolled: 1-line block ×7, first 2 shown]
	v_mul_f32_e32 v60, v63, v60
	v_dual_mul_f32 v112, v64, v62 :: v_dual_mul_f32 v117, v66, v68
	v_fma_f32 v95, v35, v31, -v95
	v_fmac_f32_e32 v96, v36, v31
	v_fma_f32 v35, v35, v33, -v97
	v_fmac_f32_e32 v98, v36, v33
	v_fma_f32 v36, v39, v31, -v99
	v_dual_mul_f32 v62, v63, v62 :: v_dual_mul_f32 v119, v52, v72
	v_mul_f32_e32 v116, v49, v70
	v_mul_f32_e32 v118, v66, v70
	;; [unrolled: 1-line block ×3, first 2 shown]
	v_dual_mul_f32 v122, v51, v74 :: v_dual_mul_f32 v97, v53, v76
	v_fmac_f32_e32 v32, v40, v31
	v_fma_f32 v31, v39, v33, -v100
	v_fmac_f32_e32 v34, v40, v33
	v_mul_f32_e32 v33, v84, v72
	v_dual_mul_f32 v39, v83, v72 :: v_dual_mul_f32 v40, v84, v74
	v_dual_fmac_f32 v97, v54, v75 :: v_dual_mul_f32 v72, v83, v74
	v_fma_f32 v74, v37, v43, -v101
	v_dual_fmac_f32 v102, v38, v43 :: v_dual_add_f32 v25, v25, v36
	v_fma_f32 v37, v37, v45, -v103
	v_mul_f32_e32 v99, v54, v78
	v_fma_f32 v101, v41, v43, -v105
	v_fma_f32 v107, v47, v59, -v107
	v_fmac_f32_e32 v108, v48, v59
	v_dual_fmac_f32 v110, v48, v61 :: v_dual_add_f32 v29, v29, v95
	v_fmac_f32_e32 v44, v42, v43
	v_fma_f32 v48, v63, v59, -v111
	v_dual_fmac_f32 v60, v64, v59 :: v_dual_add_f32 v25, v25, v101
	v_fma_f32 v59, v63, v61, -v112
	v_dual_mul_f32 v63, v87, v80 :: v_dual_fmac_f32 v46, v42, v45
	v_dual_mul_f32 v42, v86, v76 :: v_dual_add_f32 v27, v27, v35
	v_fma_f32 v41, v41, v45, -v106
	v_fma_f32 v47, v47, v61, -v109
	v_dual_fmac_f32 v62, v64, v61 :: v_dual_add_f32 v23, v23, v31
	v_add_f32_e32 v29, v29, v74
	v_dual_add_f32 v27, v27, v37 :: v_dual_mul_f32 v114, v49, v68
	v_dual_mul_f32 v68, v65, v68 :: v_dual_mul_f32 v105, v56, v82
	v_dual_mul_f32 v70, v65, v70 :: v_dual_mul_f32 v103, v55, v80
	v_dual_fmac_f32 v104, v38, v45 :: v_dual_fmac_f32 v39, v84, v71
	v_mul_f32_e32 v38, v54, v76
	v_mul_f32_e32 v43, v85, v76
	;; [unrolled: 1-line block ×4, first 2 shown]
	v_dual_mul_f32 v106, v55, v82 :: v_dual_mul_f32 v61, v88, v80
	v_dual_mul_f32 v64, v88, v82 :: v_dual_add_f32 v23, v23, v41
	v_dual_fmac_f32 v116, v50, v69 :: v_dual_add_f32 v27, v27, v47
	v_mul_f32_e32 v109, v57, v92
	v_mul_f32_e32 v76, v85, v78
	;; [unrolled: 1-line block ×3, first 2 shown]
	v_dual_mul_f32 v80, v87, v82 :: v_dual_add_f32 v29, v29, v107
	v_fma_f32 v82, v49, v67, -v113
	v_fma_f32 v49, v49, v69, -v115
	v_dual_fmac_f32 v114, v50, v67 :: v_dual_add_f32 v25, v25, v48
	v_dual_mul_f32 v50, v58, v92 :: v_dual_add_f32 v23, v23, v59
	v_mul_f32_e32 v111, v58, v94
	s_delay_alu instid0(VALU_DEP_4) | instskip(SKIP_4) | instid1(VALU_DEP_4)
	v_dual_mul_f32 v112, v57, v94 :: v_dual_add_f32 v27, v27, v49
	v_fma_f32 v113, v65, v67, -v117
	v_dual_fmac_f32 v68, v66, v67 :: v_dual_add_f32 v29, v29, v82
	v_fma_f32 v65, v65, v69, -v118
	v_fmac_f32_e32 v70, v66, v69
	v_dual_mul_f32 v66, v90, v92 :: v_dual_add_f32 v25, v25, v113
	v_mul_f32_e32 v67, v89, v92
	v_mul_f32_e32 v69, v90, v94
	v_dual_mul_f32 v92, v89, v94 :: v_dual_add_f32 v23, v23, v65
	v_fma_f32 v94, v51, v71, -v119
	v_fma_f32 v51, v51, v73, -v121
	v_fmac_f32_e32 v122, v52, v73
	v_fma_f32 v33, v83, v71, -v33
	v_fmac_f32_e32 v120, v52, v71
	v_fma_f32 v40, v83, v73, -v40
	v_fma_f32 v52, v53, v77, -v99
	v_fmac_f32_e32 v103, v56, v79
	v_fma_f32 v38, v53, v75, -v38
	v_add_f32_e32 v29, v29, v94
	v_dual_add_f32 v27, v27, v51 :: v_dual_fmac_f32 v72, v84, v73
	v_add_f32_e32 v23, v23, v40
	v_fma_f32 v42, v85, v75, -v42
	v_fmac_f32_e32 v43, v86, v75
	v_dual_fmac_f32 v100, v54, v77 :: v_dual_add_f32 v29, v29, v38
	v_fma_f32 v45, v85, v77, -v45
	v_fma_f32 v53, v55, v79, -v78
	;; [unrolled: 1-line block ×3, first 2 shown]
	v_fmac_f32_e32 v109, v58, v91
	v_dual_fmac_f32 v76, v86, v77 :: v_dual_add_f32 v27, v27, v52
	v_add_f32_e32 v25, v25, v33
	v_fma_f32 v55, v87, v79, -v61
	v_fmac_f32_e32 v80, v88, v81
	v_fma_f32 v50, v57, v91, -v50
	v_fma_f32 v57, v57, v93, -v111
	v_dual_fmac_f32 v67, v90, v91 :: v_dual_fmac_f32 v106, v56, v81
	v_add_f32_e32 v25, v25, v42
	v_fma_f32 v56, v87, v81, -v64
	v_dual_add_f32 v30, v30, v96 :: v_dual_add_f32 v23, v23, v45
	v_dual_add_f32 v28, v28, v98 :: v_dual_add_f32 v29, v29, v53
	;; [unrolled: 1-line block ×3, first 2 shown]
	v_add_f32_e32 v24, v24, v34
	v_dual_fmac_f32 v63, v88, v79 :: v_dual_fmac_f32 v112, v58, v93
	v_add_f32_e32 v25, v25, v55
	v_fma_f32 v58, v89, v91, -v66
	v_fma_f32 v61, v89, v93, -v69
	v_dual_fmac_f32 v92, v90, v93 :: v_dual_add_f32 v23, v23, v56
	v_add_f32_e32 v30, v30, v102
	s_delay_alu instid0(VALU_DEP_4) | instskip(SKIP_2) | instid1(VALU_DEP_3)
	v_dual_add_f32 v28, v28, v104 :: v_dual_add_f32 v25, v25, v58
	v_dual_add_f32 v29, v29, v50 :: v_dual_add_f32 v26, v26, v44
	v_dual_add_f32 v27, v27, v57 :: v_dual_add_f32 v24, v24, v46
	v_dual_add_f32 v28, v28, v110 :: v_dual_add_f32 v23, v23, v61
	v_add_f32_e32 v30, v30, v108
	s_delay_alu instid0(VALU_DEP_4) | instskip(NEXT) | instid1(VALU_DEP_4)
	v_add_f32_e32 v26, v26, v60
	v_add_f32_e32 v24, v24, v62
	s_delay_alu instid0(VALU_DEP_4) | instskip(NEXT) | instid1(VALU_DEP_4)
	v_add_f32_e32 v28, v28, v116
	;; [unrolled: 3-line block ×11, first 2 shown]
	v_add_f32_e32 v24, v24, v92
	s_wait_alu 0xfffe
	s_cbranch_vccnz .LBB248_5
.LBB248_6:                              ;   in Loop: Header=BB248_3 Depth=1
	s_wait_loadcnt 0x0
	v_add_co_u32 v10, vcc_lo, v8, s6
	s_wait_alu 0xfffd
	v_add_co_ci_u32_e64 v11, null, s7, v9, vcc_lo
	s_and_b32 vcc_lo, exec_lo, s1
	s_mov_b32 s2, -1
                                        ; implicit-def: $vgpr12
                                        ; implicit-def: $vgpr8_vgpr9
	s_wait_alu 0xfffe
	s_cbranch_vccz .LBB248_8
; %bb.7:                                ;   in Loop: Header=BB248_3 Depth=1
	s_and_not1_b32 vcc_lo, exec_lo, s2
	s_wait_alu 0xfffe
	s_cbranch_vccnz .LBB248_2
	s_branch .LBB248_9
.LBB248_8:                              ;   in Loop: Header=BB248_3 Depth=1
	v_mul_f32_e32 v8, s23, v30
	v_add_co_u32 v9, vcc_lo, v10, v2
	s_wait_alu 0xfffd
	v_add_co_ci_u32_e64 v12, null, v11, v3, vcc_lo
	s_delay_alu instid0(VALU_DEP_3) | instskip(SKIP_4) | instid1(VALU_DEP_3)
	v_fma_f32 v31, v29, s22, -v8
	v_mul_f32_e32 v8, s23, v28
	v_add_co_u32 v35, vcc_lo, v9, v4
	s_wait_alu 0xfffd
	v_add_co_ci_u32_e64 v36, null, v12, v5, vcc_lo
	v_fma_f32 v33, v27, s22, -v8
	v_mul_f32_e32 v8, s23, v26
	v_add_co_u32 v9, vcc_lo, v9, s16
	s_wait_alu 0xfffd
	v_add_co_ci_u32_e64 v13, null, s17, v12, vcc_lo
	s_delay_alu instid0(VALU_DEP_3)
	v_fma_f32 v37, v25, s22, -v8
	v_mul_f32_e32 v8, s23, v24
	v_add_co_u32 v39, vcc_lo, v9, v4
	v_mul_f32_e32 v32, s22, v30
	v_mul_f32_e32 v38, s22, v26
	v_mul_f32_e32 v12, s22, v24
	s_wait_alu 0xfffd
	v_add_co_ci_u32_e64 v40, null, v13, v5, vcc_lo
	v_mul_f32_e32 v34, s22, v28
	v_fma_f32 v13, v23, s22, -v8
	v_add_co_u32 v8, vcc_lo, 0x80, v39
	v_fmac_f32_e32 v32, s23, v29
	v_fmac_f32_e32 v38, s23, v25
	;; [unrolled: 1-line block ×3, first 2 shown]
	s_wait_alu 0xfffd
	v_add_co_ci_u32_e64 v9, null, 0, v40, vcc_lo
	v_fmac_f32_e32 v34, s23, v27
	s_clause 0x3
	flat_store_b64 v[35:36], v[31:32]
	flat_store_b64 v[35:36], v[33:34] offset:128
	flat_store_b64 v[39:40], v[37:38]
	flat_store_b32 v[39:40], v13 offset:128
	s_cbranch_execnz .LBB248_2
.LBB248_9:                              ;   in Loop: Header=BB248_3 Depth=1
	v_add_co_u32 v6, vcc_lo, v6, s8
	s_wait_alu 0xfffd
	v_add_co_ci_u32_e64 v7, null, s9, v7, vcc_lo
	s_delay_alu instid0(VALU_DEP_2) | instskip(SKIP_1) | instid1(VALU_DEP_2)
	v_add_co_u32 v12, vcc_lo, v6, v0
	s_wait_alu 0xfffd
	v_add_co_ci_u32_e64 v13, null, v7, v1, vcc_lo
	s_delay_alu instid0(VALU_DEP_2) | instskip(SKIP_1) | instid1(VALU_DEP_2)
	v_add_co_u32 v6, vcc_lo, v12, v4
	s_wait_alu 0xfffd
	v_add_co_ci_u32_e64 v7, null, v13, v5, vcc_lo
	v_add_co_u32 v34, vcc_lo, v10, v2
	s_wait_alu 0xfffd
	v_add_co_ci_u32_e64 v35, null, v11, v3, vcc_lo
	flat_load_b64 v[8:9], v[6:7]
	v_mul_f32_e32 v31, s23, v30
	s_wait_loadcnt_dscnt 0x0
	v_dual_mul_f32 v30, s22, v30 :: v_dual_mul_f32 v33, s36, v9
	v_mul_f32_e32 v32, s37, v9
	s_delay_alu instid0(VALU_DEP_3) | instskip(NEXT) | instid1(VALU_DEP_3)
	v_fma_f32 v10, v29, s22, -v31
	v_dual_fmac_f32 v30, s23, v29 :: v_dual_fmac_f32 v33, s37, v8
	s_delay_alu instid0(VALU_DEP_3) | instskip(SKIP_3) | instid1(VALU_DEP_3)
	v_fma_f32 v11, v8, s36, -v32
	v_add_co_u32 v8, vcc_lo, v34, v4
	s_wait_alu 0xfffd
	v_add_co_ci_u32_e64 v9, null, v35, v5, vcc_lo
	v_add_f32_e32 v10, v10, v11
	v_add_f32_e32 v11, v30, v33
	v_add_co_u32 v12, vcc_lo, v12, s14
	s_wait_alu 0xfffd
	v_add_co_ci_u32_e64 v13, null, s15, v13, vcc_lo
	flat_store_b64 v[8:9], v[10:11]
	flat_load_b64 v[6:7], v[6:7] offset:128
	v_mul_f32_e32 v10, s23, v28
	v_mul_f32_e32 v11, s22, v28
	s_delay_alu instid0(VALU_DEP_2) | instskip(NEXT) | instid1(VALU_DEP_2)
	v_fma_f32 v10, v27, s22, -v10
	v_fmac_f32_e32 v11, s23, v27
	s_wait_loadcnt_dscnt 0x0
	v_mul_f32_e32 v28, s37, v7
	v_mul_f32_e32 v7, s36, v7
	s_delay_alu instid0(VALU_DEP_1) | instskip(NEXT) | instid1(VALU_DEP_3)
	v_fmac_f32_e32 v7, s37, v6
	v_fma_f32 v27, v6, s36, -v28
	s_delay_alu instid0(VALU_DEP_2) | instskip(NEXT) | instid1(VALU_DEP_2)
	v_add_f32_e32 v7, v11, v7
	v_add_f32_e32 v6, v10, v27
	v_add_co_u32 v10, vcc_lo, v12, v4
	s_wait_alu 0xfffd
	v_add_co_ci_u32_e64 v11, null, v13, v5, vcc_lo
	flat_store_b64 v[8:9], v[6:7] offset:128
	v_mul_f32_e32 v8, s23, v26
	v_mul_f32_e32 v9, s22, v26
	flat_load_b64 v[6:7], v[10:11]
	v_fma_f32 v8, v25, s22, -v8
	s_wait_loadcnt_dscnt 0x0
	v_dual_fmac_f32 v9, s23, v25 :: v_dual_mul_f32 v12, s37, v7
	v_mul_f32_e32 v13, s36, v7
	v_add_co_u32 v7, vcc_lo, v34, s16
	s_wait_alu 0xfffd
	v_add_co_ci_u32_e64 v26, null, s17, v35, vcc_lo
	v_fma_f32 v12, v6, s36, -v12
	v_fmac_f32_e32 v13, s37, v6
	v_add_co_u32 v6, vcc_lo, v7, v4
	s_wait_alu 0xfffd
	v_add_co_ci_u32_e64 v7, null, v26, v5, vcc_lo
	s_delay_alu instid0(VALU_DEP_3) | instskip(SKIP_4) | instid1(VALU_DEP_2)
	v_dual_add_f32 v8, v8, v12 :: v_dual_add_f32 v9, v9, v13
	flat_store_b64 v[6:7], v[8:9]
	flat_load_b64 v[8:9], v[10:11] offset:128
	v_mul_f32_e32 v10, s23, v24
	v_mul_f32_e32 v11, s22, v24
	v_fma_f32 v10, v23, s22, -v10
	s_wait_loadcnt_dscnt 0x0
	s_delay_alu instid0(VALU_DEP_2) | instskip(SKIP_1) | instid1(VALU_DEP_2)
	v_dual_fmac_f32 v11, s23, v23 :: v_dual_mul_f32 v12, s37, v9
	v_mul_f32_e32 v9, s36, v9
	v_fma_f32 v12, v8, s36, -v12
	s_delay_alu instid0(VALU_DEP_2) | instskip(SKIP_1) | instid1(VALU_DEP_3)
	v_fmac_f32_e32 v9, s37, v8
	v_add_co_u32 v8, vcc_lo, 0x80, v6
	v_add_f32_e32 v10, v10, v12
	s_delay_alu instid0(VALU_DEP_3)
	v_add_f32_e32 v12, v11, v9
	s_wait_alu 0xfffd
	v_add_co_ci_u32_e64 v9, null, 0, v7, vcc_lo
	flat_store_b32 v[6:7], v10 offset:128
	s_branch .LBB248_2
.LBB248_10:
	s_nop 0
	s_sendmsg sendmsg(MSG_DEALLOC_VGPRS)
	s_endpgm
	.section	.rodata,"a",@progbits
	.p2align	6, 0x0
	.amdhsa_kernel _ZN12_GLOBAL__N_127rocblas_gemm_batched_kernelI19rocblas_complex_numIfELi16ELi16ELi32ELi32ELi8ELi32ELi8ELi8ELi32ELc67ELc78EKPKS2_S5_KPS2_EEvlllT_PT11_llSA_llS8_PT12_llPT13_lli
		.amdhsa_group_segment_fixed_size 4096
		.amdhsa_private_segment_fixed_size 0
		.amdhsa_kernarg_size 140
		.amdhsa_user_sgpr_count 2
		.amdhsa_user_sgpr_dispatch_ptr 0
		.amdhsa_user_sgpr_queue_ptr 0
		.amdhsa_user_sgpr_kernarg_segment_ptr 1
		.amdhsa_user_sgpr_dispatch_id 0
		.amdhsa_user_sgpr_private_segment_size 0
		.amdhsa_wavefront_size32 1
		.amdhsa_uses_dynamic_stack 0
		.amdhsa_enable_private_segment 0
		.amdhsa_system_sgpr_workgroup_id_x 1
		.amdhsa_system_sgpr_workgroup_id_y 1
		.amdhsa_system_sgpr_workgroup_id_z 1
		.amdhsa_system_sgpr_workgroup_info 0
		.amdhsa_system_vgpr_workitem_id 1
		.amdhsa_next_free_vgpr 123
		.amdhsa_next_free_sgpr 39
		.amdhsa_reserve_vcc 1
		.amdhsa_float_round_mode_32 0
		.amdhsa_float_round_mode_16_64 0
		.amdhsa_float_denorm_mode_32 3
		.amdhsa_float_denorm_mode_16_64 3
		.amdhsa_fp16_overflow 0
		.amdhsa_workgroup_processor_mode 1
		.amdhsa_memory_ordered 1
		.amdhsa_forward_progress 1
		.amdhsa_inst_pref_size 23
		.amdhsa_round_robin_scheduling 0
		.amdhsa_exception_fp_ieee_invalid_op 0
		.amdhsa_exception_fp_denorm_src 0
		.amdhsa_exception_fp_ieee_div_zero 0
		.amdhsa_exception_fp_ieee_overflow 0
		.amdhsa_exception_fp_ieee_underflow 0
		.amdhsa_exception_fp_ieee_inexact 0
		.amdhsa_exception_int_div_zero 0
	.end_amdhsa_kernel
	.section	.text._ZN12_GLOBAL__N_127rocblas_gemm_batched_kernelI19rocblas_complex_numIfELi16ELi16ELi32ELi32ELi8ELi32ELi8ELi8ELi32ELc67ELc78EKPKS2_S5_KPS2_EEvlllT_PT11_llSA_llS8_PT12_llPT13_lli,"axG",@progbits,_ZN12_GLOBAL__N_127rocblas_gemm_batched_kernelI19rocblas_complex_numIfELi16ELi16ELi32ELi32ELi8ELi32ELi8ELi8ELi32ELc67ELc78EKPKS2_S5_KPS2_EEvlllT_PT11_llSA_llS8_PT12_llPT13_lli,comdat
.Lfunc_end248:
	.size	_ZN12_GLOBAL__N_127rocblas_gemm_batched_kernelI19rocblas_complex_numIfELi16ELi16ELi32ELi32ELi8ELi32ELi8ELi8ELi32ELc67ELc78EKPKS2_S5_KPS2_EEvlllT_PT11_llSA_llS8_PT12_llPT13_lli, .Lfunc_end248-_ZN12_GLOBAL__N_127rocblas_gemm_batched_kernelI19rocblas_complex_numIfELi16ELi16ELi32ELi32ELi8ELi32ELi8ELi8ELi32ELc67ELc78EKPKS2_S5_KPS2_EEvlllT_PT11_llSA_llS8_PT12_llPT13_lli
                                        ; -- End function
	.set _ZN12_GLOBAL__N_127rocblas_gemm_batched_kernelI19rocblas_complex_numIfELi16ELi16ELi32ELi32ELi8ELi32ELi8ELi8ELi32ELc67ELc78EKPKS2_S5_KPS2_EEvlllT_PT11_llSA_llS8_PT12_llPT13_lli.num_vgpr, 123
	.set _ZN12_GLOBAL__N_127rocblas_gemm_batched_kernelI19rocblas_complex_numIfELi16ELi16ELi32ELi32ELi8ELi32ELi8ELi8ELi32ELc67ELc78EKPKS2_S5_KPS2_EEvlllT_PT11_llSA_llS8_PT12_llPT13_lli.num_agpr, 0
	.set _ZN12_GLOBAL__N_127rocblas_gemm_batched_kernelI19rocblas_complex_numIfELi16ELi16ELi32ELi32ELi8ELi32ELi8ELi8ELi32ELc67ELc78EKPKS2_S5_KPS2_EEvlllT_PT11_llSA_llS8_PT12_llPT13_lli.numbered_sgpr, 39
	.set _ZN12_GLOBAL__N_127rocblas_gemm_batched_kernelI19rocblas_complex_numIfELi16ELi16ELi32ELi32ELi8ELi32ELi8ELi8ELi32ELc67ELc78EKPKS2_S5_KPS2_EEvlllT_PT11_llSA_llS8_PT12_llPT13_lli.num_named_barrier, 0
	.set _ZN12_GLOBAL__N_127rocblas_gemm_batched_kernelI19rocblas_complex_numIfELi16ELi16ELi32ELi32ELi8ELi32ELi8ELi8ELi32ELc67ELc78EKPKS2_S5_KPS2_EEvlllT_PT11_llSA_llS8_PT12_llPT13_lli.private_seg_size, 0
	.set _ZN12_GLOBAL__N_127rocblas_gemm_batched_kernelI19rocblas_complex_numIfELi16ELi16ELi32ELi32ELi8ELi32ELi8ELi8ELi32ELc67ELc78EKPKS2_S5_KPS2_EEvlllT_PT11_llSA_llS8_PT12_llPT13_lli.uses_vcc, 1
	.set _ZN12_GLOBAL__N_127rocblas_gemm_batched_kernelI19rocblas_complex_numIfELi16ELi16ELi32ELi32ELi8ELi32ELi8ELi8ELi32ELc67ELc78EKPKS2_S5_KPS2_EEvlllT_PT11_llSA_llS8_PT12_llPT13_lli.uses_flat_scratch, 1
	.set _ZN12_GLOBAL__N_127rocblas_gemm_batched_kernelI19rocblas_complex_numIfELi16ELi16ELi32ELi32ELi8ELi32ELi8ELi8ELi32ELc67ELc78EKPKS2_S5_KPS2_EEvlllT_PT11_llSA_llS8_PT12_llPT13_lli.has_dyn_sized_stack, 0
	.set _ZN12_GLOBAL__N_127rocblas_gemm_batched_kernelI19rocblas_complex_numIfELi16ELi16ELi32ELi32ELi8ELi32ELi8ELi8ELi32ELc67ELc78EKPKS2_S5_KPS2_EEvlllT_PT11_llSA_llS8_PT12_llPT13_lli.has_recursion, 0
	.set _ZN12_GLOBAL__N_127rocblas_gemm_batched_kernelI19rocblas_complex_numIfELi16ELi16ELi32ELi32ELi8ELi32ELi8ELi8ELi32ELc67ELc78EKPKS2_S5_KPS2_EEvlllT_PT11_llSA_llS8_PT12_llPT13_lli.has_indirect_call, 0
	.section	.AMDGPU.csdata,"",@progbits
; Kernel info:
; codeLenInByte = 2920
; TotalNumSgprs: 41
; NumVgprs: 123
; ScratchSize: 0
; MemoryBound: 0
; FloatMode: 240
; IeeeMode: 1
; LDSByteSize: 4096 bytes/workgroup (compile time only)
; SGPRBlocks: 0
; VGPRBlocks: 15
; NumSGPRsForWavesPerEU: 41
; NumVGPRsForWavesPerEU: 123
; Occupancy: 10
; WaveLimiterHint : 1
; COMPUTE_PGM_RSRC2:SCRATCH_EN: 0
; COMPUTE_PGM_RSRC2:USER_SGPR: 2
; COMPUTE_PGM_RSRC2:TRAP_HANDLER: 0
; COMPUTE_PGM_RSRC2:TGID_X_EN: 1
; COMPUTE_PGM_RSRC2:TGID_Y_EN: 1
; COMPUTE_PGM_RSRC2:TGID_Z_EN: 1
; COMPUTE_PGM_RSRC2:TIDIG_COMP_CNT: 1
	.section	.text._ZN12_GLOBAL__N_127rocblas_gemm_batched_kernelI19rocblas_complex_numIfELi16ELi16ELi32ELi32ELi8ELi32ELi8ELi8ELi32ELc67ELc84EKPKS2_S5_KPS2_EEvlllT_PT11_llSA_llS8_PT12_llPT13_lli,"axG",@progbits,_ZN12_GLOBAL__N_127rocblas_gemm_batched_kernelI19rocblas_complex_numIfELi16ELi16ELi32ELi32ELi8ELi32ELi8ELi8ELi32ELc67ELc84EKPKS2_S5_KPS2_EEvlllT_PT11_llSA_llS8_PT12_llPT13_lli,comdat
	.globl	_ZN12_GLOBAL__N_127rocblas_gemm_batched_kernelI19rocblas_complex_numIfELi16ELi16ELi32ELi32ELi8ELi32ELi8ELi8ELi32ELc67ELc84EKPKS2_S5_KPS2_EEvlllT_PT11_llSA_llS8_PT12_llPT13_lli ; -- Begin function _ZN12_GLOBAL__N_127rocblas_gemm_batched_kernelI19rocblas_complex_numIfELi16ELi16ELi32ELi32ELi8ELi32ELi8ELi8ELi32ELc67ELc84EKPKS2_S5_KPS2_EEvlllT_PT11_llSA_llS8_PT12_llPT13_lli
	.p2align	8
	.type	_ZN12_GLOBAL__N_127rocblas_gemm_batched_kernelI19rocblas_complex_numIfELi16ELi16ELi32ELi32ELi8ELi32ELi8ELi8ELi32ELc67ELc84EKPKS2_S5_KPS2_EEvlllT_PT11_llSA_llS8_PT12_llPT13_lli,@function
_ZN12_GLOBAL__N_127rocblas_gemm_batched_kernelI19rocblas_complex_numIfELi16ELi16ELi32ELi32ELi8ELi32ELi8ELi8ELi32ELc67ELc84EKPKS2_S5_KPS2_EEvlllT_PT11_llSA_llS8_PT12_llPT13_lli: ; @_ZN12_GLOBAL__N_127rocblas_gemm_batched_kernelI19rocblas_complex_numIfELi16ELi16ELi32ELi32ELi8ELi32ELi8ELi8ELi32ELc67ELc84EKPKS2_S5_KPS2_EEvlllT_PT11_llSA_llS8_PT12_llPT13_lli
; %bb.0:
	s_load_b32 s33, s[0:1], 0x88
	s_lshr_b32 s34, ttmp7, 16
	s_wait_kmcnt 0x0
	s_cmp_ge_i32 s34, s33
	s_cbranch_scc1 .LBB249_10
; %bb.1:
	v_dual_mov_b32 v14, 0 :: v_dual_and_b32 v11, 0x3ff, v0
	v_bfe_u32 v8, v0, 10, 10
	s_clause 0x2
	s_load_b128 s[24:27], s[0:1], 0x40
	s_load_b128 s[20:23], s[0:1], 0x10
	s_load_b256 s[4:11], s[0:1], 0x20
	s_lshl_b32 s3, ttmp7, 5
	s_clause 0x2
	s_load_b128 s[28:31], s[0:1], 0x78
	s_load_b64 s[36:37], s[0:1], 0x50
	s_load_b256 s[12:19], s[0:1], 0x58
	v_lshl_add_u32 v2, v8, 4, v11
	v_and_b32_e32 v4, 7, v0
	s_and_b32 s38, s3, 0x1fffe0
	s_mov_b32 s2, ttmp9
	v_add_nc_u32_e32 v10, s38, v8
	v_lshrrev_b32_e32 v3, 3, v2
	v_and_b32_e32 v5, 31, v2
	v_lshlrev_b32_e32 v6, 3, v4
	v_lshrrev_b32_e32 v12, 5, v2
	v_lshl_add_u32 v18, v8, 6, 0x800
	v_add_co_u32 v0, s3, v3, s38
	s_delay_alu instid0(VALU_DEP_1)
	v_add_co_ci_u32_e64 v1, null, 0, 0, s3
	s_ashr_i32 s3, ttmp9, 31
	v_lshlrev_b32_e32 v7, 3, v5
	s_wait_alu 0xfffe
	s_lshl_b64 s[0:1], s[2:3], 5
	s_wait_kmcnt 0x0
	v_mad_co_u64_u32 v[0:1], null, s24, v4, v[0:1]
	v_lshl_or_b32 v3, v3, 6, v6
	v_or_b32_e32 v6, s0, v5
	v_lshl_or_b32 v15, v12, 8, v7
	s_or_b32 s2, s36, s37
	v_lshlrev_b32_e32 v17, 3, v11
	v_add_nc_u32_e32 v16, 0x800, v3
	v_mul_lo_u32 v9, s7, v6
	v_mad_co_u64_u32 v[6:7], null, s6, v6, 0
	v_mad_co_u64_u32 v[1:2], null, s25, v4, v[1:2]
	v_mad_co_u64_u32 v[2:3], null, v10, s28, 0
	v_mad_co_u64_u32 v[4:5], null, v10, s14, 0
	s_wait_alu 0xfffe
	s_bitset0_b32 s2, 31
	s_mov_b32 s35, 0
	s_wait_alu 0xfffe
	s_cmp_eq_u32 s2, 0
	s_mul_i32 s2, s6, s1
	s_cselect_b32 s38, -1, 0
	s_wait_alu 0xfffe
	v_add3_u32 v7, v7, s2, v9
	v_mad_co_u64_u32 v[8:9], null, v10, s29, v[3:4]
	v_mad_co_u64_u32 v[9:10], null, v10, s15, v[5:6]
	s_delay_alu instid0(VALU_DEP_3)
	v_lshlrev_b64_e32 v[5:6], 3, v[6:7]
	v_add_co_u32 v10, s0, s0, v11
	s_wait_alu 0xf1ff
	v_add_co_ci_u32_e64 v11, null, s1, 0, s0
	s_lshl_b64 s[0:1], s[8:9], 3
	v_mov_b32_e32 v3, v8
	s_wait_alu 0xfffe
	v_add_co_u32 v7, vcc_lo, v5, s0
	v_lshlrev_b32_e32 v8, 3, v12
	v_cmp_gt_i64_e64 s6, s[20:21], 0
	v_add_co_ci_u32_e64 v6, null, s1, v6, vcc_lo
	v_lshlrev_b64_e32 v[0:1], 3, v[0:1]
	s_delay_alu instid0(VALU_DEP_4) | instskip(SKIP_1) | instid1(VALU_DEP_3)
	v_add_co_u32 v7, vcc_lo, v7, v8
	s_wait_alu 0xfffd
	v_add_co_ci_u32_e64 v19, null, 0, v6, vcc_lo
	s_wait_alu 0xf1ff
	v_cndmask_b32_e64 v6, 0, 1, s6
	s_lshl_b64 s[0:1], s[26:27], 3
	v_mov_b32_e32 v5, v9
	s_wait_alu 0xfffe
	v_add_co_u32 v21, vcc_lo, s0, v0
	v_cmp_ne_u32_e64 s0, 1, v6
	v_cndmask_b32_e64 v6, 0, 1, s38
	s_wait_alu 0xfffd
	v_add_co_ci_u32_e64 v22, null, s1, v1, vcc_lo
	v_lshlrev_b64_e32 v[0:1], 3, v[4:5]
	v_lshlrev_b64_e32 v[2:3], 3, v[2:3]
	;; [unrolled: 1-line block ×3, first 2 shown]
	v_or_b32_e32 v20, 4, v7
	v_cmp_ne_u32_e64 s1, 1, v6
	s_lshl_b64 s[2:3], s[28:29], 4
	s_lshl_b64 s[28:29], s[14:15], 4
	;; [unrolled: 1-line block ×5, first 2 shown]
	s_wait_alu 0xfffe
	s_lshl_b64 s[16:17], s[28:29], 3
	s_lshl_b64 s[24:25], s[2:3], 3
	s_branch .LBB249_3
.LBB249_2:                              ;   in Loop: Header=BB249_3 Depth=1
	s_add_co_i32 s34, s34, 0x10000
	flat_store_b32 v[8:9], v12 offset:4
	s_cmp_lt_i32 s34, s33
	s_cbranch_scc0 .LBB249_10
.LBB249_3:                              ; =>This Loop Header: Depth=1
                                        ;     Child Loop BB249_5 Depth 2
	s_lshl_b64 s[2:3], s[34:35], 3
	v_dual_mov_b32 v29, 0 :: v_dual_mov_b32 v30, 0
	s_wait_alu 0xfffe
	s_add_nc_u64 s[26:27], s[12:13], s[2:3]
	s_add_nc_u64 s[28:29], s[18:19], s[2:3]
	s_clause 0x1
	global_load_b64 v[6:7], v14, s[26:27]
	global_load_b64 v[8:9], v14, s[28:29]
	v_dual_mov_b32 v27, 0 :: v_dual_mov_b32 v28, 0
	v_dual_mov_b32 v25, 0 :: v_dual_mov_b32 v26, 0
	;; [unrolled: 1-line block ×3, first 2 shown]
	s_and_b32 vcc_lo, exec_lo, s0
	s_wait_alu 0xfffe
	s_cbranch_vccnz .LBB249_6
; %bb.4:                                ;   in Loop: Header=BB249_3 Depth=1
	s_add_nc_u64 s[26:27], s[4:5], s[2:3]
	s_add_nc_u64 s[2:3], s[10:11], s[2:3]
	s_clause 0x1
	global_load_b64 v[10:11], v14, s[26:27]
	global_load_b64 v[12:13], v14, s[2:3]
	v_dual_mov_b32 v24, 0 :: v_dual_mov_b32 v23, 0
	v_dual_mov_b32 v26, 0 :: v_dual_mov_b32 v25, 0
	;; [unrolled: 1-line block ×4, first 2 shown]
	s_mov_b64 s[26:27], 0
	s_wait_loadcnt 0x1
	v_add_co_u32 v10, vcc_lo, v10, v20
	s_wait_alu 0xfffd
	v_add_co_ci_u32_e64 v11, null, v11, v19, vcc_lo
	s_wait_loadcnt 0x0
	v_add_co_u32 v12, vcc_lo, v12, v21
	s_wait_alu 0xfffd
	v_add_co_ci_u32_e64 v13, null, v13, v22, vcc_lo
.LBB249_5:                              ;   Parent Loop BB249_3 Depth=1
                                        ; =>  This Inner Loop Header: Depth=2
	flat_load_b64 v[31:32], v[10:11] offset:-4
	s_wait_alu 0xfffe
	s_add_nc_u64 s[26:27], s[26:27], 8
	v_add_co_u32 v10, vcc_lo, v10, 64
	s_wait_alu 0xfffe
	v_cmp_lt_i64_e64 s2, s[26:27], s[20:21]
	s_wait_alu 0xfffd
	v_add_co_ci_u32_e64 v11, null, 0, v11, vcc_lo
	s_and_b32 vcc_lo, exec_lo, s2
	s_wait_loadcnt_dscnt 0x0
	v_xor_b32_e32 v32, 0x80000000, v32
	ds_store_b64 v15, v[31:32]
	flat_load_b64 v[31:32], v[12:13]
	v_add_co_u32 v12, s2, v12, s6
	s_wait_alu 0xf1ff
	v_add_co_ci_u32_e64 v13, null, s7, v13, s2
	s_wait_loadcnt_dscnt 0x0
	ds_store_b64 v16, v[31:32]
	s_wait_dscnt 0x0
	s_barrier_signal -1
	s_barrier_wait -1
	global_inv scope:SCOPE_SE
	ds_load_2addr_b64 v[31:34], v17 offset1:16
	ds_load_b128 v[35:38], v18
	ds_load_b128 v[39:42], v18 offset:1024
	ds_load_2addr_b64 v[43:46], v17 offset0:32 offset1:48
	ds_load_b128 v[47:50], v18 offset:16
	ds_load_b128 v[51:54], v18 offset:32
	;; [unrolled: 1-line block ×3, first 2 shown]
	ds_load_2addr_b64 v[59:62], v17 offset0:64 offset1:80
	ds_load_b128 v[63:66], v18 offset:1040
	ds_load_2addr_b64 v[67:70], v17 offset0:96 offset1:112
	ds_load_2addr_b64 v[71:74], v17 offset0:128 offset1:144
	ds_load_2addr_b64 v[75:78], v17 offset0:160 offset1:176
	ds_load_2addr_b64 v[79:82], v17 offset0:192 offset1:208
	ds_load_b128 v[83:86], v18 offset:1056
	ds_load_b128 v[87:90], v18 offset:1072
	ds_load_2addr_b64 v[91:94], v17 offset0:224 offset1:240
	s_wait_loadcnt_dscnt 0x0
	s_barrier_signal -1
	s_barrier_wait -1
	global_inv scope:SCOPE_SE
	v_dual_mul_f32 v95, v36, v32 :: v_dual_mul_f32 v98, v35, v34
	v_dual_mul_f32 v96, v35, v32 :: v_dual_mul_f32 v97, v36, v34
	v_mul_f32_e32 v99, v40, v32
	v_dual_mul_f32 v32, v39, v32 :: v_dual_mul_f32 v103, v38, v46
	v_dual_mul_f32 v100, v40, v34 :: v_dual_mul_f32 v101, v38, v44
	v_mul_f32_e32 v34, v39, v34
	v_dual_mul_f32 v102, v37, v44 :: v_dual_mul_f32 v109, v48, v62
	v_dual_mul_f32 v104, v37, v46 :: v_dual_mul_f32 v105, v42, v44
	;; [unrolled: 1-line block ×7, first 2 shown]
	v_mul_f32_e32 v60, v63, v60
	v_dual_mul_f32 v112, v64, v62 :: v_dual_mul_f32 v117, v66, v68
	v_fma_f32 v95, v35, v31, -v95
	v_fmac_f32_e32 v96, v36, v31
	v_fma_f32 v35, v35, v33, -v97
	v_fmac_f32_e32 v98, v36, v33
	v_fma_f32 v36, v39, v31, -v99
	v_dual_mul_f32 v62, v63, v62 :: v_dual_mul_f32 v119, v52, v72
	v_mul_f32_e32 v116, v49, v70
	v_mul_f32_e32 v118, v66, v70
	;; [unrolled: 1-line block ×3, first 2 shown]
	v_dual_mul_f32 v122, v51, v74 :: v_dual_mul_f32 v97, v53, v76
	v_fmac_f32_e32 v32, v40, v31
	v_fma_f32 v31, v39, v33, -v100
	v_fmac_f32_e32 v34, v40, v33
	v_mul_f32_e32 v33, v84, v72
	v_dual_mul_f32 v39, v83, v72 :: v_dual_mul_f32 v40, v84, v74
	v_dual_fmac_f32 v97, v54, v75 :: v_dual_mul_f32 v72, v83, v74
	v_fma_f32 v74, v37, v43, -v101
	v_dual_fmac_f32 v102, v38, v43 :: v_dual_add_f32 v25, v25, v36
	v_fma_f32 v37, v37, v45, -v103
	v_mul_f32_e32 v99, v54, v78
	v_fma_f32 v101, v41, v43, -v105
	v_fma_f32 v107, v47, v59, -v107
	v_fmac_f32_e32 v108, v48, v59
	v_dual_fmac_f32 v110, v48, v61 :: v_dual_add_f32 v29, v29, v95
	v_fmac_f32_e32 v44, v42, v43
	v_fma_f32 v48, v63, v59, -v111
	v_dual_fmac_f32 v60, v64, v59 :: v_dual_add_f32 v25, v25, v101
	v_fma_f32 v59, v63, v61, -v112
	v_dual_mul_f32 v63, v87, v80 :: v_dual_fmac_f32 v46, v42, v45
	v_dual_mul_f32 v42, v86, v76 :: v_dual_add_f32 v27, v27, v35
	v_fma_f32 v41, v41, v45, -v106
	v_fma_f32 v47, v47, v61, -v109
	v_dual_fmac_f32 v62, v64, v61 :: v_dual_add_f32 v23, v23, v31
	v_add_f32_e32 v29, v29, v74
	v_dual_add_f32 v27, v27, v37 :: v_dual_mul_f32 v114, v49, v68
	v_dual_mul_f32 v68, v65, v68 :: v_dual_mul_f32 v105, v56, v82
	v_dual_mul_f32 v70, v65, v70 :: v_dual_mul_f32 v103, v55, v80
	v_dual_fmac_f32 v104, v38, v45 :: v_dual_fmac_f32 v39, v84, v71
	v_mul_f32_e32 v38, v54, v76
	v_mul_f32_e32 v43, v85, v76
	;; [unrolled: 1-line block ×4, first 2 shown]
	v_dual_mul_f32 v106, v55, v82 :: v_dual_mul_f32 v61, v88, v80
	v_dual_mul_f32 v64, v88, v82 :: v_dual_add_f32 v23, v23, v41
	v_dual_fmac_f32 v116, v50, v69 :: v_dual_add_f32 v27, v27, v47
	v_mul_f32_e32 v109, v57, v92
	v_mul_f32_e32 v76, v85, v78
	;; [unrolled: 1-line block ×3, first 2 shown]
	v_dual_mul_f32 v80, v87, v82 :: v_dual_add_f32 v29, v29, v107
	v_fma_f32 v82, v49, v67, -v113
	v_fma_f32 v49, v49, v69, -v115
	v_dual_fmac_f32 v114, v50, v67 :: v_dual_add_f32 v25, v25, v48
	v_dual_mul_f32 v50, v58, v92 :: v_dual_add_f32 v23, v23, v59
	v_mul_f32_e32 v111, v58, v94
	s_delay_alu instid0(VALU_DEP_4) | instskip(SKIP_4) | instid1(VALU_DEP_4)
	v_dual_mul_f32 v112, v57, v94 :: v_dual_add_f32 v27, v27, v49
	v_fma_f32 v113, v65, v67, -v117
	v_dual_fmac_f32 v68, v66, v67 :: v_dual_add_f32 v29, v29, v82
	v_fma_f32 v65, v65, v69, -v118
	v_fmac_f32_e32 v70, v66, v69
	v_dual_mul_f32 v66, v90, v92 :: v_dual_add_f32 v25, v25, v113
	v_mul_f32_e32 v67, v89, v92
	v_mul_f32_e32 v69, v90, v94
	v_dual_mul_f32 v92, v89, v94 :: v_dual_add_f32 v23, v23, v65
	v_fma_f32 v94, v51, v71, -v119
	v_fma_f32 v51, v51, v73, -v121
	v_fmac_f32_e32 v122, v52, v73
	v_fma_f32 v33, v83, v71, -v33
	v_fmac_f32_e32 v120, v52, v71
	v_fma_f32 v40, v83, v73, -v40
	v_fma_f32 v52, v53, v77, -v99
	v_fmac_f32_e32 v103, v56, v79
	v_fma_f32 v38, v53, v75, -v38
	v_add_f32_e32 v29, v29, v94
	v_dual_add_f32 v27, v27, v51 :: v_dual_fmac_f32 v72, v84, v73
	v_add_f32_e32 v23, v23, v40
	v_fma_f32 v42, v85, v75, -v42
	v_fmac_f32_e32 v43, v86, v75
	v_dual_fmac_f32 v100, v54, v77 :: v_dual_add_f32 v29, v29, v38
	v_fma_f32 v45, v85, v77, -v45
	v_fma_f32 v53, v55, v79, -v78
	;; [unrolled: 1-line block ×3, first 2 shown]
	v_fmac_f32_e32 v109, v58, v91
	v_dual_fmac_f32 v76, v86, v77 :: v_dual_add_f32 v27, v27, v52
	v_add_f32_e32 v25, v25, v33
	v_fma_f32 v55, v87, v79, -v61
	v_fmac_f32_e32 v80, v88, v81
	v_fma_f32 v50, v57, v91, -v50
	v_fma_f32 v57, v57, v93, -v111
	v_dual_fmac_f32 v67, v90, v91 :: v_dual_fmac_f32 v106, v56, v81
	v_add_f32_e32 v25, v25, v42
	v_fma_f32 v56, v87, v81, -v64
	v_dual_add_f32 v30, v30, v96 :: v_dual_add_f32 v23, v23, v45
	v_dual_add_f32 v28, v28, v98 :: v_dual_add_f32 v29, v29, v53
	;; [unrolled: 1-line block ×3, first 2 shown]
	v_add_f32_e32 v24, v24, v34
	v_dual_fmac_f32 v63, v88, v79 :: v_dual_fmac_f32 v112, v58, v93
	v_add_f32_e32 v25, v25, v55
	v_fma_f32 v58, v89, v91, -v66
	v_fma_f32 v61, v89, v93, -v69
	v_dual_fmac_f32 v92, v90, v93 :: v_dual_add_f32 v23, v23, v56
	v_add_f32_e32 v30, v30, v102
	s_delay_alu instid0(VALU_DEP_4) | instskip(SKIP_2) | instid1(VALU_DEP_3)
	v_dual_add_f32 v28, v28, v104 :: v_dual_add_f32 v25, v25, v58
	v_dual_add_f32 v29, v29, v50 :: v_dual_add_f32 v26, v26, v44
	;; [unrolled: 1-line block ×4, first 2 shown]
	v_add_f32_e32 v30, v30, v108
	s_delay_alu instid0(VALU_DEP_4) | instskip(NEXT) | instid1(VALU_DEP_4)
	v_add_f32_e32 v26, v26, v60
	v_add_f32_e32 v24, v24, v62
	s_delay_alu instid0(VALU_DEP_4) | instskip(NEXT) | instid1(VALU_DEP_4)
	v_add_f32_e32 v28, v28, v116
	;; [unrolled: 3-line block ×11, first 2 shown]
	v_add_f32_e32 v24, v24, v92
	s_wait_alu 0xfffe
	s_cbranch_vccnz .LBB249_5
.LBB249_6:                              ;   in Loop: Header=BB249_3 Depth=1
	s_wait_loadcnt 0x0
	v_add_co_u32 v10, vcc_lo, v8, s8
	s_wait_alu 0xfffd
	v_add_co_ci_u32_e64 v11, null, s9, v9, vcc_lo
	s_and_b32 vcc_lo, exec_lo, s1
	s_mov_b32 s2, -1
                                        ; implicit-def: $vgpr12
                                        ; implicit-def: $vgpr8_vgpr9
	s_wait_alu 0xfffe
	s_cbranch_vccz .LBB249_8
; %bb.7:                                ;   in Loop: Header=BB249_3 Depth=1
	s_and_not1_b32 vcc_lo, exec_lo, s2
	s_wait_alu 0xfffe
	s_cbranch_vccnz .LBB249_2
	s_branch .LBB249_9
.LBB249_8:                              ;   in Loop: Header=BB249_3 Depth=1
	v_mul_f32_e32 v8, s23, v30
	v_add_co_u32 v9, vcc_lo, v10, v2
	s_wait_alu 0xfffd
	v_add_co_ci_u32_e64 v12, null, v11, v3, vcc_lo
	s_delay_alu instid0(VALU_DEP_3) | instskip(SKIP_4) | instid1(VALU_DEP_3)
	v_fma_f32 v31, v29, s22, -v8
	v_mul_f32_e32 v8, s23, v28
	v_add_co_u32 v35, vcc_lo, v9, v4
	s_wait_alu 0xfffd
	v_add_co_ci_u32_e64 v36, null, v12, v5, vcc_lo
	v_fma_f32 v33, v27, s22, -v8
	v_mul_f32_e32 v8, s23, v26
	v_add_co_u32 v9, vcc_lo, v9, s24
	s_wait_alu 0xfffd
	v_add_co_ci_u32_e64 v13, null, s25, v12, vcc_lo
	s_delay_alu instid0(VALU_DEP_3)
	v_fma_f32 v37, v25, s22, -v8
	v_mul_f32_e32 v8, s23, v24
	v_add_co_u32 v39, vcc_lo, v9, v4
	v_mul_f32_e32 v32, s22, v30
	v_mul_f32_e32 v38, s22, v26
	;; [unrolled: 1-line block ×3, first 2 shown]
	s_wait_alu 0xfffd
	v_add_co_ci_u32_e64 v40, null, v13, v5, vcc_lo
	v_mul_f32_e32 v34, s22, v28
	v_fma_f32 v13, v23, s22, -v8
	v_add_co_u32 v8, vcc_lo, 0x80, v39
	v_fmac_f32_e32 v32, s23, v29
	v_fmac_f32_e32 v38, s23, v25
	;; [unrolled: 1-line block ×3, first 2 shown]
	s_wait_alu 0xfffd
	v_add_co_ci_u32_e64 v9, null, 0, v40, vcc_lo
	v_fmac_f32_e32 v34, s23, v27
	s_clause 0x3
	flat_store_b64 v[35:36], v[31:32]
	flat_store_b64 v[35:36], v[33:34] offset:128
	flat_store_b64 v[39:40], v[37:38]
	flat_store_b32 v[39:40], v13 offset:128
	s_cbranch_execnz .LBB249_2
.LBB249_9:                              ;   in Loop: Header=BB249_3 Depth=1
	v_add_co_u32 v6, vcc_lo, v6, s14
	s_wait_alu 0xfffd
	v_add_co_ci_u32_e64 v7, null, s15, v7, vcc_lo
	s_delay_alu instid0(VALU_DEP_2) | instskip(SKIP_1) | instid1(VALU_DEP_2)
	v_add_co_u32 v12, vcc_lo, v6, v0
	s_wait_alu 0xfffd
	v_add_co_ci_u32_e64 v13, null, v7, v1, vcc_lo
	s_delay_alu instid0(VALU_DEP_2) | instskip(SKIP_1) | instid1(VALU_DEP_2)
	v_add_co_u32 v6, vcc_lo, v12, v4
	s_wait_alu 0xfffd
	v_add_co_ci_u32_e64 v7, null, v13, v5, vcc_lo
	v_add_co_u32 v34, vcc_lo, v10, v2
	s_wait_alu 0xfffd
	v_add_co_ci_u32_e64 v35, null, v11, v3, vcc_lo
	flat_load_b64 v[8:9], v[6:7]
	v_mul_f32_e32 v31, s23, v30
	s_wait_loadcnt_dscnt 0x0
	v_dual_mul_f32 v30, s22, v30 :: v_dual_mul_f32 v33, s36, v9
	v_mul_f32_e32 v32, s37, v9
	s_delay_alu instid0(VALU_DEP_3) | instskip(NEXT) | instid1(VALU_DEP_3)
	v_fma_f32 v10, v29, s22, -v31
	v_dual_fmac_f32 v30, s23, v29 :: v_dual_fmac_f32 v33, s37, v8
	s_delay_alu instid0(VALU_DEP_3) | instskip(SKIP_3) | instid1(VALU_DEP_3)
	v_fma_f32 v11, v8, s36, -v32
	v_add_co_u32 v8, vcc_lo, v34, v4
	s_wait_alu 0xfffd
	v_add_co_ci_u32_e64 v9, null, v35, v5, vcc_lo
	v_add_f32_e32 v10, v10, v11
	v_add_f32_e32 v11, v30, v33
	v_add_co_u32 v12, vcc_lo, v12, s16
	s_wait_alu 0xfffd
	v_add_co_ci_u32_e64 v13, null, s17, v13, vcc_lo
	flat_store_b64 v[8:9], v[10:11]
	flat_load_b64 v[6:7], v[6:7] offset:128
	v_mul_f32_e32 v10, s23, v28
	v_mul_f32_e32 v11, s22, v28
	s_delay_alu instid0(VALU_DEP_2) | instskip(NEXT) | instid1(VALU_DEP_2)
	v_fma_f32 v10, v27, s22, -v10
	v_fmac_f32_e32 v11, s23, v27
	s_wait_loadcnt_dscnt 0x0
	v_mul_f32_e32 v28, s37, v7
	v_mul_f32_e32 v7, s36, v7
	s_delay_alu instid0(VALU_DEP_1) | instskip(NEXT) | instid1(VALU_DEP_3)
	v_fmac_f32_e32 v7, s37, v6
	v_fma_f32 v27, v6, s36, -v28
	s_delay_alu instid0(VALU_DEP_2) | instskip(NEXT) | instid1(VALU_DEP_2)
	v_add_f32_e32 v7, v11, v7
	v_add_f32_e32 v6, v10, v27
	v_add_co_u32 v10, vcc_lo, v12, v4
	s_wait_alu 0xfffd
	v_add_co_ci_u32_e64 v11, null, v13, v5, vcc_lo
	flat_store_b64 v[8:9], v[6:7] offset:128
	v_mul_f32_e32 v8, s23, v26
	v_mul_f32_e32 v9, s22, v26
	flat_load_b64 v[6:7], v[10:11]
	v_fma_f32 v8, v25, s22, -v8
	s_wait_loadcnt_dscnt 0x0
	v_dual_fmac_f32 v9, s23, v25 :: v_dual_mul_f32 v12, s37, v7
	v_mul_f32_e32 v13, s36, v7
	v_add_co_u32 v7, vcc_lo, v34, s24
	s_wait_alu 0xfffd
	v_add_co_ci_u32_e64 v26, null, s25, v35, vcc_lo
	v_fma_f32 v12, v6, s36, -v12
	v_fmac_f32_e32 v13, s37, v6
	v_add_co_u32 v6, vcc_lo, v7, v4
	s_wait_alu 0xfffd
	v_add_co_ci_u32_e64 v7, null, v26, v5, vcc_lo
	s_delay_alu instid0(VALU_DEP_3) | instskip(SKIP_4) | instid1(VALU_DEP_2)
	v_dual_add_f32 v8, v8, v12 :: v_dual_add_f32 v9, v9, v13
	flat_store_b64 v[6:7], v[8:9]
	flat_load_b64 v[8:9], v[10:11] offset:128
	v_mul_f32_e32 v10, s23, v24
	v_mul_f32_e32 v11, s22, v24
	v_fma_f32 v10, v23, s22, -v10
	s_wait_loadcnt_dscnt 0x0
	s_delay_alu instid0(VALU_DEP_2) | instskip(SKIP_1) | instid1(VALU_DEP_2)
	v_dual_fmac_f32 v11, s23, v23 :: v_dual_mul_f32 v12, s37, v9
	v_mul_f32_e32 v9, s36, v9
	v_fma_f32 v12, v8, s36, -v12
	s_delay_alu instid0(VALU_DEP_2) | instskip(SKIP_1) | instid1(VALU_DEP_3)
	v_fmac_f32_e32 v9, s37, v8
	v_add_co_u32 v8, vcc_lo, 0x80, v6
	v_add_f32_e32 v10, v10, v12
	s_delay_alu instid0(VALU_DEP_3)
	v_add_f32_e32 v12, v11, v9
	s_wait_alu 0xfffd
	v_add_co_ci_u32_e64 v9, null, 0, v7, vcc_lo
	flat_store_b32 v[6:7], v10 offset:128
	s_branch .LBB249_2
.LBB249_10:
	s_nop 0
	s_sendmsg sendmsg(MSG_DEALLOC_VGPRS)
	s_endpgm
	.section	.rodata,"a",@progbits
	.p2align	6, 0x0
	.amdhsa_kernel _ZN12_GLOBAL__N_127rocblas_gemm_batched_kernelI19rocblas_complex_numIfELi16ELi16ELi32ELi32ELi8ELi32ELi8ELi8ELi32ELc67ELc84EKPKS2_S5_KPS2_EEvlllT_PT11_llSA_llS8_PT12_llPT13_lli
		.amdhsa_group_segment_fixed_size 4096
		.amdhsa_private_segment_fixed_size 0
		.amdhsa_kernarg_size 140
		.amdhsa_user_sgpr_count 2
		.amdhsa_user_sgpr_dispatch_ptr 0
		.amdhsa_user_sgpr_queue_ptr 0
		.amdhsa_user_sgpr_kernarg_segment_ptr 1
		.amdhsa_user_sgpr_dispatch_id 0
		.amdhsa_user_sgpr_private_segment_size 0
		.amdhsa_wavefront_size32 1
		.amdhsa_uses_dynamic_stack 0
		.amdhsa_enable_private_segment 0
		.amdhsa_system_sgpr_workgroup_id_x 1
		.amdhsa_system_sgpr_workgroup_id_y 1
		.amdhsa_system_sgpr_workgroup_id_z 1
		.amdhsa_system_sgpr_workgroup_info 0
		.amdhsa_system_vgpr_workitem_id 1
		.amdhsa_next_free_vgpr 123
		.amdhsa_next_free_sgpr 39
		.amdhsa_reserve_vcc 1
		.amdhsa_float_round_mode_32 0
		.amdhsa_float_round_mode_16_64 0
		.amdhsa_float_denorm_mode_32 3
		.amdhsa_float_denorm_mode_16_64 3
		.amdhsa_fp16_overflow 0
		.amdhsa_workgroup_processor_mode 1
		.amdhsa_memory_ordered 1
		.amdhsa_forward_progress 1
		.amdhsa_inst_pref_size 23
		.amdhsa_round_robin_scheduling 0
		.amdhsa_exception_fp_ieee_invalid_op 0
		.amdhsa_exception_fp_denorm_src 0
		.amdhsa_exception_fp_ieee_div_zero 0
		.amdhsa_exception_fp_ieee_overflow 0
		.amdhsa_exception_fp_ieee_underflow 0
		.amdhsa_exception_fp_ieee_inexact 0
		.amdhsa_exception_int_div_zero 0
	.end_amdhsa_kernel
	.section	.text._ZN12_GLOBAL__N_127rocblas_gemm_batched_kernelI19rocblas_complex_numIfELi16ELi16ELi32ELi32ELi8ELi32ELi8ELi8ELi32ELc67ELc84EKPKS2_S5_KPS2_EEvlllT_PT11_llSA_llS8_PT12_llPT13_lli,"axG",@progbits,_ZN12_GLOBAL__N_127rocblas_gemm_batched_kernelI19rocblas_complex_numIfELi16ELi16ELi32ELi32ELi8ELi32ELi8ELi8ELi32ELc67ELc84EKPKS2_S5_KPS2_EEvlllT_PT11_llSA_llS8_PT12_llPT13_lli,comdat
.Lfunc_end249:
	.size	_ZN12_GLOBAL__N_127rocblas_gemm_batched_kernelI19rocblas_complex_numIfELi16ELi16ELi32ELi32ELi8ELi32ELi8ELi8ELi32ELc67ELc84EKPKS2_S5_KPS2_EEvlllT_PT11_llSA_llS8_PT12_llPT13_lli, .Lfunc_end249-_ZN12_GLOBAL__N_127rocblas_gemm_batched_kernelI19rocblas_complex_numIfELi16ELi16ELi32ELi32ELi8ELi32ELi8ELi8ELi32ELc67ELc84EKPKS2_S5_KPS2_EEvlllT_PT11_llSA_llS8_PT12_llPT13_lli
                                        ; -- End function
	.set _ZN12_GLOBAL__N_127rocblas_gemm_batched_kernelI19rocblas_complex_numIfELi16ELi16ELi32ELi32ELi8ELi32ELi8ELi8ELi32ELc67ELc84EKPKS2_S5_KPS2_EEvlllT_PT11_llSA_llS8_PT12_llPT13_lli.num_vgpr, 123
	.set _ZN12_GLOBAL__N_127rocblas_gemm_batched_kernelI19rocblas_complex_numIfELi16ELi16ELi32ELi32ELi8ELi32ELi8ELi8ELi32ELc67ELc84EKPKS2_S5_KPS2_EEvlllT_PT11_llSA_llS8_PT12_llPT13_lli.num_agpr, 0
	.set _ZN12_GLOBAL__N_127rocblas_gemm_batched_kernelI19rocblas_complex_numIfELi16ELi16ELi32ELi32ELi8ELi32ELi8ELi8ELi32ELc67ELc84EKPKS2_S5_KPS2_EEvlllT_PT11_llSA_llS8_PT12_llPT13_lli.numbered_sgpr, 39
	.set _ZN12_GLOBAL__N_127rocblas_gemm_batched_kernelI19rocblas_complex_numIfELi16ELi16ELi32ELi32ELi8ELi32ELi8ELi8ELi32ELc67ELc84EKPKS2_S5_KPS2_EEvlllT_PT11_llSA_llS8_PT12_llPT13_lli.num_named_barrier, 0
	.set _ZN12_GLOBAL__N_127rocblas_gemm_batched_kernelI19rocblas_complex_numIfELi16ELi16ELi32ELi32ELi8ELi32ELi8ELi8ELi32ELc67ELc84EKPKS2_S5_KPS2_EEvlllT_PT11_llSA_llS8_PT12_llPT13_lli.private_seg_size, 0
	.set _ZN12_GLOBAL__N_127rocblas_gemm_batched_kernelI19rocblas_complex_numIfELi16ELi16ELi32ELi32ELi8ELi32ELi8ELi8ELi32ELc67ELc84EKPKS2_S5_KPS2_EEvlllT_PT11_llSA_llS8_PT12_llPT13_lli.uses_vcc, 1
	.set _ZN12_GLOBAL__N_127rocblas_gemm_batched_kernelI19rocblas_complex_numIfELi16ELi16ELi32ELi32ELi8ELi32ELi8ELi8ELi32ELc67ELc84EKPKS2_S5_KPS2_EEvlllT_PT11_llSA_llS8_PT12_llPT13_lli.uses_flat_scratch, 1
	.set _ZN12_GLOBAL__N_127rocblas_gemm_batched_kernelI19rocblas_complex_numIfELi16ELi16ELi32ELi32ELi8ELi32ELi8ELi8ELi32ELc67ELc84EKPKS2_S5_KPS2_EEvlllT_PT11_llSA_llS8_PT12_llPT13_lli.has_dyn_sized_stack, 0
	.set _ZN12_GLOBAL__N_127rocblas_gemm_batched_kernelI19rocblas_complex_numIfELi16ELi16ELi32ELi32ELi8ELi32ELi8ELi8ELi32ELc67ELc84EKPKS2_S5_KPS2_EEvlllT_PT11_llSA_llS8_PT12_llPT13_lli.has_recursion, 0
	.set _ZN12_GLOBAL__N_127rocblas_gemm_batched_kernelI19rocblas_complex_numIfELi16ELi16ELi32ELi32ELi8ELi32ELi8ELi8ELi32ELc67ELc84EKPKS2_S5_KPS2_EEvlllT_PT11_llSA_llS8_PT12_llPT13_lli.has_indirect_call, 0
	.section	.AMDGPU.csdata,"",@progbits
; Kernel info:
; codeLenInByte = 2916
; TotalNumSgprs: 41
; NumVgprs: 123
; ScratchSize: 0
; MemoryBound: 0
; FloatMode: 240
; IeeeMode: 1
; LDSByteSize: 4096 bytes/workgroup (compile time only)
; SGPRBlocks: 0
; VGPRBlocks: 15
; NumSGPRsForWavesPerEU: 41
; NumVGPRsForWavesPerEU: 123
; Occupancy: 10
; WaveLimiterHint : 1
; COMPUTE_PGM_RSRC2:SCRATCH_EN: 0
; COMPUTE_PGM_RSRC2:USER_SGPR: 2
; COMPUTE_PGM_RSRC2:TRAP_HANDLER: 0
; COMPUTE_PGM_RSRC2:TGID_X_EN: 1
; COMPUTE_PGM_RSRC2:TGID_Y_EN: 1
; COMPUTE_PGM_RSRC2:TGID_Z_EN: 1
; COMPUTE_PGM_RSRC2:TIDIG_COMP_CNT: 1
	.section	.text._ZN12_GLOBAL__N_127rocblas_gemm_batched_kernelI19rocblas_complex_numIfELi16ELi16ELi32ELi32ELi8ELi32ELi8ELi8ELi32ELc78ELc67EKPKS2_S5_KPS2_EEvlllT_PT11_llSA_llS8_PT12_llPT13_lli,"axG",@progbits,_ZN12_GLOBAL__N_127rocblas_gemm_batched_kernelI19rocblas_complex_numIfELi16ELi16ELi32ELi32ELi8ELi32ELi8ELi8ELi32ELc78ELc67EKPKS2_S5_KPS2_EEvlllT_PT11_llSA_llS8_PT12_llPT13_lli,comdat
	.globl	_ZN12_GLOBAL__N_127rocblas_gemm_batched_kernelI19rocblas_complex_numIfELi16ELi16ELi32ELi32ELi8ELi32ELi8ELi8ELi32ELc78ELc67EKPKS2_S5_KPS2_EEvlllT_PT11_llSA_llS8_PT12_llPT13_lli ; -- Begin function _ZN12_GLOBAL__N_127rocblas_gemm_batched_kernelI19rocblas_complex_numIfELi16ELi16ELi32ELi32ELi8ELi32ELi8ELi8ELi32ELc78ELc67EKPKS2_S5_KPS2_EEvlllT_PT11_llSA_llS8_PT12_llPT13_lli
	.p2align	8
	.type	_ZN12_GLOBAL__N_127rocblas_gemm_batched_kernelI19rocblas_complex_numIfELi16ELi16ELi32ELi32ELi8ELi32ELi8ELi8ELi32ELc78ELc67EKPKS2_S5_KPS2_EEvlllT_PT11_llSA_llS8_PT12_llPT13_lli,@function
_ZN12_GLOBAL__N_127rocblas_gemm_batched_kernelI19rocblas_complex_numIfELi16ELi16ELi32ELi32ELi8ELi32ELi8ELi8ELi32ELc78ELc67EKPKS2_S5_KPS2_EEvlllT_PT11_llSA_llS8_PT12_llPT13_lli: ; @_ZN12_GLOBAL__N_127rocblas_gemm_batched_kernelI19rocblas_complex_numIfELi16ELi16ELi32ELi32ELi8ELi32ELi8ELi8ELi32ELc78ELc67EKPKS2_S5_KPS2_EEvlllT_PT11_llSA_llS8_PT12_llPT13_lli
; %bb.0:
	s_load_b32 s33, s[0:1], 0x88
	s_lshr_b32 s34, ttmp7, 16
	s_wait_kmcnt 0x0
	s_cmp_ge_i32 s34, s33
	s_cbranch_scc1 .LBB250_10
; %bb.1:
	v_and_b32_e32 v12, 0x3ff, v0
	v_bfe_u32 v8, v0, 10, 10
	s_clause 0x5
	s_load_b128 s[24:27], s[0:1], 0x40
	s_load_b128 s[20:23], s[0:1], 0x10
	s_load_b256 s[4:11], s[0:1], 0x20
	s_load_b64 s[36:37], s[0:1], 0x50
	s_load_b128 s[28:31], s[0:1], 0x78
	s_load_b256 s[12:19], s[0:1], 0x58
	s_lshl_b32 s3, ttmp7, 5
	v_lshl_add_u32 v2, v8, 4, v12
	s_and_b32 s38, s3, 0x1fffe0
	v_and_b32_e32 v4, 7, v0
	v_dual_mov_b32 v14, 0 :: v_dual_add_nc_u32 v11, s38, v8
	s_delay_alu instid0(VALU_DEP_3) | instskip(SKIP_1) | instid1(VALU_DEP_4)
	v_lshrrev_b32_e32 v3, 3, v2
	v_and_b32_e32 v13, 31, v2
	v_lshlrev_b32_e32 v5, 3, v4
	v_lshrrev_b32_e32 v9, 5, v2
	s_mov_b32 s2, ttmp9
	v_add_co_u32 v0, s3, v3, s38
	s_delay_alu instid0(VALU_DEP_1)
	v_add_co_ci_u32_e64 v1, null, 0, 0, s3
	v_lshlrev_b32_e32 v6, 3, v13
	s_ashr_i32 s3, ttmp9, 31
	v_lshl_or_b32 v3, v3, 6, v5
	s_wait_kmcnt 0x0
	v_mad_co_u64_u32 v[0:1], null, s24, v4, v[0:1]
	s_wait_alu 0xfffe
	s_lshl_b64 s[0:1], s[2:3], 5
	v_lshl_or_b32 v15, v9, 8, v6
	v_mad_co_u64_u32 v[6:7], null, v11, s14, 0
	v_add_nc_u32_e32 v16, 0x800, v3
	v_lshl_add_u32 v18, v8, 6, 0x800
	v_mad_co_u64_u32 v[1:2], null, s25, v4, v[1:2]
	v_mad_co_u64_u32 v[4:5], null, s6, v9, s[0:1]
	;; [unrolled: 1-line block ×3, first 2 shown]
	s_or_b32 s2, s36, s37
	s_mov_b32 s35, 0
	s_wait_alu 0xfffe
	s_bitset0_b32 s2, 31
	v_lshlrev_b64_e32 v[0:1], 3, v[0:1]
	v_mad_co_u64_u32 v[8:9], null, s7, v9, v[5:6]
	v_mad_co_u64_u32 v[9:10], null, v11, s29, v[3:4]
	v_add_co_u32 v4, vcc_lo, v4, v13
	s_wait_alu 0xfffe
	s_cmp_eq_u32 s2, 0
	s_delay_alu instid0(VALU_DEP_3) | instskip(SKIP_1) | instid1(VALU_DEP_4)
	v_add_co_ci_u32_e64 v5, null, 0, v8, vcc_lo
	v_mad_co_u64_u32 v[10:11], null, v11, s15, v[7:8]
	v_mov_b32_e32 v3, v9
	s_delay_alu instid0(VALU_DEP_3)
	v_lshlrev_b64_e32 v[4:5], 3, v[4:5]
	v_add_co_u32 v11, s0, s0, v12
	v_lshlrev_b32_e32 v17, 3, v12
	s_cselect_b32 s38, -1, 0
	s_wait_alu 0xf1ff
	v_add_co_ci_u32_e64 v12, null, s1, 0, s0
	s_lshl_b64 s[0:1], s[8:9], 3
	v_mov_b32_e32 v7, v10
	s_wait_alu 0xfffe
	v_add_co_u32 v19, vcc_lo, s0, v4
	s_wait_alu 0xfffd
	v_add_co_ci_u32_e64 v20, null, s1, v5, vcc_lo
	s_lshl_b64 s[0:1], s[26:27], 3
	v_cndmask_b32_e64 v8, 0, 1, s38
	s_wait_alu 0xfffe
	v_add_co_u32 v0, vcc_lo, s0, v0
	v_cmp_gt_i64_e64 s0, s[20:21], 0
	s_wait_alu 0xfffd
	v_add_co_ci_u32_e64 v21, null, s1, v1, vcc_lo
	s_delay_alu instid0(VALU_DEP_3)
	v_or_b32_e32 v22, 4, v0
	v_lshlrev_b64_e32 v[0:1], 3, v[6:7]
	v_lshlrev_b64_e32 v[2:3], 3, v[2:3]
	s_wait_alu 0xf1ff
	v_cndmask_b32_e64 v4, 0, 1, s0
	v_cmp_ne_u32_e64 s1, 1, v8
	s_lshl_b64 s[2:3], s[28:29], 4
	s_lshl_b64 s[28:29], s[14:15], 4
	s_lshl_b64 s[6:7], s[6:7], 6
	v_cmp_ne_u32_e64 s0, 1, v4
	v_lshlrev_b64_e32 v[4:5], 3, v[11:12]
	s_lshl_b64 s[8:9], s[24:25], 6
	s_lshl_b64 s[14:15], s[30:31], 3
	;; [unrolled: 1-line block ×3, first 2 shown]
	s_wait_alu 0xfffe
	s_lshl_b64 s[24:25], s[28:29], 3
	s_lshl_b64 s[26:27], s[2:3], 3
	s_branch .LBB250_3
.LBB250_2:                              ;   in Loop: Header=BB250_3 Depth=1
	s_add_co_i32 s34, s34, 0x10000
	flat_store_b32 v[8:9], v12 offset:4
	s_cmp_lt_i32 s34, s33
	s_cbranch_scc0 .LBB250_10
.LBB250_3:                              ; =>This Loop Header: Depth=1
                                        ;     Child Loop BB250_5 Depth 2
	s_lshl_b64 s[2:3], s[34:35], 3
	v_dual_mov_b32 v29, 0 :: v_dual_mov_b32 v30, 0
	s_wait_alu 0xfffe
	s_add_nc_u64 s[28:29], s[12:13], s[2:3]
	s_add_nc_u64 s[30:31], s[18:19], s[2:3]
	s_clause 0x1
	global_load_b64 v[6:7], v14, s[28:29]
	global_load_b64 v[8:9], v14, s[30:31]
	v_dual_mov_b32 v27, 0 :: v_dual_mov_b32 v28, 0
	v_dual_mov_b32 v25, 0 :: v_dual_mov_b32 v26, 0
	;; [unrolled: 1-line block ×3, first 2 shown]
	s_and_b32 vcc_lo, exec_lo, s0
	s_wait_alu 0xfffe
	s_cbranch_vccnz .LBB250_6
; %bb.4:                                ;   in Loop: Header=BB250_3 Depth=1
	s_add_nc_u64 s[28:29], s[4:5], s[2:3]
	s_add_nc_u64 s[2:3], s[10:11], s[2:3]
	s_clause 0x1
	global_load_b64 v[10:11], v14, s[28:29]
	global_load_b64 v[12:13], v14, s[2:3]
	v_dual_mov_b32 v24, 0 :: v_dual_mov_b32 v23, 0
	v_dual_mov_b32 v26, 0 :: v_dual_mov_b32 v25, 0
	;; [unrolled: 1-line block ×4, first 2 shown]
	s_mov_b64 s[28:29], 0
	s_wait_loadcnt 0x1
	v_add_co_u32 v10, vcc_lo, v10, v19
	s_wait_alu 0xfffd
	v_add_co_ci_u32_e64 v11, null, v11, v20, vcc_lo
	s_wait_loadcnt 0x0
	v_add_co_u32 v12, vcc_lo, v12, v22
	s_wait_alu 0xfffd
	v_add_co_ci_u32_e64 v13, null, v13, v21, vcc_lo
.LBB250_5:                              ;   Parent Loop BB250_3 Depth=1
                                        ; =>  This Inner Loop Header: Depth=2
	flat_load_b64 v[31:32], v[10:11]
	s_wait_alu 0xfffe
	s_add_nc_u64 s[28:29], s[28:29], 8
	v_add_co_u32 v10, vcc_lo, v10, s6
	s_wait_alu 0xfffe
	v_cmp_lt_i64_e64 s2, s[28:29], s[20:21]
	s_wait_alu 0xfffd
	v_add_co_ci_u32_e64 v11, null, s7, v11, vcc_lo
	s_and_b32 vcc_lo, exec_lo, s2
	s_wait_loadcnt_dscnt 0x0
	ds_store_b64 v15, v[31:32]
	flat_load_b64 v[31:32], v[12:13] offset:-4
	v_add_co_u32 v12, s2, v12, s8
	s_wait_alu 0xf1ff
	v_add_co_ci_u32_e64 v13, null, s9, v13, s2
	s_wait_loadcnt_dscnt 0x0
	v_xor_b32_e32 v32, 0x80000000, v32
	ds_store_b64 v16, v[31:32]
	s_wait_dscnt 0x0
	s_barrier_signal -1
	s_barrier_wait -1
	global_inv scope:SCOPE_SE
	ds_load_2addr_b64 v[31:34], v17 offset1:16
	ds_load_b128 v[35:38], v18
	ds_load_b128 v[39:42], v18 offset:1024
	ds_load_2addr_b64 v[43:46], v17 offset0:32 offset1:48
	ds_load_b128 v[47:50], v18 offset:16
	ds_load_b128 v[51:54], v18 offset:32
	;; [unrolled: 1-line block ×3, first 2 shown]
	ds_load_2addr_b64 v[59:62], v17 offset0:64 offset1:80
	ds_load_b128 v[63:66], v18 offset:1040
	ds_load_2addr_b64 v[67:70], v17 offset0:96 offset1:112
	ds_load_2addr_b64 v[71:74], v17 offset0:128 offset1:144
	;; [unrolled: 1-line block ×4, first 2 shown]
	ds_load_b128 v[83:86], v18 offset:1056
	ds_load_b128 v[87:90], v18 offset:1072
	ds_load_2addr_b64 v[91:94], v17 offset0:224 offset1:240
	s_wait_loadcnt_dscnt 0x0
	s_barrier_signal -1
	s_barrier_wait -1
	global_inv scope:SCOPE_SE
	v_dual_mul_f32 v95, v36, v32 :: v_dual_mul_f32 v98, v35, v34
	v_dual_mul_f32 v96, v35, v32 :: v_dual_mul_f32 v97, v36, v34
	v_mul_f32_e32 v99, v40, v32
	v_dual_mul_f32 v32, v39, v32 :: v_dual_mul_f32 v103, v38, v46
	v_dual_mul_f32 v100, v40, v34 :: v_dual_mul_f32 v101, v38, v44
	v_mul_f32_e32 v34, v39, v34
	v_dual_mul_f32 v102, v37, v44 :: v_dual_mul_f32 v109, v48, v62
	v_dual_mul_f32 v104, v37, v46 :: v_dual_mul_f32 v105, v42, v44
	;; [unrolled: 1-line block ×7, first 2 shown]
	v_mul_f32_e32 v60, v63, v60
	v_dual_mul_f32 v112, v64, v62 :: v_dual_mul_f32 v117, v66, v68
	v_fma_f32 v95, v35, v31, -v95
	v_fmac_f32_e32 v96, v36, v31
	v_fma_f32 v35, v35, v33, -v97
	v_fmac_f32_e32 v98, v36, v33
	v_fma_f32 v36, v39, v31, -v99
	v_dual_mul_f32 v62, v63, v62 :: v_dual_mul_f32 v119, v52, v72
	v_mul_f32_e32 v116, v49, v70
	v_mul_f32_e32 v118, v66, v70
	;; [unrolled: 1-line block ×3, first 2 shown]
	v_dual_mul_f32 v122, v51, v74 :: v_dual_mul_f32 v97, v53, v76
	v_fmac_f32_e32 v32, v40, v31
	v_fma_f32 v31, v39, v33, -v100
	v_fmac_f32_e32 v34, v40, v33
	v_mul_f32_e32 v33, v84, v72
	v_dual_mul_f32 v39, v83, v72 :: v_dual_mul_f32 v40, v84, v74
	v_dual_fmac_f32 v97, v54, v75 :: v_dual_mul_f32 v72, v83, v74
	v_fma_f32 v74, v37, v43, -v101
	v_dual_fmac_f32 v102, v38, v43 :: v_dual_add_f32 v25, v25, v36
	v_fma_f32 v37, v37, v45, -v103
	v_mul_f32_e32 v99, v54, v78
	v_fma_f32 v101, v41, v43, -v105
	v_fma_f32 v107, v47, v59, -v107
	v_fmac_f32_e32 v108, v48, v59
	v_dual_fmac_f32 v110, v48, v61 :: v_dual_add_f32 v29, v29, v95
	v_fmac_f32_e32 v44, v42, v43
	v_fma_f32 v48, v63, v59, -v111
	v_dual_fmac_f32 v60, v64, v59 :: v_dual_add_f32 v25, v25, v101
	v_fma_f32 v59, v63, v61, -v112
	v_dual_mul_f32 v63, v87, v80 :: v_dual_fmac_f32 v46, v42, v45
	v_dual_mul_f32 v42, v86, v76 :: v_dual_add_f32 v27, v27, v35
	v_fma_f32 v41, v41, v45, -v106
	v_fma_f32 v47, v47, v61, -v109
	v_dual_fmac_f32 v62, v64, v61 :: v_dual_add_f32 v23, v23, v31
	v_add_f32_e32 v29, v29, v74
	v_dual_add_f32 v27, v27, v37 :: v_dual_mul_f32 v114, v49, v68
	v_dual_mul_f32 v68, v65, v68 :: v_dual_mul_f32 v105, v56, v82
	v_dual_mul_f32 v70, v65, v70 :: v_dual_mul_f32 v103, v55, v80
	v_dual_fmac_f32 v104, v38, v45 :: v_dual_fmac_f32 v39, v84, v71
	v_mul_f32_e32 v38, v54, v76
	v_mul_f32_e32 v43, v85, v76
	;; [unrolled: 1-line block ×4, first 2 shown]
	v_dual_mul_f32 v106, v55, v82 :: v_dual_mul_f32 v61, v88, v80
	v_dual_mul_f32 v64, v88, v82 :: v_dual_add_f32 v23, v23, v41
	v_dual_fmac_f32 v116, v50, v69 :: v_dual_add_f32 v27, v27, v47
	v_mul_f32_e32 v109, v57, v92
	v_mul_f32_e32 v76, v85, v78
	;; [unrolled: 1-line block ×3, first 2 shown]
	v_dual_mul_f32 v80, v87, v82 :: v_dual_add_f32 v29, v29, v107
	v_fma_f32 v82, v49, v67, -v113
	v_fma_f32 v49, v49, v69, -v115
	v_dual_fmac_f32 v114, v50, v67 :: v_dual_add_f32 v25, v25, v48
	v_dual_mul_f32 v50, v58, v92 :: v_dual_add_f32 v23, v23, v59
	v_mul_f32_e32 v111, v58, v94
	s_delay_alu instid0(VALU_DEP_4) | instskip(SKIP_4) | instid1(VALU_DEP_4)
	v_dual_mul_f32 v112, v57, v94 :: v_dual_add_f32 v27, v27, v49
	v_fma_f32 v113, v65, v67, -v117
	v_dual_fmac_f32 v68, v66, v67 :: v_dual_add_f32 v29, v29, v82
	v_fma_f32 v65, v65, v69, -v118
	v_fmac_f32_e32 v70, v66, v69
	v_dual_mul_f32 v66, v90, v92 :: v_dual_add_f32 v25, v25, v113
	v_mul_f32_e32 v67, v89, v92
	v_mul_f32_e32 v69, v90, v94
	v_dual_mul_f32 v92, v89, v94 :: v_dual_add_f32 v23, v23, v65
	v_fma_f32 v94, v51, v71, -v119
	v_fma_f32 v51, v51, v73, -v121
	v_fmac_f32_e32 v122, v52, v73
	v_fma_f32 v33, v83, v71, -v33
	v_fmac_f32_e32 v120, v52, v71
	v_fma_f32 v40, v83, v73, -v40
	v_fma_f32 v52, v53, v77, -v99
	v_fmac_f32_e32 v103, v56, v79
	v_fma_f32 v38, v53, v75, -v38
	v_add_f32_e32 v29, v29, v94
	v_dual_add_f32 v27, v27, v51 :: v_dual_fmac_f32 v72, v84, v73
	v_add_f32_e32 v23, v23, v40
	v_fma_f32 v42, v85, v75, -v42
	v_fmac_f32_e32 v43, v86, v75
	v_dual_fmac_f32 v100, v54, v77 :: v_dual_add_f32 v29, v29, v38
	v_fma_f32 v45, v85, v77, -v45
	v_fma_f32 v53, v55, v79, -v78
	;; [unrolled: 1-line block ×3, first 2 shown]
	v_fmac_f32_e32 v109, v58, v91
	v_dual_fmac_f32 v76, v86, v77 :: v_dual_add_f32 v27, v27, v52
	v_add_f32_e32 v25, v25, v33
	v_fma_f32 v55, v87, v79, -v61
	v_fmac_f32_e32 v80, v88, v81
	v_fma_f32 v50, v57, v91, -v50
	v_fma_f32 v57, v57, v93, -v111
	v_dual_fmac_f32 v67, v90, v91 :: v_dual_fmac_f32 v106, v56, v81
	v_add_f32_e32 v25, v25, v42
	v_fma_f32 v56, v87, v81, -v64
	v_dual_add_f32 v30, v30, v96 :: v_dual_add_f32 v23, v23, v45
	v_dual_add_f32 v28, v28, v98 :: v_dual_add_f32 v29, v29, v53
	;; [unrolled: 1-line block ×3, first 2 shown]
	v_add_f32_e32 v24, v24, v34
	v_dual_fmac_f32 v63, v88, v79 :: v_dual_fmac_f32 v112, v58, v93
	v_add_f32_e32 v25, v25, v55
	v_fma_f32 v58, v89, v91, -v66
	v_fma_f32 v61, v89, v93, -v69
	v_dual_fmac_f32 v92, v90, v93 :: v_dual_add_f32 v23, v23, v56
	v_add_f32_e32 v30, v30, v102
	s_delay_alu instid0(VALU_DEP_4) | instskip(SKIP_2) | instid1(VALU_DEP_3)
	v_dual_add_f32 v28, v28, v104 :: v_dual_add_f32 v25, v25, v58
	v_dual_add_f32 v29, v29, v50 :: v_dual_add_f32 v26, v26, v44
	;; [unrolled: 1-line block ×4, first 2 shown]
	v_add_f32_e32 v30, v30, v108
	s_delay_alu instid0(VALU_DEP_4) | instskip(NEXT) | instid1(VALU_DEP_4)
	v_add_f32_e32 v26, v26, v60
	v_add_f32_e32 v24, v24, v62
	s_delay_alu instid0(VALU_DEP_4) | instskip(NEXT) | instid1(VALU_DEP_4)
	v_add_f32_e32 v28, v28, v116
	;; [unrolled: 3-line block ×11, first 2 shown]
	v_add_f32_e32 v24, v24, v92
	s_wait_alu 0xfffe
	s_cbranch_vccnz .LBB250_5
.LBB250_6:                              ;   in Loop: Header=BB250_3 Depth=1
	s_wait_loadcnt 0x0
	v_add_co_u32 v10, vcc_lo, v8, s14
	s_wait_alu 0xfffd
	v_add_co_ci_u32_e64 v11, null, s15, v9, vcc_lo
	s_and_b32 vcc_lo, exec_lo, s1
	s_mov_b32 s2, -1
                                        ; implicit-def: $vgpr12
                                        ; implicit-def: $vgpr8_vgpr9
	s_wait_alu 0xfffe
	s_cbranch_vccz .LBB250_8
; %bb.7:                                ;   in Loop: Header=BB250_3 Depth=1
	s_and_not1_b32 vcc_lo, exec_lo, s2
	s_wait_alu 0xfffe
	s_cbranch_vccnz .LBB250_2
	s_branch .LBB250_9
.LBB250_8:                              ;   in Loop: Header=BB250_3 Depth=1
	v_mul_f32_e32 v8, s23, v30
	v_add_co_u32 v9, vcc_lo, v10, v2
	s_wait_alu 0xfffd
	v_add_co_ci_u32_e64 v12, null, v11, v3, vcc_lo
	s_delay_alu instid0(VALU_DEP_3) | instskip(SKIP_4) | instid1(VALU_DEP_3)
	v_fma_f32 v31, v29, s22, -v8
	v_mul_f32_e32 v8, s23, v28
	v_add_co_u32 v35, vcc_lo, v9, v4
	s_wait_alu 0xfffd
	v_add_co_ci_u32_e64 v36, null, v12, v5, vcc_lo
	v_fma_f32 v33, v27, s22, -v8
	v_mul_f32_e32 v8, s23, v26
	v_add_co_u32 v9, vcc_lo, v9, s26
	s_wait_alu 0xfffd
	v_add_co_ci_u32_e64 v13, null, s27, v12, vcc_lo
	s_delay_alu instid0(VALU_DEP_3)
	v_fma_f32 v37, v25, s22, -v8
	v_mul_f32_e32 v8, s23, v24
	v_add_co_u32 v39, vcc_lo, v9, v4
	v_mul_f32_e32 v32, s22, v30
	v_mul_f32_e32 v38, s22, v26
	;; [unrolled: 1-line block ×3, first 2 shown]
	s_wait_alu 0xfffd
	v_add_co_ci_u32_e64 v40, null, v13, v5, vcc_lo
	v_mul_f32_e32 v34, s22, v28
	v_fma_f32 v13, v23, s22, -v8
	v_add_co_u32 v8, vcc_lo, 0x80, v39
	v_fmac_f32_e32 v32, s23, v29
	v_fmac_f32_e32 v38, s23, v25
	;; [unrolled: 1-line block ×3, first 2 shown]
	s_wait_alu 0xfffd
	v_add_co_ci_u32_e64 v9, null, 0, v40, vcc_lo
	v_fmac_f32_e32 v34, s23, v27
	s_clause 0x3
	flat_store_b64 v[35:36], v[31:32]
	flat_store_b64 v[35:36], v[33:34] offset:128
	flat_store_b64 v[39:40], v[37:38]
	flat_store_b32 v[39:40], v13 offset:128
	s_cbranch_execnz .LBB250_2
.LBB250_9:                              ;   in Loop: Header=BB250_3 Depth=1
	v_add_co_u32 v6, vcc_lo, v6, s16
	s_wait_alu 0xfffd
	v_add_co_ci_u32_e64 v7, null, s17, v7, vcc_lo
	s_delay_alu instid0(VALU_DEP_2) | instskip(SKIP_1) | instid1(VALU_DEP_2)
	v_add_co_u32 v12, vcc_lo, v6, v0
	s_wait_alu 0xfffd
	v_add_co_ci_u32_e64 v13, null, v7, v1, vcc_lo
	s_delay_alu instid0(VALU_DEP_2) | instskip(SKIP_1) | instid1(VALU_DEP_2)
	v_add_co_u32 v6, vcc_lo, v12, v4
	s_wait_alu 0xfffd
	v_add_co_ci_u32_e64 v7, null, v13, v5, vcc_lo
	v_add_co_u32 v34, vcc_lo, v10, v2
	s_wait_alu 0xfffd
	v_add_co_ci_u32_e64 v35, null, v11, v3, vcc_lo
	flat_load_b64 v[8:9], v[6:7]
	v_mul_f32_e32 v31, s23, v30
	s_wait_loadcnt_dscnt 0x0
	v_dual_mul_f32 v30, s22, v30 :: v_dual_mul_f32 v33, s36, v9
	v_mul_f32_e32 v32, s37, v9
	s_delay_alu instid0(VALU_DEP_3) | instskip(NEXT) | instid1(VALU_DEP_3)
	v_fma_f32 v10, v29, s22, -v31
	v_dual_fmac_f32 v30, s23, v29 :: v_dual_fmac_f32 v33, s37, v8
	s_delay_alu instid0(VALU_DEP_3) | instskip(SKIP_3) | instid1(VALU_DEP_3)
	v_fma_f32 v11, v8, s36, -v32
	v_add_co_u32 v8, vcc_lo, v34, v4
	s_wait_alu 0xfffd
	v_add_co_ci_u32_e64 v9, null, v35, v5, vcc_lo
	v_add_f32_e32 v10, v10, v11
	v_add_f32_e32 v11, v30, v33
	v_add_co_u32 v12, vcc_lo, v12, s24
	s_wait_alu 0xfffd
	v_add_co_ci_u32_e64 v13, null, s25, v13, vcc_lo
	flat_store_b64 v[8:9], v[10:11]
	flat_load_b64 v[6:7], v[6:7] offset:128
	v_mul_f32_e32 v10, s23, v28
	v_mul_f32_e32 v11, s22, v28
	s_delay_alu instid0(VALU_DEP_2) | instskip(NEXT) | instid1(VALU_DEP_2)
	v_fma_f32 v10, v27, s22, -v10
	v_fmac_f32_e32 v11, s23, v27
	s_wait_loadcnt_dscnt 0x0
	v_mul_f32_e32 v28, s37, v7
	v_mul_f32_e32 v7, s36, v7
	s_delay_alu instid0(VALU_DEP_1) | instskip(NEXT) | instid1(VALU_DEP_3)
	v_fmac_f32_e32 v7, s37, v6
	v_fma_f32 v27, v6, s36, -v28
	s_delay_alu instid0(VALU_DEP_2) | instskip(NEXT) | instid1(VALU_DEP_2)
	v_add_f32_e32 v7, v11, v7
	v_add_f32_e32 v6, v10, v27
	v_add_co_u32 v10, vcc_lo, v12, v4
	s_wait_alu 0xfffd
	v_add_co_ci_u32_e64 v11, null, v13, v5, vcc_lo
	flat_store_b64 v[8:9], v[6:7] offset:128
	v_mul_f32_e32 v8, s23, v26
	v_mul_f32_e32 v9, s22, v26
	flat_load_b64 v[6:7], v[10:11]
	v_fma_f32 v8, v25, s22, -v8
	s_wait_loadcnt_dscnt 0x0
	v_dual_fmac_f32 v9, s23, v25 :: v_dual_mul_f32 v12, s37, v7
	v_mul_f32_e32 v13, s36, v7
	v_add_co_u32 v7, vcc_lo, v34, s26
	s_wait_alu 0xfffd
	v_add_co_ci_u32_e64 v26, null, s27, v35, vcc_lo
	v_fma_f32 v12, v6, s36, -v12
	v_fmac_f32_e32 v13, s37, v6
	v_add_co_u32 v6, vcc_lo, v7, v4
	s_wait_alu 0xfffd
	v_add_co_ci_u32_e64 v7, null, v26, v5, vcc_lo
	s_delay_alu instid0(VALU_DEP_3) | instskip(SKIP_4) | instid1(VALU_DEP_2)
	v_dual_add_f32 v8, v8, v12 :: v_dual_add_f32 v9, v9, v13
	flat_store_b64 v[6:7], v[8:9]
	flat_load_b64 v[8:9], v[10:11] offset:128
	v_mul_f32_e32 v10, s23, v24
	v_mul_f32_e32 v11, s22, v24
	v_fma_f32 v10, v23, s22, -v10
	s_wait_loadcnt_dscnt 0x0
	s_delay_alu instid0(VALU_DEP_2) | instskip(SKIP_1) | instid1(VALU_DEP_2)
	v_dual_fmac_f32 v11, s23, v23 :: v_dual_mul_f32 v12, s37, v9
	v_mul_f32_e32 v9, s36, v9
	v_fma_f32 v12, v8, s36, -v12
	s_delay_alu instid0(VALU_DEP_2) | instskip(SKIP_1) | instid1(VALU_DEP_3)
	v_fmac_f32_e32 v9, s37, v8
	v_add_co_u32 v8, vcc_lo, 0x80, v6
	v_add_f32_e32 v10, v10, v12
	s_delay_alu instid0(VALU_DEP_3)
	v_add_f32_e32 v12, v11, v9
	s_wait_alu 0xfffd
	v_add_co_ci_u32_e64 v9, null, 0, v7, vcc_lo
	flat_store_b32 v[6:7], v10 offset:128
	s_branch .LBB250_2
.LBB250_10:
	s_nop 0
	s_sendmsg sendmsg(MSG_DEALLOC_VGPRS)
	s_endpgm
	.section	.rodata,"a",@progbits
	.p2align	6, 0x0
	.amdhsa_kernel _ZN12_GLOBAL__N_127rocblas_gemm_batched_kernelI19rocblas_complex_numIfELi16ELi16ELi32ELi32ELi8ELi32ELi8ELi8ELi32ELc78ELc67EKPKS2_S5_KPS2_EEvlllT_PT11_llSA_llS8_PT12_llPT13_lli
		.amdhsa_group_segment_fixed_size 4096
		.amdhsa_private_segment_fixed_size 0
		.amdhsa_kernarg_size 140
		.amdhsa_user_sgpr_count 2
		.amdhsa_user_sgpr_dispatch_ptr 0
		.amdhsa_user_sgpr_queue_ptr 0
		.amdhsa_user_sgpr_kernarg_segment_ptr 1
		.amdhsa_user_sgpr_dispatch_id 0
		.amdhsa_user_sgpr_private_segment_size 0
		.amdhsa_wavefront_size32 1
		.amdhsa_uses_dynamic_stack 0
		.amdhsa_enable_private_segment 0
		.amdhsa_system_sgpr_workgroup_id_x 1
		.amdhsa_system_sgpr_workgroup_id_y 1
		.amdhsa_system_sgpr_workgroup_id_z 1
		.amdhsa_system_sgpr_workgroup_info 0
		.amdhsa_system_vgpr_workitem_id 1
		.amdhsa_next_free_vgpr 123
		.amdhsa_next_free_sgpr 39
		.amdhsa_reserve_vcc 1
		.amdhsa_float_round_mode_32 0
		.amdhsa_float_round_mode_16_64 0
		.amdhsa_float_denorm_mode_32 3
		.amdhsa_float_denorm_mode_16_64 3
		.amdhsa_fp16_overflow 0
		.amdhsa_workgroup_processor_mode 1
		.amdhsa_memory_ordered 1
		.amdhsa_forward_progress 1
		.amdhsa_inst_pref_size 23
		.amdhsa_round_robin_scheduling 0
		.amdhsa_exception_fp_ieee_invalid_op 0
		.amdhsa_exception_fp_denorm_src 0
		.amdhsa_exception_fp_ieee_div_zero 0
		.amdhsa_exception_fp_ieee_overflow 0
		.amdhsa_exception_fp_ieee_underflow 0
		.amdhsa_exception_fp_ieee_inexact 0
		.amdhsa_exception_int_div_zero 0
	.end_amdhsa_kernel
	.section	.text._ZN12_GLOBAL__N_127rocblas_gemm_batched_kernelI19rocblas_complex_numIfELi16ELi16ELi32ELi32ELi8ELi32ELi8ELi8ELi32ELc78ELc67EKPKS2_S5_KPS2_EEvlllT_PT11_llSA_llS8_PT12_llPT13_lli,"axG",@progbits,_ZN12_GLOBAL__N_127rocblas_gemm_batched_kernelI19rocblas_complex_numIfELi16ELi16ELi32ELi32ELi8ELi32ELi8ELi8ELi32ELc78ELc67EKPKS2_S5_KPS2_EEvlllT_PT11_llSA_llS8_PT12_llPT13_lli,comdat
.Lfunc_end250:
	.size	_ZN12_GLOBAL__N_127rocblas_gemm_batched_kernelI19rocblas_complex_numIfELi16ELi16ELi32ELi32ELi8ELi32ELi8ELi8ELi32ELc78ELc67EKPKS2_S5_KPS2_EEvlllT_PT11_llSA_llS8_PT12_llPT13_lli, .Lfunc_end250-_ZN12_GLOBAL__N_127rocblas_gemm_batched_kernelI19rocblas_complex_numIfELi16ELi16ELi32ELi32ELi8ELi32ELi8ELi8ELi32ELc78ELc67EKPKS2_S5_KPS2_EEvlllT_PT11_llSA_llS8_PT12_llPT13_lli
                                        ; -- End function
	.set _ZN12_GLOBAL__N_127rocblas_gemm_batched_kernelI19rocblas_complex_numIfELi16ELi16ELi32ELi32ELi8ELi32ELi8ELi8ELi32ELc78ELc67EKPKS2_S5_KPS2_EEvlllT_PT11_llSA_llS8_PT12_llPT13_lli.num_vgpr, 123
	.set _ZN12_GLOBAL__N_127rocblas_gemm_batched_kernelI19rocblas_complex_numIfELi16ELi16ELi32ELi32ELi8ELi32ELi8ELi8ELi32ELc78ELc67EKPKS2_S5_KPS2_EEvlllT_PT11_llSA_llS8_PT12_llPT13_lli.num_agpr, 0
	.set _ZN12_GLOBAL__N_127rocblas_gemm_batched_kernelI19rocblas_complex_numIfELi16ELi16ELi32ELi32ELi8ELi32ELi8ELi8ELi32ELc78ELc67EKPKS2_S5_KPS2_EEvlllT_PT11_llSA_llS8_PT12_llPT13_lli.numbered_sgpr, 39
	.set _ZN12_GLOBAL__N_127rocblas_gemm_batched_kernelI19rocblas_complex_numIfELi16ELi16ELi32ELi32ELi8ELi32ELi8ELi8ELi32ELc78ELc67EKPKS2_S5_KPS2_EEvlllT_PT11_llSA_llS8_PT12_llPT13_lli.num_named_barrier, 0
	.set _ZN12_GLOBAL__N_127rocblas_gemm_batched_kernelI19rocblas_complex_numIfELi16ELi16ELi32ELi32ELi8ELi32ELi8ELi8ELi32ELc78ELc67EKPKS2_S5_KPS2_EEvlllT_PT11_llSA_llS8_PT12_llPT13_lli.private_seg_size, 0
	.set _ZN12_GLOBAL__N_127rocblas_gemm_batched_kernelI19rocblas_complex_numIfELi16ELi16ELi32ELi32ELi8ELi32ELi8ELi8ELi32ELc78ELc67EKPKS2_S5_KPS2_EEvlllT_PT11_llSA_llS8_PT12_llPT13_lli.uses_vcc, 1
	.set _ZN12_GLOBAL__N_127rocblas_gemm_batched_kernelI19rocblas_complex_numIfELi16ELi16ELi32ELi32ELi8ELi32ELi8ELi8ELi32ELc78ELc67EKPKS2_S5_KPS2_EEvlllT_PT11_llSA_llS8_PT12_llPT13_lli.uses_flat_scratch, 1
	.set _ZN12_GLOBAL__N_127rocblas_gemm_batched_kernelI19rocblas_complex_numIfELi16ELi16ELi32ELi32ELi8ELi32ELi8ELi8ELi32ELc78ELc67EKPKS2_S5_KPS2_EEvlllT_PT11_llSA_llS8_PT12_llPT13_lli.has_dyn_sized_stack, 0
	.set _ZN12_GLOBAL__N_127rocblas_gemm_batched_kernelI19rocblas_complex_numIfELi16ELi16ELi32ELi32ELi8ELi32ELi8ELi8ELi32ELc78ELc67EKPKS2_S5_KPS2_EEvlllT_PT11_llSA_llS8_PT12_llPT13_lli.has_recursion, 0
	.set _ZN12_GLOBAL__N_127rocblas_gemm_batched_kernelI19rocblas_complex_numIfELi16ELi16ELi32ELi32ELi8ELi32ELi8ELi8ELi32ELc78ELc67EKPKS2_S5_KPS2_EEvlllT_PT11_llSA_llS8_PT12_llPT13_lli.has_indirect_call, 0
	.section	.AMDGPU.csdata,"",@progbits
; Kernel info:
; codeLenInByte = 2900
; TotalNumSgprs: 41
; NumVgprs: 123
; ScratchSize: 0
; MemoryBound: 0
; FloatMode: 240
; IeeeMode: 1
; LDSByteSize: 4096 bytes/workgroup (compile time only)
; SGPRBlocks: 0
; VGPRBlocks: 15
; NumSGPRsForWavesPerEU: 41
; NumVGPRsForWavesPerEU: 123
; Occupancy: 10
; WaveLimiterHint : 1
; COMPUTE_PGM_RSRC2:SCRATCH_EN: 0
; COMPUTE_PGM_RSRC2:USER_SGPR: 2
; COMPUTE_PGM_RSRC2:TRAP_HANDLER: 0
; COMPUTE_PGM_RSRC2:TGID_X_EN: 1
; COMPUTE_PGM_RSRC2:TGID_Y_EN: 1
; COMPUTE_PGM_RSRC2:TGID_Z_EN: 1
; COMPUTE_PGM_RSRC2:TIDIG_COMP_CNT: 1
	.section	.text._ZN12_GLOBAL__N_127rocblas_gemm_batched_kernelI19rocblas_complex_numIfELi16ELi16ELi32ELi32ELi8ELi32ELi8ELi8ELi32ELc84ELc67EKPKS2_S5_KPS2_EEvlllT_PT11_llSA_llS8_PT12_llPT13_lli,"axG",@progbits,_ZN12_GLOBAL__N_127rocblas_gemm_batched_kernelI19rocblas_complex_numIfELi16ELi16ELi32ELi32ELi8ELi32ELi8ELi8ELi32ELc84ELc67EKPKS2_S5_KPS2_EEvlllT_PT11_llSA_llS8_PT12_llPT13_lli,comdat
	.globl	_ZN12_GLOBAL__N_127rocblas_gemm_batched_kernelI19rocblas_complex_numIfELi16ELi16ELi32ELi32ELi8ELi32ELi8ELi8ELi32ELc84ELc67EKPKS2_S5_KPS2_EEvlllT_PT11_llSA_llS8_PT12_llPT13_lli ; -- Begin function _ZN12_GLOBAL__N_127rocblas_gemm_batched_kernelI19rocblas_complex_numIfELi16ELi16ELi32ELi32ELi8ELi32ELi8ELi8ELi32ELc84ELc67EKPKS2_S5_KPS2_EEvlllT_PT11_llSA_llS8_PT12_llPT13_lli
	.p2align	8
	.type	_ZN12_GLOBAL__N_127rocblas_gemm_batched_kernelI19rocblas_complex_numIfELi16ELi16ELi32ELi32ELi8ELi32ELi8ELi8ELi32ELc84ELc67EKPKS2_S5_KPS2_EEvlllT_PT11_llSA_llS8_PT12_llPT13_lli,@function
_ZN12_GLOBAL__N_127rocblas_gemm_batched_kernelI19rocblas_complex_numIfELi16ELi16ELi32ELi32ELi8ELi32ELi8ELi8ELi32ELc84ELc67EKPKS2_S5_KPS2_EEvlllT_PT11_llSA_llS8_PT12_llPT13_lli: ; @_ZN12_GLOBAL__N_127rocblas_gemm_batched_kernelI19rocblas_complex_numIfELi16ELi16ELi32ELi32ELi8ELi32ELi8ELi8ELi32ELc84ELc67EKPKS2_S5_KPS2_EEvlllT_PT11_llSA_llS8_PT12_llPT13_lli
; %bb.0:
	s_load_b32 s33, s[0:1], 0x88
	s_lshr_b32 s34, ttmp7, 16
	s_wait_kmcnt 0x0
	s_cmp_ge_i32 s34, s33
	s_cbranch_scc1 .LBB251_10
; %bb.1:
	v_dual_mov_b32 v14, 0 :: v_dual_and_b32 v11, 0x3ff, v0
	v_bfe_u32 v6, v0, 10, 10
	s_clause 0x3
	s_load_b128 s[28:31], s[0:1], 0x40
	s_load_b128 s[20:23], s[0:1], 0x10
	s_load_b256 s[4:11], s[0:1], 0x20
	s_load_b128 s[24:27], s[0:1], 0x78
	s_lshl_b32 s3, ttmp7, 5
	s_clause 0x1
	s_load_b64 s[36:37], s[0:1], 0x50
	s_load_b256 s[12:19], s[0:1], 0x58
	v_lshl_add_u32 v2, v6, 4, v11
	s_and_b32 s38, s3, 0x1fffe0
	v_and_b32_e32 v4, 7, v0
	s_mov_b32 s2, ttmp9
	v_add_nc_u32_e32 v10, s38, v6
	v_lshrrev_b32_e32 v3, 3, v2
	v_and_b32_e32 v7, 31, v2
	v_lshlrev_b32_e32 v5, 3, v4
	v_lshl_add_u32 v18, v6, 6, 0x800
	v_lshrrev_b32_e32 v12, 5, v2
	v_add_co_u32 v0, s3, v3, s38
	s_delay_alu instid0(VALU_DEP_1)
	v_add_co_ci_u32_e64 v1, null, 0, 0, s3
	s_ashr_i32 s3, ttmp9, 31
	v_lshlrev_b32_e32 v8, 3, v7
	s_wait_alu 0xfffe
	s_lshl_b64 s[0:1], s[2:3], 5
	s_wait_kmcnt 0x0
	v_mad_co_u64_u32 v[0:1], null, s28, v4, v[0:1]
	v_or_b32_e32 v7, s0, v7
	v_lshl_or_b32 v5, v3, 6, v5
	s_or_b32 s2, s36, s37
	v_lshl_or_b32 v16, v12, 8, v8
	s_wait_alu 0xfffe
	s_bitset0_b32 s2, 31
	v_mul_lo_u32 v13, s7, v7
	v_mad_co_u64_u32 v[6:7], null, s6, v7, 0
	v_mad_co_u64_u32 v[1:2], null, s29, v4, v[1:2]
	;; [unrolled: 1-line block ×3, first 2 shown]
	v_add_nc_u32_e32 v17, 0x800, v5
	v_mad_co_u64_u32 v[4:5], null, v10, s14, 0
	s_wait_alu 0xfffe
	s_cmp_eq_u32 s2, 0
	s_mul_i32 s2, s6, s1
	v_lshlrev_b32_e32 v15, 3, v11
	s_wait_alu 0xfffe
	v_add3_u32 v7, v7, s2, v13
	s_cselect_b32 s38, -1, 0
	v_lshlrev_b64_e32 v[0:1], 3, v[0:1]
	v_mad_co_u64_u32 v[8:9], null, v10, s25, v[3:4]
	v_mad_co_u64_u32 v[9:10], null, v10, s15, v[5:6]
	v_lshlrev_b64_e32 v[6:7], 3, v[6:7]
	v_add_co_u32 v10, s0, s0, v11
	s_wait_alu 0xf1ff
	v_add_co_ci_u32_e64 v11, null, s1, 0, s0
	s_lshl_b64 s[0:1], s[8:9], 3
	v_dual_mov_b32 v3, v8 :: v_dual_lshlrev_b32 v8, 3, v12
	s_wait_alu 0xfffe
	v_add_co_u32 v6, vcc_lo, v6, s0
	s_delay_alu instid0(VALU_DEP_1)
	v_add_co_ci_u32_e64 v7, null, s1, v7, vcc_lo
	s_lshl_b64 s[0:1], s[30:31], 3
	v_add_co_u32 v19, vcc_lo, v6, v8
	s_wait_alu 0xfffd
	v_add_co_ci_u32_e64 v20, null, 0, v7, vcc_lo
	s_wait_alu 0xfffe
	v_add_co_u32 v0, vcc_lo, s0, v0
	v_cmp_gt_i64_e64 s0, s[20:21], 0
	v_mov_b32_e32 v5, v9
	s_wait_alu 0xfffd
	v_add_co_ci_u32_e64 v21, null, s1, v1, vcc_lo
	v_or_b32_e32 v22, 4, v0
	v_lshlrev_b64_e32 v[2:3], 3, v[2:3]
	s_wait_alu 0xf1ff
	v_cndmask_b32_e64 v6, 0, 1, s0
	v_lshlrev_b64_e32 v[0:1], 3, v[4:5]
	v_lshlrev_b64_e32 v[4:5], 3, v[10:11]
	s_lshl_b64 s[2:3], s[24:25], 4
	s_lshl_b64 s[24:25], s[14:15], 4
	v_cmp_ne_u32_e64 s0, 1, v6
	v_cndmask_b32_e64 v6, 0, 1, s38
	s_mov_b32 s35, 0
	s_lshl_b64 s[6:7], s[28:29], 6
	s_lshl_b64 s[8:9], s[26:27], 3
	;; [unrolled: 1-line block ×3, first 2 shown]
	v_cmp_ne_u32_e64 s1, 1, v6
	s_wait_alu 0xfffe
	s_lshl_b64 s[16:17], s[24:25], 3
	s_lshl_b64 s[24:25], s[2:3], 3
	s_branch .LBB251_3
.LBB251_2:                              ;   in Loop: Header=BB251_3 Depth=1
	s_add_co_i32 s34, s34, 0x10000
	flat_store_b32 v[8:9], v12 offset:4
	s_cmp_lt_i32 s34, s33
	s_cbranch_scc0 .LBB251_10
.LBB251_3:                              ; =>This Loop Header: Depth=1
                                        ;     Child Loop BB251_5 Depth 2
	s_lshl_b64 s[2:3], s[34:35], 3
	v_dual_mov_b32 v29, 0 :: v_dual_mov_b32 v30, 0
	s_wait_alu 0xfffe
	s_add_nc_u64 s[26:27], s[12:13], s[2:3]
	s_add_nc_u64 s[28:29], s[18:19], s[2:3]
	s_clause 0x1
	global_load_b64 v[6:7], v14, s[26:27]
	global_load_b64 v[8:9], v14, s[28:29]
	v_dual_mov_b32 v27, 0 :: v_dual_mov_b32 v28, 0
	v_dual_mov_b32 v25, 0 :: v_dual_mov_b32 v26, 0
	;; [unrolled: 1-line block ×3, first 2 shown]
	s_and_b32 vcc_lo, exec_lo, s0
	s_wait_alu 0xfffe
	s_cbranch_vccnz .LBB251_6
; %bb.4:                                ;   in Loop: Header=BB251_3 Depth=1
	s_add_nc_u64 s[26:27], s[4:5], s[2:3]
	s_add_nc_u64 s[2:3], s[10:11], s[2:3]
	s_clause 0x1
	global_load_b64 v[10:11], v14, s[26:27]
	global_load_b64 v[12:13], v14, s[2:3]
	v_dual_mov_b32 v24, 0 :: v_dual_mov_b32 v23, 0
	v_dual_mov_b32 v26, 0 :: v_dual_mov_b32 v25, 0
	;; [unrolled: 1-line block ×4, first 2 shown]
	s_mov_b64 s[26:27], 0
	s_wait_loadcnt 0x1
	v_add_co_u32 v10, vcc_lo, v10, v19
	s_wait_alu 0xfffd
	v_add_co_ci_u32_e64 v11, null, v11, v20, vcc_lo
	s_wait_loadcnt 0x0
	v_add_co_u32 v12, vcc_lo, v12, v22
	s_wait_alu 0xfffd
	v_add_co_ci_u32_e64 v13, null, v13, v21, vcc_lo
.LBB251_5:                              ;   Parent Loop BB251_3 Depth=1
                                        ; =>  This Inner Loop Header: Depth=2
	flat_load_b64 v[31:32], v[10:11]
	s_wait_alu 0xfffe
	s_add_nc_u64 s[26:27], s[26:27], 8
	v_add_co_u32 v10, vcc_lo, v10, 64
	s_wait_alu 0xfffe
	v_cmp_lt_i64_e64 s2, s[26:27], s[20:21]
	s_wait_alu 0xfffd
	v_add_co_ci_u32_e64 v11, null, 0, v11, vcc_lo
	s_and_b32 vcc_lo, exec_lo, s2
	s_wait_loadcnt_dscnt 0x0
	ds_store_b64 v16, v[31:32]
	flat_load_b64 v[31:32], v[12:13] offset:-4
	v_add_co_u32 v12, s2, v12, s6
	s_wait_alu 0xf1ff
	v_add_co_ci_u32_e64 v13, null, s7, v13, s2
	s_wait_loadcnt_dscnt 0x0
	v_xor_b32_e32 v32, 0x80000000, v32
	ds_store_b64 v17, v[31:32]
	s_wait_dscnt 0x0
	s_barrier_signal -1
	s_barrier_wait -1
	global_inv scope:SCOPE_SE
	ds_load_2addr_b64 v[31:34], v15 offset1:16
	ds_load_b128 v[35:38], v18
	ds_load_b128 v[39:42], v18 offset:1024
	ds_load_2addr_b64 v[43:46], v15 offset0:32 offset1:48
	ds_load_b128 v[47:50], v18 offset:16
	ds_load_b128 v[51:54], v18 offset:32
	;; [unrolled: 1-line block ×3, first 2 shown]
	ds_load_2addr_b64 v[59:62], v15 offset0:64 offset1:80
	ds_load_b128 v[63:66], v18 offset:1040
	ds_load_2addr_b64 v[67:70], v15 offset0:96 offset1:112
	ds_load_2addr_b64 v[71:74], v15 offset0:128 offset1:144
	;; [unrolled: 1-line block ×4, first 2 shown]
	ds_load_b128 v[83:86], v18 offset:1056
	ds_load_b128 v[87:90], v18 offset:1072
	ds_load_2addr_b64 v[91:94], v15 offset0:224 offset1:240
	s_wait_loadcnt_dscnt 0x0
	s_barrier_signal -1
	s_barrier_wait -1
	global_inv scope:SCOPE_SE
	v_dual_mul_f32 v95, v36, v32 :: v_dual_mul_f32 v98, v35, v34
	v_dual_mul_f32 v96, v35, v32 :: v_dual_mul_f32 v97, v36, v34
	v_mul_f32_e32 v99, v40, v32
	v_dual_mul_f32 v32, v39, v32 :: v_dual_mul_f32 v103, v38, v46
	v_dual_mul_f32 v100, v40, v34 :: v_dual_mul_f32 v101, v38, v44
	v_mul_f32_e32 v34, v39, v34
	v_dual_mul_f32 v102, v37, v44 :: v_dual_mul_f32 v109, v48, v62
	v_dual_mul_f32 v104, v37, v46 :: v_dual_mul_f32 v105, v42, v44
	;; [unrolled: 1-line block ×7, first 2 shown]
	v_mul_f32_e32 v60, v63, v60
	v_dual_mul_f32 v112, v64, v62 :: v_dual_mul_f32 v117, v66, v68
	v_fma_f32 v95, v35, v31, -v95
	v_fmac_f32_e32 v96, v36, v31
	v_fma_f32 v35, v35, v33, -v97
	v_fmac_f32_e32 v98, v36, v33
	v_fma_f32 v36, v39, v31, -v99
	v_dual_mul_f32 v62, v63, v62 :: v_dual_mul_f32 v119, v52, v72
	v_mul_f32_e32 v116, v49, v70
	v_mul_f32_e32 v118, v66, v70
	;; [unrolled: 1-line block ×3, first 2 shown]
	v_dual_mul_f32 v122, v51, v74 :: v_dual_mul_f32 v97, v53, v76
	v_fmac_f32_e32 v32, v40, v31
	v_fma_f32 v31, v39, v33, -v100
	v_fmac_f32_e32 v34, v40, v33
	v_mul_f32_e32 v33, v84, v72
	v_dual_mul_f32 v39, v83, v72 :: v_dual_mul_f32 v40, v84, v74
	v_dual_fmac_f32 v97, v54, v75 :: v_dual_mul_f32 v72, v83, v74
	v_fma_f32 v74, v37, v43, -v101
	v_dual_fmac_f32 v102, v38, v43 :: v_dual_add_f32 v25, v25, v36
	v_fma_f32 v37, v37, v45, -v103
	v_mul_f32_e32 v99, v54, v78
	v_fma_f32 v101, v41, v43, -v105
	v_fma_f32 v107, v47, v59, -v107
	v_fmac_f32_e32 v108, v48, v59
	v_dual_fmac_f32 v110, v48, v61 :: v_dual_add_f32 v29, v29, v95
	v_fmac_f32_e32 v44, v42, v43
	v_fma_f32 v48, v63, v59, -v111
	v_dual_fmac_f32 v60, v64, v59 :: v_dual_add_f32 v25, v25, v101
	v_fma_f32 v59, v63, v61, -v112
	v_dual_mul_f32 v63, v87, v80 :: v_dual_fmac_f32 v46, v42, v45
	v_dual_mul_f32 v42, v86, v76 :: v_dual_add_f32 v27, v27, v35
	v_fma_f32 v41, v41, v45, -v106
	v_fma_f32 v47, v47, v61, -v109
	v_dual_fmac_f32 v62, v64, v61 :: v_dual_add_f32 v23, v23, v31
	v_add_f32_e32 v29, v29, v74
	v_dual_add_f32 v27, v27, v37 :: v_dual_mul_f32 v114, v49, v68
	v_dual_mul_f32 v68, v65, v68 :: v_dual_mul_f32 v105, v56, v82
	v_dual_mul_f32 v70, v65, v70 :: v_dual_mul_f32 v103, v55, v80
	v_dual_fmac_f32 v104, v38, v45 :: v_dual_fmac_f32 v39, v84, v71
	v_mul_f32_e32 v38, v54, v76
	v_mul_f32_e32 v43, v85, v76
	;; [unrolled: 1-line block ×4, first 2 shown]
	v_dual_mul_f32 v106, v55, v82 :: v_dual_mul_f32 v61, v88, v80
	v_dual_mul_f32 v64, v88, v82 :: v_dual_add_f32 v23, v23, v41
	v_dual_fmac_f32 v116, v50, v69 :: v_dual_add_f32 v27, v27, v47
	v_mul_f32_e32 v109, v57, v92
	v_mul_f32_e32 v76, v85, v78
	;; [unrolled: 1-line block ×3, first 2 shown]
	v_dual_mul_f32 v80, v87, v82 :: v_dual_add_f32 v29, v29, v107
	v_fma_f32 v82, v49, v67, -v113
	v_fma_f32 v49, v49, v69, -v115
	v_dual_fmac_f32 v114, v50, v67 :: v_dual_add_f32 v25, v25, v48
	v_dual_mul_f32 v50, v58, v92 :: v_dual_add_f32 v23, v23, v59
	v_mul_f32_e32 v111, v58, v94
	s_delay_alu instid0(VALU_DEP_4) | instskip(SKIP_4) | instid1(VALU_DEP_4)
	v_dual_mul_f32 v112, v57, v94 :: v_dual_add_f32 v27, v27, v49
	v_fma_f32 v113, v65, v67, -v117
	v_dual_fmac_f32 v68, v66, v67 :: v_dual_add_f32 v29, v29, v82
	v_fma_f32 v65, v65, v69, -v118
	v_fmac_f32_e32 v70, v66, v69
	v_dual_mul_f32 v66, v90, v92 :: v_dual_add_f32 v25, v25, v113
	v_mul_f32_e32 v67, v89, v92
	v_mul_f32_e32 v69, v90, v94
	v_dual_mul_f32 v92, v89, v94 :: v_dual_add_f32 v23, v23, v65
	v_fma_f32 v94, v51, v71, -v119
	v_fma_f32 v51, v51, v73, -v121
	v_fmac_f32_e32 v122, v52, v73
	v_fma_f32 v33, v83, v71, -v33
	v_fmac_f32_e32 v120, v52, v71
	v_fma_f32 v40, v83, v73, -v40
	v_fma_f32 v52, v53, v77, -v99
	v_fmac_f32_e32 v103, v56, v79
	v_fma_f32 v38, v53, v75, -v38
	v_add_f32_e32 v29, v29, v94
	v_dual_add_f32 v27, v27, v51 :: v_dual_fmac_f32 v72, v84, v73
	v_add_f32_e32 v23, v23, v40
	v_fma_f32 v42, v85, v75, -v42
	v_fmac_f32_e32 v43, v86, v75
	v_dual_fmac_f32 v100, v54, v77 :: v_dual_add_f32 v29, v29, v38
	v_fma_f32 v45, v85, v77, -v45
	v_fma_f32 v53, v55, v79, -v78
	v_fma_f32 v54, v55, v81, -v105
	v_fmac_f32_e32 v109, v58, v91
	v_dual_fmac_f32 v76, v86, v77 :: v_dual_add_f32 v27, v27, v52
	v_add_f32_e32 v25, v25, v33
	v_fma_f32 v55, v87, v79, -v61
	v_fmac_f32_e32 v80, v88, v81
	v_fma_f32 v50, v57, v91, -v50
	v_fma_f32 v57, v57, v93, -v111
	v_dual_fmac_f32 v67, v90, v91 :: v_dual_fmac_f32 v106, v56, v81
	v_add_f32_e32 v25, v25, v42
	v_fma_f32 v56, v87, v81, -v64
	v_dual_add_f32 v30, v30, v96 :: v_dual_add_f32 v23, v23, v45
	v_dual_add_f32 v28, v28, v98 :: v_dual_add_f32 v29, v29, v53
	;; [unrolled: 1-line block ×3, first 2 shown]
	v_add_f32_e32 v24, v24, v34
	v_dual_fmac_f32 v63, v88, v79 :: v_dual_fmac_f32 v112, v58, v93
	v_add_f32_e32 v25, v25, v55
	v_fma_f32 v58, v89, v91, -v66
	v_fma_f32 v61, v89, v93, -v69
	v_dual_fmac_f32 v92, v90, v93 :: v_dual_add_f32 v23, v23, v56
	v_add_f32_e32 v30, v30, v102
	s_delay_alu instid0(VALU_DEP_4) | instskip(SKIP_2) | instid1(VALU_DEP_3)
	v_dual_add_f32 v28, v28, v104 :: v_dual_add_f32 v25, v25, v58
	v_dual_add_f32 v29, v29, v50 :: v_dual_add_f32 v26, v26, v44
	;; [unrolled: 1-line block ×4, first 2 shown]
	v_add_f32_e32 v30, v30, v108
	s_delay_alu instid0(VALU_DEP_4) | instskip(NEXT) | instid1(VALU_DEP_4)
	v_add_f32_e32 v26, v26, v60
	v_add_f32_e32 v24, v24, v62
	s_delay_alu instid0(VALU_DEP_4) | instskip(NEXT) | instid1(VALU_DEP_4)
	v_add_f32_e32 v28, v28, v116
	;; [unrolled: 3-line block ×11, first 2 shown]
	v_add_f32_e32 v24, v24, v92
	s_wait_alu 0xfffe
	s_cbranch_vccnz .LBB251_5
.LBB251_6:                              ;   in Loop: Header=BB251_3 Depth=1
	s_wait_loadcnt 0x0
	v_add_co_u32 v10, vcc_lo, v8, s8
	s_wait_alu 0xfffd
	v_add_co_ci_u32_e64 v11, null, s9, v9, vcc_lo
	s_and_b32 vcc_lo, exec_lo, s1
	s_mov_b32 s2, -1
                                        ; implicit-def: $vgpr12
                                        ; implicit-def: $vgpr8_vgpr9
	s_wait_alu 0xfffe
	s_cbranch_vccz .LBB251_8
; %bb.7:                                ;   in Loop: Header=BB251_3 Depth=1
	s_and_not1_b32 vcc_lo, exec_lo, s2
	s_wait_alu 0xfffe
	s_cbranch_vccnz .LBB251_2
	s_branch .LBB251_9
.LBB251_8:                              ;   in Loop: Header=BB251_3 Depth=1
	v_mul_f32_e32 v8, s23, v30
	v_add_co_u32 v9, vcc_lo, v10, v2
	s_wait_alu 0xfffd
	v_add_co_ci_u32_e64 v12, null, v11, v3, vcc_lo
	s_delay_alu instid0(VALU_DEP_3) | instskip(SKIP_4) | instid1(VALU_DEP_3)
	v_fma_f32 v31, v29, s22, -v8
	v_mul_f32_e32 v8, s23, v28
	v_add_co_u32 v35, vcc_lo, v9, v4
	s_wait_alu 0xfffd
	v_add_co_ci_u32_e64 v36, null, v12, v5, vcc_lo
	v_fma_f32 v33, v27, s22, -v8
	v_mul_f32_e32 v8, s23, v26
	v_add_co_u32 v9, vcc_lo, v9, s24
	s_wait_alu 0xfffd
	v_add_co_ci_u32_e64 v13, null, s25, v12, vcc_lo
	s_delay_alu instid0(VALU_DEP_3)
	v_fma_f32 v37, v25, s22, -v8
	v_mul_f32_e32 v8, s23, v24
	v_add_co_u32 v39, vcc_lo, v9, v4
	v_mul_f32_e32 v32, s22, v30
	v_mul_f32_e32 v38, s22, v26
	;; [unrolled: 1-line block ×3, first 2 shown]
	s_wait_alu 0xfffd
	v_add_co_ci_u32_e64 v40, null, v13, v5, vcc_lo
	v_mul_f32_e32 v34, s22, v28
	v_fma_f32 v13, v23, s22, -v8
	v_add_co_u32 v8, vcc_lo, 0x80, v39
	v_fmac_f32_e32 v32, s23, v29
	v_fmac_f32_e32 v38, s23, v25
	;; [unrolled: 1-line block ×3, first 2 shown]
	s_wait_alu 0xfffd
	v_add_co_ci_u32_e64 v9, null, 0, v40, vcc_lo
	v_fmac_f32_e32 v34, s23, v27
	s_clause 0x3
	flat_store_b64 v[35:36], v[31:32]
	flat_store_b64 v[35:36], v[33:34] offset:128
	flat_store_b64 v[39:40], v[37:38]
	flat_store_b32 v[39:40], v13 offset:128
	s_cbranch_execnz .LBB251_2
.LBB251_9:                              ;   in Loop: Header=BB251_3 Depth=1
	v_add_co_u32 v6, vcc_lo, v6, s14
	s_wait_alu 0xfffd
	v_add_co_ci_u32_e64 v7, null, s15, v7, vcc_lo
	s_delay_alu instid0(VALU_DEP_2) | instskip(SKIP_1) | instid1(VALU_DEP_2)
	v_add_co_u32 v12, vcc_lo, v6, v0
	s_wait_alu 0xfffd
	v_add_co_ci_u32_e64 v13, null, v7, v1, vcc_lo
	s_delay_alu instid0(VALU_DEP_2) | instskip(SKIP_1) | instid1(VALU_DEP_2)
	v_add_co_u32 v6, vcc_lo, v12, v4
	s_wait_alu 0xfffd
	v_add_co_ci_u32_e64 v7, null, v13, v5, vcc_lo
	v_add_co_u32 v34, vcc_lo, v10, v2
	s_wait_alu 0xfffd
	v_add_co_ci_u32_e64 v35, null, v11, v3, vcc_lo
	flat_load_b64 v[8:9], v[6:7]
	v_mul_f32_e32 v31, s23, v30
	s_wait_loadcnt_dscnt 0x0
	v_dual_mul_f32 v30, s22, v30 :: v_dual_mul_f32 v33, s36, v9
	v_mul_f32_e32 v32, s37, v9
	s_delay_alu instid0(VALU_DEP_3) | instskip(NEXT) | instid1(VALU_DEP_3)
	v_fma_f32 v10, v29, s22, -v31
	v_dual_fmac_f32 v30, s23, v29 :: v_dual_fmac_f32 v33, s37, v8
	s_delay_alu instid0(VALU_DEP_3) | instskip(SKIP_3) | instid1(VALU_DEP_3)
	v_fma_f32 v11, v8, s36, -v32
	v_add_co_u32 v8, vcc_lo, v34, v4
	s_wait_alu 0xfffd
	v_add_co_ci_u32_e64 v9, null, v35, v5, vcc_lo
	v_add_f32_e32 v10, v10, v11
	v_add_f32_e32 v11, v30, v33
	v_add_co_u32 v12, vcc_lo, v12, s16
	s_wait_alu 0xfffd
	v_add_co_ci_u32_e64 v13, null, s17, v13, vcc_lo
	flat_store_b64 v[8:9], v[10:11]
	flat_load_b64 v[6:7], v[6:7] offset:128
	v_mul_f32_e32 v10, s23, v28
	v_mul_f32_e32 v11, s22, v28
	s_delay_alu instid0(VALU_DEP_2) | instskip(NEXT) | instid1(VALU_DEP_2)
	v_fma_f32 v10, v27, s22, -v10
	v_fmac_f32_e32 v11, s23, v27
	s_wait_loadcnt_dscnt 0x0
	v_mul_f32_e32 v28, s37, v7
	v_mul_f32_e32 v7, s36, v7
	s_delay_alu instid0(VALU_DEP_1) | instskip(NEXT) | instid1(VALU_DEP_3)
	v_fmac_f32_e32 v7, s37, v6
	v_fma_f32 v27, v6, s36, -v28
	s_delay_alu instid0(VALU_DEP_2) | instskip(NEXT) | instid1(VALU_DEP_2)
	v_add_f32_e32 v7, v11, v7
	v_add_f32_e32 v6, v10, v27
	v_add_co_u32 v10, vcc_lo, v12, v4
	s_wait_alu 0xfffd
	v_add_co_ci_u32_e64 v11, null, v13, v5, vcc_lo
	flat_store_b64 v[8:9], v[6:7] offset:128
	v_mul_f32_e32 v8, s23, v26
	v_mul_f32_e32 v9, s22, v26
	flat_load_b64 v[6:7], v[10:11]
	v_fma_f32 v8, v25, s22, -v8
	s_wait_loadcnt_dscnt 0x0
	v_dual_fmac_f32 v9, s23, v25 :: v_dual_mul_f32 v12, s37, v7
	v_mul_f32_e32 v13, s36, v7
	v_add_co_u32 v7, vcc_lo, v34, s24
	s_wait_alu 0xfffd
	v_add_co_ci_u32_e64 v26, null, s25, v35, vcc_lo
	v_fma_f32 v12, v6, s36, -v12
	v_fmac_f32_e32 v13, s37, v6
	v_add_co_u32 v6, vcc_lo, v7, v4
	s_wait_alu 0xfffd
	v_add_co_ci_u32_e64 v7, null, v26, v5, vcc_lo
	s_delay_alu instid0(VALU_DEP_3) | instskip(SKIP_4) | instid1(VALU_DEP_2)
	v_dual_add_f32 v8, v8, v12 :: v_dual_add_f32 v9, v9, v13
	flat_store_b64 v[6:7], v[8:9]
	flat_load_b64 v[8:9], v[10:11] offset:128
	v_mul_f32_e32 v10, s23, v24
	v_mul_f32_e32 v11, s22, v24
	v_fma_f32 v10, v23, s22, -v10
	s_wait_loadcnt_dscnt 0x0
	s_delay_alu instid0(VALU_DEP_2) | instskip(SKIP_1) | instid1(VALU_DEP_2)
	v_dual_fmac_f32 v11, s23, v23 :: v_dual_mul_f32 v12, s37, v9
	v_mul_f32_e32 v9, s36, v9
	v_fma_f32 v12, v8, s36, -v12
	s_delay_alu instid0(VALU_DEP_2) | instskip(SKIP_1) | instid1(VALU_DEP_3)
	v_fmac_f32_e32 v9, s37, v8
	v_add_co_u32 v8, vcc_lo, 0x80, v6
	v_add_f32_e32 v10, v10, v12
	s_delay_alu instid0(VALU_DEP_3)
	v_add_f32_e32 v12, v11, v9
	s_wait_alu 0xfffd
	v_add_co_ci_u32_e64 v9, null, 0, v7, vcc_lo
	flat_store_b32 v[6:7], v10 offset:128
	s_branch .LBB251_2
.LBB251_10:
	s_nop 0
	s_sendmsg sendmsg(MSG_DEALLOC_VGPRS)
	s_endpgm
	.section	.rodata,"a",@progbits
	.p2align	6, 0x0
	.amdhsa_kernel _ZN12_GLOBAL__N_127rocblas_gemm_batched_kernelI19rocblas_complex_numIfELi16ELi16ELi32ELi32ELi8ELi32ELi8ELi8ELi32ELc84ELc67EKPKS2_S5_KPS2_EEvlllT_PT11_llSA_llS8_PT12_llPT13_lli
		.amdhsa_group_segment_fixed_size 4096
		.amdhsa_private_segment_fixed_size 0
		.amdhsa_kernarg_size 140
		.amdhsa_user_sgpr_count 2
		.amdhsa_user_sgpr_dispatch_ptr 0
		.amdhsa_user_sgpr_queue_ptr 0
		.amdhsa_user_sgpr_kernarg_segment_ptr 1
		.amdhsa_user_sgpr_dispatch_id 0
		.amdhsa_user_sgpr_private_segment_size 0
		.amdhsa_wavefront_size32 1
		.amdhsa_uses_dynamic_stack 0
		.amdhsa_enable_private_segment 0
		.amdhsa_system_sgpr_workgroup_id_x 1
		.amdhsa_system_sgpr_workgroup_id_y 1
		.amdhsa_system_sgpr_workgroup_id_z 1
		.amdhsa_system_sgpr_workgroup_info 0
		.amdhsa_system_vgpr_workitem_id 1
		.amdhsa_next_free_vgpr 123
		.amdhsa_next_free_sgpr 39
		.amdhsa_reserve_vcc 1
		.amdhsa_float_round_mode_32 0
		.amdhsa_float_round_mode_16_64 0
		.amdhsa_float_denorm_mode_32 3
		.amdhsa_float_denorm_mode_16_64 3
		.amdhsa_fp16_overflow 0
		.amdhsa_workgroup_processor_mode 1
		.amdhsa_memory_ordered 1
		.amdhsa_forward_progress 1
		.amdhsa_inst_pref_size 23
		.amdhsa_round_robin_scheduling 0
		.amdhsa_exception_fp_ieee_invalid_op 0
		.amdhsa_exception_fp_denorm_src 0
		.amdhsa_exception_fp_ieee_div_zero 0
		.amdhsa_exception_fp_ieee_overflow 0
		.amdhsa_exception_fp_ieee_underflow 0
		.amdhsa_exception_fp_ieee_inexact 0
		.amdhsa_exception_int_div_zero 0
	.end_amdhsa_kernel
	.section	.text._ZN12_GLOBAL__N_127rocblas_gemm_batched_kernelI19rocblas_complex_numIfELi16ELi16ELi32ELi32ELi8ELi32ELi8ELi8ELi32ELc84ELc67EKPKS2_S5_KPS2_EEvlllT_PT11_llSA_llS8_PT12_llPT13_lli,"axG",@progbits,_ZN12_GLOBAL__N_127rocblas_gemm_batched_kernelI19rocblas_complex_numIfELi16ELi16ELi32ELi32ELi8ELi32ELi8ELi8ELi32ELc84ELc67EKPKS2_S5_KPS2_EEvlllT_PT11_llSA_llS8_PT12_llPT13_lli,comdat
.Lfunc_end251:
	.size	_ZN12_GLOBAL__N_127rocblas_gemm_batched_kernelI19rocblas_complex_numIfELi16ELi16ELi32ELi32ELi8ELi32ELi8ELi8ELi32ELc84ELc67EKPKS2_S5_KPS2_EEvlllT_PT11_llSA_llS8_PT12_llPT13_lli, .Lfunc_end251-_ZN12_GLOBAL__N_127rocblas_gemm_batched_kernelI19rocblas_complex_numIfELi16ELi16ELi32ELi32ELi8ELi32ELi8ELi8ELi32ELc84ELc67EKPKS2_S5_KPS2_EEvlllT_PT11_llSA_llS8_PT12_llPT13_lli
                                        ; -- End function
	.set _ZN12_GLOBAL__N_127rocblas_gemm_batched_kernelI19rocblas_complex_numIfELi16ELi16ELi32ELi32ELi8ELi32ELi8ELi8ELi32ELc84ELc67EKPKS2_S5_KPS2_EEvlllT_PT11_llSA_llS8_PT12_llPT13_lli.num_vgpr, 123
	.set _ZN12_GLOBAL__N_127rocblas_gemm_batched_kernelI19rocblas_complex_numIfELi16ELi16ELi32ELi32ELi8ELi32ELi8ELi8ELi32ELc84ELc67EKPKS2_S5_KPS2_EEvlllT_PT11_llSA_llS8_PT12_llPT13_lli.num_agpr, 0
	.set _ZN12_GLOBAL__N_127rocblas_gemm_batched_kernelI19rocblas_complex_numIfELi16ELi16ELi32ELi32ELi8ELi32ELi8ELi8ELi32ELc84ELc67EKPKS2_S5_KPS2_EEvlllT_PT11_llSA_llS8_PT12_llPT13_lli.numbered_sgpr, 39
	.set _ZN12_GLOBAL__N_127rocblas_gemm_batched_kernelI19rocblas_complex_numIfELi16ELi16ELi32ELi32ELi8ELi32ELi8ELi8ELi32ELc84ELc67EKPKS2_S5_KPS2_EEvlllT_PT11_llSA_llS8_PT12_llPT13_lli.num_named_barrier, 0
	.set _ZN12_GLOBAL__N_127rocblas_gemm_batched_kernelI19rocblas_complex_numIfELi16ELi16ELi32ELi32ELi8ELi32ELi8ELi8ELi32ELc84ELc67EKPKS2_S5_KPS2_EEvlllT_PT11_llSA_llS8_PT12_llPT13_lli.private_seg_size, 0
	.set _ZN12_GLOBAL__N_127rocblas_gemm_batched_kernelI19rocblas_complex_numIfELi16ELi16ELi32ELi32ELi8ELi32ELi8ELi8ELi32ELc84ELc67EKPKS2_S5_KPS2_EEvlllT_PT11_llSA_llS8_PT12_llPT13_lli.uses_vcc, 1
	.set _ZN12_GLOBAL__N_127rocblas_gemm_batched_kernelI19rocblas_complex_numIfELi16ELi16ELi32ELi32ELi8ELi32ELi8ELi8ELi32ELc84ELc67EKPKS2_S5_KPS2_EEvlllT_PT11_llSA_llS8_PT12_llPT13_lli.uses_flat_scratch, 1
	.set _ZN12_GLOBAL__N_127rocblas_gemm_batched_kernelI19rocblas_complex_numIfELi16ELi16ELi32ELi32ELi8ELi32ELi8ELi8ELi32ELc84ELc67EKPKS2_S5_KPS2_EEvlllT_PT11_llSA_llS8_PT12_llPT13_lli.has_dyn_sized_stack, 0
	.set _ZN12_GLOBAL__N_127rocblas_gemm_batched_kernelI19rocblas_complex_numIfELi16ELi16ELi32ELi32ELi8ELi32ELi8ELi8ELi32ELc84ELc67EKPKS2_S5_KPS2_EEvlllT_PT11_llSA_llS8_PT12_llPT13_lli.has_recursion, 0
	.set _ZN12_GLOBAL__N_127rocblas_gemm_batched_kernelI19rocblas_complex_numIfELi16ELi16ELi32ELi32ELi8ELi32ELi8ELi8ELi32ELc84ELc67EKPKS2_S5_KPS2_EEvlllT_PT11_llSA_llS8_PT12_llPT13_lli.has_indirect_call, 0
	.section	.AMDGPU.csdata,"",@progbits
; Kernel info:
; codeLenInByte = 2912
; TotalNumSgprs: 41
; NumVgprs: 123
; ScratchSize: 0
; MemoryBound: 0
; FloatMode: 240
; IeeeMode: 1
; LDSByteSize: 4096 bytes/workgroup (compile time only)
; SGPRBlocks: 0
; VGPRBlocks: 15
; NumSGPRsForWavesPerEU: 41
; NumVGPRsForWavesPerEU: 123
; Occupancy: 10
; WaveLimiterHint : 1
; COMPUTE_PGM_RSRC2:SCRATCH_EN: 0
; COMPUTE_PGM_RSRC2:USER_SGPR: 2
; COMPUTE_PGM_RSRC2:TRAP_HANDLER: 0
; COMPUTE_PGM_RSRC2:TGID_X_EN: 1
; COMPUTE_PGM_RSRC2:TGID_Y_EN: 1
; COMPUTE_PGM_RSRC2:TGID_Z_EN: 1
; COMPUTE_PGM_RSRC2:TIDIG_COMP_CNT: 1
	.section	.text._ZN12_GLOBAL__N_135rocblas_gemm_batched_general_kernelI19rocblas_complex_numIfELi16ELi16ELi32ELi32ELi8ELi32ELi8ELi8ELi32ELc78ELc78EKPKS2_S5_KPS2_EEvlllT_PT11_llSA_llS8_PT12_llPT13_lli,"axG",@progbits,_ZN12_GLOBAL__N_135rocblas_gemm_batched_general_kernelI19rocblas_complex_numIfELi16ELi16ELi32ELi32ELi8ELi32ELi8ELi8ELi32ELc78ELc78EKPKS2_S5_KPS2_EEvlllT_PT11_llSA_llS8_PT12_llPT13_lli,comdat
	.globl	_ZN12_GLOBAL__N_135rocblas_gemm_batched_general_kernelI19rocblas_complex_numIfELi16ELi16ELi32ELi32ELi8ELi32ELi8ELi8ELi32ELc78ELc78EKPKS2_S5_KPS2_EEvlllT_PT11_llSA_llS8_PT12_llPT13_lli ; -- Begin function _ZN12_GLOBAL__N_135rocblas_gemm_batched_general_kernelI19rocblas_complex_numIfELi16ELi16ELi32ELi32ELi8ELi32ELi8ELi8ELi32ELc78ELc78EKPKS2_S5_KPS2_EEvlllT_PT11_llSA_llS8_PT12_llPT13_lli
	.p2align	8
	.type	_ZN12_GLOBAL__N_135rocblas_gemm_batched_general_kernelI19rocblas_complex_numIfELi16ELi16ELi32ELi32ELi8ELi32ELi8ELi8ELi32ELc78ELc78EKPKS2_S5_KPS2_EEvlllT_PT11_llSA_llS8_PT12_llPT13_lli,@function
_ZN12_GLOBAL__N_135rocblas_gemm_batched_general_kernelI19rocblas_complex_numIfELi16ELi16ELi32ELi32ELi8ELi32ELi8ELi8ELi32ELc78ELc78EKPKS2_S5_KPS2_EEvlllT_PT11_llSA_llS8_PT12_llPT13_lli: ; @_ZN12_GLOBAL__N_135rocblas_gemm_batched_general_kernelI19rocblas_complex_numIfELi16ELi16ELi32ELi32ELi8ELi32ELi8ELi8ELi32ELc78ELc78EKPKS2_S5_KPS2_EEvlllT_PT11_llSA_llS8_PT12_llPT13_lli
; %bb.0:
	s_load_b32 s33, s[0:1], 0x88
	s_lshr_b32 s6, ttmp7, 16
	s_wait_kmcnt 0x0
	s_cmp_ge_i32 s6, s33
	s_cbranch_scc1 .LBB252_38
; %bb.1:
	v_bfe_u32 v5, v0, 10, 10
	v_and_b32_e32 v6, 0x3ff, v0
	s_clause 0x4
	s_load_b256 s[8:15], s[0:1], 0x0
	s_load_b256 s[16:23], s[0:1], 0x20
	s_load_b128 s[36:39], s[0:1], 0x78
	s_load_b128 s[40:43], s[0:1], 0x40
	s_load_b64 s[34:35], s[0:1], 0x50
	s_mov_b32 s44, ttmp9
	s_ashr_i32 s45, ttmp9, 31
	v_lshl_add_u32 v1, v5, 4, v6
	s_load_b256 s[24:31], s[0:1], 0x58
	s_lshl_b64 s[0:1], s[44:45], 5
	v_and_b32_e32 v17, 7, v0
	s_and_b32 s2, ttmp7, 0xffff
	v_dual_mov_b32 v2, s1 :: v_dual_and_b32 v3, 31, v1
	v_lshrrev_b32_e32 v0, 3, v1
	v_lshrrev_b32_e32 v16, 5, v1
	s_lshl_b32 s2, s2, 5
	s_delay_alu instid0(VALU_DEP_3)
	v_or_b32_e32 v1, s0, v3
	v_lshlrev_b32_e32 v28, 3, v3
	v_add_co_u32 v3, s3, v0, s2
	s_wait_alu 0xf1ff
	v_add_co_ci_u32_e64 v4, null, 0, 0, s3
	s_wait_kmcnt 0x0
	v_cmp_gt_i64_e32 vcc_lo, s[8:9], v[1:2]
	v_add_co_u32 v1, s2, s2, v5
	v_mad_co_u64_u32 v[14:15], null, s18, v16, 0
	v_lshlrev_b32_e32 v29, 3, v17
	v_cmp_gt_i64_e64 s4, s[10:11], v[3:4]
	v_lshl_add_u32 v21, v5, 6, 0x800
	v_mad_co_u64_u32 v[4:5], null, v1, s36, 0
	s_delay_alu instid0(VALU_DEP_4) | instskip(SKIP_3) | instid1(VALU_DEP_4)
	v_lshl_or_b32 v7, v0, 6, v29
	v_mad_co_u64_u32 v[10:11], null, s40, v3, 0
	v_lshlrev_b32_e32 v20, 3, v6
	v_add_co_u32 v6, s0, s0, v6
	v_add_nc_u32_e32 v19, 0x800, v7
	s_wait_alu 0xf1ff
	v_add_co_ci_u32_e64 v7, null, s1, 0, s0
	v_add_co_ci_u32_e64 v2, null, 0, 0, s2
	v_add_co_u32 v8, s1, v6, 16
	v_mad_co_u64_u32 v[12:13], null, v1, s26, 0
	v_mad_co_u64_u32 v[22:23], null, v1, s37, v[5:6]
	v_mov_b32_e32 v5, v11
	s_wait_alu 0xf1ff
	v_add_co_ci_u32_e64 v9, null, 0, v7, s1
	v_add_co_u32 v23, s1, v1, 16
	v_cmp_gt_i64_e64 s0, s[10:11], v[1:2]
	s_wait_alu 0xf1ff
	v_add_co_ci_u32_e64 v24, null, 0, v2, s1
	v_mov_b32_e32 v2, v15
	v_mad_co_u64_u32 v[25:26], null, s41, v3, v[5:6]
	v_mov_b32_e32 v11, v13
	s_or_b32 s3, s34, s35
	s_delay_alu instid0(VALU_DEP_3) | instskip(SKIP_3) | instid1(VALU_DEP_4)
	v_mad_co_u64_u32 v[2:3], null, s19, v16, v[2:3]
	s_wait_alu 0xfffe
	s_bitset0_b32 s3, 31
	v_mad_co_u64_u32 v[26:27], null, v1, s27, v[11:12]
	v_mov_b32_e32 v11, v25
	s_wait_alu 0xfffe
	s_cmp_eq_u32 s3, 0
	v_cmp_gt_i64_e64 s2, s[8:9], v[8:9]
	v_mov_b32_e32 v15, v2
	s_cselect_b32 s46, -1, 0
	v_lshlrev_b64_e32 v[1:2], 3, v[10:11]
	v_cmp_gt_i64_e64 s3, s[10:11], v[23:24]
	s_lshl_b64 s[10:11], s[42:43], 3
	v_lshlrev_b64_e32 v[8:9], 3, v[14:15]
	v_cmp_gt_i64_e64 s1, s[8:9], v[6:7]
	s_lshl_b64 s[8:9], s[36:37], 4
	s_lshl_b64 s[36:37], s[44:45], 8
	;; [unrolled: 1-line block ×3, first 2 shown]
	s_wait_alu 0xfffe
	v_add_co_u32 v1, s5, v1, s10
	s_delay_alu instid0(VALU_DEP_1)
	v_add_co_ci_u32_e64 v2, null, s11, v2, s5
	s_add_nc_u64 s[10:11], s[20:21], s[36:37]
	v_mov_b32_e32 v5, v22
	s_wait_alu 0xfffe
	v_add_co_u32 v3, s5, s10, v8
	v_mov_b32_e32 v13, v26
	s_wait_alu 0xf1ff
	v_add_co_ci_u32_e64 v8, null, s11, v9, s5
	v_add_co_u32 v22, s5, v1, v29
	s_wait_alu 0xf1ff
	v_add_co_ci_u32_e64 v23, null, 0, v2, s5
	v_add_co_u32 v24, s5, v3, v28
	v_cmp_gt_i64_e64 s36, s[12:13], 0
	v_lshlrev_b64_e32 v[2:3], 3, v[12:13]
	v_lshlrev_b64_e32 v[4:5], 3, v[4:5]
	;; [unrolled: 1-line block ×3, first 2 shown]
	v_mov_b32_e32 v0, 0
	v_lshl_or_b32 v18, v16, 8, v28
	s_wait_alu 0xf1ff
	v_add_co_ci_u32_e64 v25, null, 0, v8, s5
	s_lshl_b64 s[26:27], s[26:27], 4
	s_mov_b32 s7, 0
	s_lshl_b64 s[10:11], s[18:19], 6
	s_xor_b32 s37, vcc_lo, -1
	s_xor_b32 s40, s4, -1
	s_lshl_b64 s[4:5], s[38:39], 3
	s_lshl_b64 s[18:19], s[28:29], 3
	s_wait_alu 0xfffe
	s_lshl_b64 s[20:21], s[26:27], 3
	s_branch .LBB252_4
.LBB252_2:                              ;   in Loop: Header=BB252_4 Depth=1
	s_wait_alu 0xfffe
	s_or_b32 exec_lo, exec_lo, s26
.LBB252_3:                              ;   in Loop: Header=BB252_4 Depth=1
	s_add_co_i32 s6, s6, 0x10000
	s_delay_alu instid0(SALU_CYCLE_1)
	s_cmp_lt_i32 s6, s33
	s_cbranch_scc0 .LBB252_38
.LBB252_4:                              ; =>This Loop Header: Depth=1
                                        ;     Child Loop BB252_7 Depth 2
	s_lshl_b64 s[26:27], s[6:7], 3
	v_dual_mov_b32 v32, v0 :: v_dual_mov_b32 v33, v0
	s_wait_alu 0xfffe
	s_add_nc_u64 s[28:29], s[24:25], s[26:27]
	s_add_nc_u64 s[38:39], s[30:31], s[26:27]
	s_clause 0x1
	global_load_b64 v[8:9], v0, s[28:29]
	global_load_b64 v[10:11], v0, s[38:39]
	v_dual_mov_b32 v30, v0 :: v_dual_mov_b32 v31, v0
	v_dual_mov_b32 v28, v0 :: v_dual_mov_b32 v29, v0
	;; [unrolled: 1-line block ×3, first 2 shown]
	s_and_not1_b32 vcc_lo, exec_lo, s36
	s_wait_alu 0xfffe
	s_cbranch_vccnz .LBB252_15
; %bb.5:                                ;   in Loop: Header=BB252_4 Depth=1
	s_add_nc_u64 s[28:29], s[22:23], s[26:27]
	s_add_nc_u64 s[26:27], s[16:17], s[26:27]
	s_clause 0x1
	global_load_b64 v[12:13], v0, s[28:29]
	global_load_b64 v[14:15], v0, s[26:27]
	v_dual_mov_b32 v26, 0 :: v_dual_mov_b32 v27, 0
	v_dual_mov_b32 v29, 0 :: v_dual_mov_b32 v28, 0
	;; [unrolled: 1-line block ×4, first 2 shown]
	s_mov_b64 s[26:27], 0
	s_wait_loadcnt 0x1
	v_add_co_u32 v12, vcc_lo, v12, v22
	s_wait_alu 0xfffd
	v_add_co_ci_u32_e64 v13, null, v13, v23, vcc_lo
	s_wait_loadcnt 0x0
	v_add_co_u32 v14, vcc_lo, v14, v24
	s_wait_alu 0xfffd
	v_add_co_ci_u32_e64 v15, null, v15, v25, vcc_lo
	s_branch .LBB252_7
.LBB252_6:                              ;   in Loop: Header=BB252_7 Depth=2
	s_wait_alu 0xfffe
	s_or_b32 exec_lo, exec_lo, s28
	s_wait_dscnt 0x0
	s_barrier_signal -1
	s_barrier_wait -1
	global_inv scope:SCOPE_SE
	ds_load_b128 v[34:37], v21
	ds_load_2addr_b64 v[38:41], v20 offset1:16
	ds_load_b128 v[42:45], v21 offset:1024
	ds_load_b128 v[46:49], v21 offset:16
	;; [unrolled: 1-line block ×4, first 2 shown]
	ds_load_2addr_b64 v[58:61], v20 offset0:32 offset1:48
	ds_load_b128 v[62:65], v21 offset:1040
	s_add_nc_u64 s[26:27], s[26:27], 8
	v_add_co_u32 v12, vcc_lo, v12, 64
	s_wait_alu 0xfffe
	v_cmp_lt_i64_e64 s28, s[26:27], s[12:13]
	s_wait_alu 0xfffd
	v_add_co_ci_u32_e64 v13, null, 0, v13, vcc_lo
	v_add_co_u32 v14, vcc_lo, v14, s10
	s_wait_alu 0xfffd
	v_add_co_ci_u32_e64 v15, null, s11, v15, vcc_lo
	s_and_b32 vcc_lo, exec_lo, s28
	s_wait_dscnt 0x6
	v_dual_mul_f32 v1, v35, v39 :: v_dual_mul_f32 v68, v34, v41
	v_dual_mul_f32 v66, v34, v39 :: v_dual_mul_f32 v67, v35, v41
	s_wait_dscnt 0x5
	v_mul_f32_e32 v70, v43, v41
	s_delay_alu instid0(VALU_DEP_3) | instskip(SKIP_3) | instid1(VALU_DEP_4)
	v_fma_f32 v1, v34, v38, -v1
	v_dual_mul_f32 v41, v42, v41 :: v_dual_fmac_f32 v68, v35, v40
	v_fmac_f32_e32 v66, v35, v38
	v_fma_f32 v34, v34, v40, -v67
	v_add_f32_e32 v1, v32, v1
	v_mul_f32_e32 v69, v43, v39
	s_delay_alu instid0(VALU_DEP_4) | instskip(NEXT) | instid1(VALU_DEP_4)
	v_dual_mul_f32 v39, v42, v39 :: v_dual_add_f32 v32, v33, v66
	v_add_f32_e32 v33, v30, v34
	v_fmac_f32_e32 v41, v43, v40
	s_delay_alu instid0(VALU_DEP_4) | instskip(NEXT) | instid1(VALU_DEP_4)
	v_fma_f32 v35, v42, v38, -v69
	v_fmac_f32_e32 v39, v43, v38
	v_fma_f32 v38, v42, v40, -v70
	s_wait_dscnt 0x1
	v_dual_mul_f32 v40, v36, v59 :: v_dual_add_f32 v31, v31, v68
	v_mul_f32_e32 v42, v37, v61
	v_add_f32_e32 v34, v28, v35
	v_dual_add_f32 v35, v29, v39 :: v_dual_add_f32 v38, v27, v38
	ds_load_2addr_b64 v[27:30], v20 offset0:64 offset1:80
	v_fmac_f32_e32 v40, v37, v58
	v_dual_mul_f32 v39, v37, v59 :: v_dual_add_f32 v26, v26, v41
	v_mul_f32_e32 v41, v36, v61
	s_delay_alu instid0(VALU_DEP_3) | instskip(NEXT) | instid1(VALU_DEP_3)
	v_add_f32_e32 v40, v32, v40
	v_fma_f32 v39, v36, v58, -v39
	v_fma_f32 v36, v36, v60, -v42
	v_mul_f32_e32 v32, v44, v59
	s_delay_alu instid0(VALU_DEP_3) | instskip(SKIP_1) | instid1(VALU_DEP_4)
	v_add_f32_e32 v1, v1, v39
	v_mul_f32_e32 v39, v45, v59
	v_add_f32_e32 v36, v33, v36
	v_fmac_f32_e32 v41, v37, v60
	v_mul_f32_e32 v37, v45, v61
	v_fmac_f32_e32 v32, v45, v58
	v_fma_f32 v33, v44, v58, -v39
	s_delay_alu instid0(VALU_DEP_4) | instskip(SKIP_4) | instid1(VALU_DEP_3)
	v_add_f32_e32 v39, v31, v41
	v_mul_f32_e32 v41, v44, v61
	v_fma_f32 v31, v44, v60, -v37
	s_wait_dscnt 0x0
	v_dual_add_f32 v42, v34, v33 :: v_dual_mul_f32 v33, v47, v28
	v_dual_mul_f32 v44, v47, v30 :: v_dual_fmac_f32 v41, v45, v60
	v_mul_f32_e32 v37, v46, v28
	v_add_f32_e32 v38, v38, v31
	s_delay_alu instid0(VALU_DEP_3) | instskip(SKIP_3) | instid1(VALU_DEP_2)
	v_add_f32_e32 v41, v26, v41
	v_mul_f32_e32 v26, v46, v30
	v_fma_f32 v43, v46, v27, -v33
	v_fmac_f32_e32 v37, v47, v27
	v_dual_fmac_f32 v26, v47, v29 :: v_dual_add_f32 v1, v1, v43
	v_fma_f32 v43, v46, v29, -v44
	v_add_f32_e32 v35, v35, v32
	ds_load_2addr_b64 v[31:34], v20 offset0:96 offset1:112
	v_dual_add_f32 v37, v40, v37 :: v_dual_mul_f32 v40, v63, v28
	v_mul_f32_e32 v28, v62, v28
	v_dual_add_f32 v36, v36, v43 :: v_dual_mul_f32 v43, v63, v30
	v_mul_f32_e32 v30, v62, v30
	s_delay_alu instid0(VALU_DEP_4) | instskip(NEXT) | instid1(VALU_DEP_4)
	v_fma_f32 v40, v62, v27, -v40
	v_fmac_f32_e32 v28, v63, v27
	v_add_f32_e32 v39, v39, v26
	v_fma_f32 v26, v62, v29, -v43
	v_fmac_f32_e32 v30, v63, v29
	v_add_f32_e32 v40, v42, v40
	s_delay_alu instid0(VALU_DEP_3)
	v_dual_add_f32 v42, v35, v28 :: v_dual_add_f32 v43, v38, v26
	ds_load_2addr_b64 v[26:29], v20 offset0:128 offset1:144
	s_wait_dscnt 0x1
	v_mul_f32_e32 v35, v49, v32
	v_mul_f32_e32 v38, v48, v32
	;; [unrolled: 1-line block ×4, first 2 shown]
	s_delay_alu instid0(VALU_DEP_4) | instskip(NEXT) | instid1(VALU_DEP_4)
	v_fma_f32 v35, v48, v31, -v35
	v_fmac_f32_e32 v38, v49, v31
	s_delay_alu instid0(VALU_DEP_2) | instskip(SKIP_1) | instid1(VALU_DEP_3)
	v_add_f32_e32 v1, v1, v35
	v_mul_f32_e32 v35, v65, v32
	v_dual_mul_f32 v32, v64, v32 :: v_dual_add_f32 v45, v37, v38
	s_delay_alu instid0(VALU_DEP_2) | instskip(NEXT) | instid1(VALU_DEP_2)
	v_fma_f32 v46, v64, v31, -v35
	v_fmac_f32_e32 v32, v65, v31
	s_wait_dscnt 0x0
	v_mul_f32_e32 v31, v51, v27
	v_fma_f32 v44, v48, v33, -v44
	v_add_f32_e32 v41, v41, v30
	v_mul_f32_e32 v30, v48, v34
	v_mul_f32_e32 v58, v50, v29
	s_delay_alu instid0(VALU_DEP_4) | instskip(SKIP_2) | instid1(VALU_DEP_1)
	v_add_f32_e32 v44, v36, v44
	ds_load_b128 v[35:38], v21 offset:1056
	v_dual_fmac_f32 v30, v49, v33 :: v_dual_mul_f32 v49, v50, v27
	v_add_f32_e32 v48, v39, v30
	v_fma_f32 v30, v64, v33, -v47
	v_fma_f32 v39, v50, v26, -v31
	v_mul_f32_e32 v34, v64, v34
	v_fmac_f32_e32 v49, v51, v26
	v_add_f32_e32 v46, v40, v46
	v_add_f32_e32 v43, v43, v30
	;; [unrolled: 1-line block ×4, first 2 shown]
	v_fmac_f32_e32 v34, v65, v33
	ds_load_2addr_b64 v[30:33], v20 offset0:160 offset1:176
	v_mul_f32_e32 v40, v51, v29
	v_add_f32_e32 v45, v45, v49
	v_add_f32_e32 v34, v41, v34
	s_delay_alu instid0(VALU_DEP_3)
	v_fma_f32 v50, v50, v28, -v40
	ds_load_b128 v[39:42], v21 offset:1072
	s_wait_dscnt 0x2
	v_mul_f32_e32 v59, v36, v27
	v_dual_mul_f32 v27, v35, v27 :: v_dual_add_f32 v44, v44, v50
	v_fmac_f32_e32 v58, v51, v28
	v_mul_f32_e32 v50, v36, v29
	s_delay_alu instid0(VALU_DEP_4) | instskip(NEXT) | instid1(VALU_DEP_4)
	v_fma_f32 v49, v35, v26, -v59
	v_fmac_f32_e32 v27, v36, v26
	s_delay_alu instid0(VALU_DEP_4) | instskip(SKIP_1) | instid1(VALU_DEP_3)
	v_dual_mul_f32 v51, v35, v29 :: v_dual_add_f32 v48, v48, v58
	s_wait_dscnt 0x1
	v_dual_add_f32 v46, v46, v49 :: v_dual_mul_f32 v29, v53, v31
	v_fma_f32 v26, v35, v28, -v50
	v_add_f32_e32 v35, v47, v27
	v_fmac_f32_e32 v51, v36, v28
	v_mul_f32_e32 v36, v52, v31
	v_fma_f32 v47, v52, v30, -v29
	v_add_f32_e32 v43, v43, v26
	ds_load_2addr_b64 v[26:29], v20 offset0:192 offset1:208
	v_fmac_f32_e32 v36, v53, v30
	v_dual_mul_f32 v49, v53, v33 :: v_dual_add_f32 v50, v34, v51
	v_dual_add_f32 v1, v1, v47 :: v_dual_mul_f32 v34, v52, v33
	s_delay_alu instid0(VALU_DEP_3) | instskip(NEXT) | instid1(VALU_DEP_3)
	v_dual_add_f32 v45, v45, v36 :: v_dual_mul_f32 v36, v38, v31
	v_fma_f32 v47, v52, v32, -v49
	s_delay_alu instid0(VALU_DEP_3) | instskip(NEXT) | instid1(VALU_DEP_3)
	v_fmac_f32_e32 v34, v53, v32
	v_fma_f32 v36, v37, v30, -v36
	s_delay_alu instid0(VALU_DEP_3) | instskip(SKIP_1) | instid1(VALU_DEP_3)
	v_dual_add_f32 v44, v44, v47 :: v_dual_mul_f32 v47, v38, v33
	v_mul_f32_e32 v31, v37, v31
	v_dual_mul_f32 v33, v37, v33 :: v_dual_add_f32 v46, v46, v36
	s_delay_alu instid0(VALU_DEP_2) | instskip(SKIP_2) | instid1(VALU_DEP_4)
	v_fmac_f32_e32 v31, v38, v30
	v_add_f32_e32 v30, v48, v34
	v_fma_f32 v34, v37, v32, -v47
	v_fmac_f32_e32 v33, v38, v32
	s_wait_dscnt 0x0
	v_mul_f32_e32 v38, v54, v27
	v_dual_add_f32 v31, v35, v31 :: v_dual_mul_f32 v48, v54, v29
	v_add_f32_e32 v32, v43, v34
	ds_load_2addr_b64 v[34:37], v20 offset0:224 offset1:240
	v_dual_add_f32 v33, v50, v33 :: v_dual_fmac_f32 v38, v55, v26
	v_mul_f32_e32 v47, v55, v27
	v_fmac_f32_e32 v48, v55, v28
	s_wait_loadcnt_dscnt 0x0
	s_barrier_signal -1
	v_add_f32_e32 v38, v45, v38
	v_fma_f32 v43, v54, v26, -v47
	v_mul_f32_e32 v47, v55, v29
	v_mul_f32_e32 v45, v40, v29
	v_mul_f32_e32 v29, v39, v29
	s_barrier_wait -1
	v_add_f32_e32 v1, v1, v43
	v_fma_f32 v47, v54, v28, -v47
	v_mul_f32_e32 v43, v40, v27
	v_fmac_f32_e32 v29, v40, v28
	global_inv scope:SCOPE_SE
	v_dual_add_f32 v44, v44, v47 :: v_dual_add_f32 v47, v30, v48
	v_fma_f32 v30, v39, v28, -v45
	v_mul_f32_e32 v27, v39, v27
	s_delay_alu instid0(VALU_DEP_1) | instskip(NEXT) | instid1(VALU_DEP_3)
	v_fmac_f32_e32 v27, v40, v26
	v_add_f32_e32 v40, v32, v30
	v_mul_f32_e32 v30, v57, v37
	v_fma_f32 v43, v39, v26, -v43
	v_mul_f32_e32 v39, v57, v35
	s_delay_alu instid0(VALU_DEP_2) | instskip(NEXT) | instid1(VALU_DEP_2)
	v_add_f32_e32 v26, v46, v43
	v_fma_f32 v28, v56, v34, -v39
	v_add_f32_e32 v39, v33, v29
	v_mul_f32_e32 v29, v41, v35
	s_delay_alu instid0(VALU_DEP_3) | instskip(SKIP_4) | instid1(VALU_DEP_4)
	v_add_f32_e32 v32, v1, v28
	v_fma_f32 v1, v56, v36, -v30
	v_mul_f32_e32 v28, v42, v35
	v_add_f32_e32 v27, v31, v27
	v_mul_f32_e32 v31, v56, v37
	v_dual_fmac_f32 v29, v42, v34 :: v_dual_add_f32 v30, v44, v1
	s_delay_alu instid0(VALU_DEP_4) | instskip(SKIP_3) | instid1(VALU_DEP_4)
	v_fma_f32 v1, v41, v34, -v28
	v_mul_f32_e32 v43, v56, v35
	v_mul_f32_e32 v35, v42, v37
	;; [unrolled: 1-line block ×3, first 2 shown]
	v_dual_fmac_f32 v31, v57, v36 :: v_dual_add_f32 v28, v26, v1
	s_delay_alu instid0(VALU_DEP_4) | instskip(NEXT) | instid1(VALU_DEP_4)
	v_fmac_f32_e32 v43, v57, v34
	v_fma_f32 v34, v41, v36, -v35
	s_delay_alu instid0(VALU_DEP_4) | instskip(NEXT) | instid1(VALU_DEP_4)
	v_fmac_f32_e32 v37, v42, v36
	v_add_f32_e32 v31, v47, v31
	v_add_f32_e32 v29, v27, v29
	;; [unrolled: 1-line block ×3, first 2 shown]
	s_delay_alu instid0(VALU_DEP_4)
	v_dual_add_f32 v27, v40, v34 :: v_dual_add_f32 v26, v39, v37
	s_wait_alu 0xfffe
	s_cbranch_vccz .LBB252_15
.LBB252_7:                              ;   Parent Loop BB252_4 Depth=1
                                        ; =>  This Inner Loop Header: Depth=2
	s_wait_alu 0xfffe
	v_add_co_u32 v34, s28, v16, s26
	s_wait_alu 0xf1ff
	v_add_co_ci_u32_e64 v35, null, 0, s27, s28
	s_delay_alu instid0(VALU_DEP_1)
	v_cmp_le_i64_e32 vcc_lo, s[12:13], v[34:35]
	s_or_b32 s28, s37, vcc_lo
	s_wait_alu 0xfffe
	s_and_saveexec_b32 s29, s28
	s_wait_alu 0xfffe
	s_xor_b32 s28, exec_lo, s29
; %bb.8:                                ;   in Loop: Header=BB252_7 Depth=2
	v_mov_b32_e32 v1, v0
	ds_store_b64 v18, v[0:1]
; %bb.9:                                ;   in Loop: Header=BB252_7 Depth=2
	s_wait_alu 0xfffe
	s_and_not1_saveexec_b32 s28, s28
	s_cbranch_execz .LBB252_11
; %bb.10:                               ;   in Loop: Header=BB252_7 Depth=2
	flat_load_b64 v[34:35], v[14:15]
	s_wait_loadcnt_dscnt 0x0
	ds_store_b64 v18, v[34:35]
.LBB252_11:                             ;   in Loop: Header=BB252_7 Depth=2
	s_wait_alu 0xfffe
	s_or_b32 exec_lo, exec_lo, s28
	v_add_co_u32 v34, s28, v17, s26
	s_wait_alu 0xf1ff
	v_add_co_ci_u32_e64 v35, null, 0, s27, s28
	s_delay_alu instid0(VALU_DEP_1)
	v_cmp_le_i64_e32 vcc_lo, s[12:13], v[34:35]
	s_or_b32 s28, vcc_lo, s40
	s_wait_alu 0xfffe
	s_and_saveexec_b32 s29, s28
	s_wait_alu 0xfffe
	s_xor_b32 s28, exec_lo, s29
; %bb.12:                               ;   in Loop: Header=BB252_7 Depth=2
	v_mov_b32_e32 v1, v0
	ds_store_b64 v19, v[0:1]
; %bb.13:                               ;   in Loop: Header=BB252_7 Depth=2
	s_wait_alu 0xfffe
	s_and_not1_saveexec_b32 s28, s28
	s_cbranch_execz .LBB252_6
; %bb.14:                               ;   in Loop: Header=BB252_7 Depth=2
	flat_load_b64 v[34:35], v[12:13]
	s_wait_loadcnt_dscnt 0x0
	ds_store_b64 v19, v[34:35]
	s_branch .LBB252_6
.LBB252_15:                             ;   in Loop: Header=BB252_4 Depth=1
	s_wait_loadcnt 0x0
	v_add_co_u32 v1, vcc_lo, v10, s4
	s_wait_alu 0xfffd
	v_add_co_ci_u32_e64 v12, null, s5, v11, vcc_lo
	s_and_not1_b32 vcc_lo, exec_lo, s46
	s_mov_b32 s26, -1
	s_wait_alu 0xfffe
	s_cbranch_vccz .LBB252_17
; %bb.16:                               ;   in Loop: Header=BB252_4 Depth=1
	s_and_not1_b32 vcc_lo, exec_lo, s26
	s_wait_alu 0xfffe
	s_cbranch_vccnz .LBB252_3
	s_branch .LBB252_28
.LBB252_17:                             ;   in Loop: Header=BB252_4 Depth=1
	s_and_saveexec_b32 s26, s0
	s_cbranch_execz .LBB252_27
; %bb.18:                               ;   in Loop: Header=BB252_4 Depth=1
	v_add_co_u32 v10, vcc_lo, v1, v4
	s_wait_alu 0xfffd
	v_add_co_ci_u32_e64 v11, null, v12, v5, vcc_lo
	s_and_saveexec_b32 s27, s1
	s_cbranch_execnz .LBB252_21
; %bb.19:                               ;   in Loop: Header=BB252_4 Depth=1
	s_wait_alu 0xfffe
	s_or_b32 exec_lo, exec_lo, s27
	s_and_saveexec_b32 s27, s2
	s_cbranch_execnz .LBB252_22
.LBB252_20:                             ;   in Loop: Header=BB252_4 Depth=1
	s_wait_alu 0xfffe
	s_or_b32 exec_lo, exec_lo, s27
	s_delay_alu instid0(SALU_CYCLE_1)
	s_and_b32 exec_lo, exec_lo, s3
	s_cbranch_execnz .LBB252_23
	s_branch .LBB252_27
.LBB252_21:                             ;   in Loop: Header=BB252_4 Depth=1
	v_mul_f32_e32 v14, s14, v33
	v_mul_f32_e32 v13, s15, v33
	v_add_co_u32 v34, vcc_lo, v10, v6
	s_wait_alu 0xfffd
	v_add_co_ci_u32_e64 v35, null, v11, v7, vcc_lo
	v_fmac_f32_e32 v14, s15, v32
	v_fma_f32 v13, v32, s14, -v13
	flat_store_b64 v[34:35], v[13:14]
	s_wait_alu 0xfffe
	s_or_b32 exec_lo, exec_lo, s27
	s_and_saveexec_b32 s27, s2
	s_cbranch_execz .LBB252_20
.LBB252_22:                             ;   in Loop: Header=BB252_4 Depth=1
	v_mul_f32_e32 v14, s14, v31
	v_mul_f32_e32 v13, s15, v31
	v_add_co_u32 v34, vcc_lo, v10, v6
	s_wait_alu 0xfffd
	v_add_co_ci_u32_e64 v35, null, v11, v7, vcc_lo
	v_fmac_f32_e32 v14, s15, v30
	v_fma_f32 v13, v30, s14, -v13
	flat_store_b64 v[34:35], v[13:14] offset:128
	s_wait_alu 0xfffe
	s_or_b32 exec_lo, exec_lo, s27
	s_delay_alu instid0(SALU_CYCLE_1)
	s_and_b32 exec_lo, exec_lo, s3
	s_cbranch_execz .LBB252_27
.LBB252_23:                             ;   in Loop: Header=BB252_4 Depth=1
	s_lshl_b64 s[28:29], s[8:9], 3
	s_wait_alu 0xfffe
	v_add_co_u32 v10, vcc_lo, v10, s28
	s_wait_alu 0xfffd
	v_add_co_ci_u32_e64 v11, null, s29, v11, vcc_lo
	s_delay_alu instid0(VALU_DEP_2) | instskip(SKIP_1) | instid1(VALU_DEP_2)
	v_add_co_u32 v10, vcc_lo, v10, v6
	s_wait_alu 0xfffd
	v_add_co_ci_u32_e64 v11, null, v11, v7, vcc_lo
	s_and_saveexec_b32 s27, s1
	s_cbranch_execz .LBB252_25
; %bb.24:                               ;   in Loop: Header=BB252_4 Depth=1
	v_mul_f32_e32 v14, s14, v29
	s_delay_alu instid0(VALU_DEP_1) | instskip(NEXT) | instid1(VALU_DEP_1)
	v_dual_mul_f32 v13, s15, v29 :: v_dual_fmac_f32 v14, s15, v28
	v_fma_f32 v13, v28, s14, -v13
	flat_store_b64 v[10:11], v[13:14]
.LBB252_25:                             ;   in Loop: Header=BB252_4 Depth=1
	s_wait_alu 0xfffe
	s_or_b32 exec_lo, exec_lo, s27
	s_delay_alu instid0(SALU_CYCLE_1)
	s_and_b32 exec_lo, exec_lo, s2
	s_cbranch_execz .LBB252_27
; %bb.26:                               ;   in Loop: Header=BB252_4 Depth=1
	v_mul_f32_e32 v14, s14, v26
	s_delay_alu instid0(VALU_DEP_1) | instskip(NEXT) | instid1(VALU_DEP_1)
	v_dual_mul_f32 v13, s15, v26 :: v_dual_fmac_f32 v14, s15, v27
	v_fma_f32 v13, v27, s14, -v13
	flat_store_b64 v[10:11], v[13:14] offset:128
.LBB252_27:                             ;   in Loop: Header=BB252_4 Depth=1
	s_wait_alu 0xfffe
	s_or_b32 exec_lo, exec_lo, s26
	s_cbranch_execnz .LBB252_3
.LBB252_28:                             ;   in Loop: Header=BB252_4 Depth=1
	s_and_saveexec_b32 s26, s0
	s_cbranch_execz .LBB252_2
; %bb.29:                               ;   in Loop: Header=BB252_4 Depth=1
	v_add_co_u32 v8, vcc_lo, v8, s18
	s_wait_alu 0xfffd
	v_add_co_ci_u32_e64 v10, null, s19, v9, vcc_lo
	s_delay_alu instid0(VALU_DEP_2) | instskip(SKIP_1) | instid1(VALU_DEP_2)
	v_add_co_u32 v9, vcc_lo, v8, v2
	s_wait_alu 0xfffd
	v_add_co_ci_u32_e64 v10, null, v10, v3, vcc_lo
	v_add_co_u32 v1, vcc_lo, v1, v4
	s_wait_alu 0xfffd
	v_add_co_ci_u32_e64 v8, null, v12, v5, vcc_lo
	s_and_saveexec_b32 s27, s1
	s_cbranch_execnz .LBB252_32
; %bb.30:                               ;   in Loop: Header=BB252_4 Depth=1
	s_wait_alu 0xfffe
	s_or_b32 exec_lo, exec_lo, s27
	s_and_saveexec_b32 s27, s2
	s_cbranch_execnz .LBB252_33
.LBB252_31:                             ;   in Loop: Header=BB252_4 Depth=1
	s_wait_alu 0xfffe
	s_or_b32 exec_lo, exec_lo, s27
	s_delay_alu instid0(SALU_CYCLE_1)
	s_and_b32 exec_lo, exec_lo, s3
	s_cbranch_execz .LBB252_2
	s_branch .LBB252_34
.LBB252_32:                             ;   in Loop: Header=BB252_4 Depth=1
	v_add_co_u32 v11, vcc_lo, v9, v6
	s_wait_alu 0xfffd
	v_add_co_ci_u32_e64 v12, null, v10, v7, vcc_lo
	flat_load_b64 v[11:12], v[11:12]
	v_mul_f32_e32 v13, s15, v33
	s_wait_loadcnt_dscnt 0x0
	v_dual_mul_f32 v14, s14, v33 :: v_dual_mul_f32 v15, s35, v12
	v_mul_f32_e32 v12, s34, v12
	s_delay_alu instid0(VALU_DEP_3) | instskip(NEXT) | instid1(VALU_DEP_3)
	v_fma_f32 v13, v32, s14, -v13
	v_fma_f32 v15, v11, s34, -v15
	s_delay_alu instid0(VALU_DEP_4) | instskip(NEXT) | instid1(VALU_DEP_4)
	v_fmac_f32_e32 v14, s15, v32
	v_fmac_f32_e32 v12, s35, v11
	s_delay_alu instid0(VALU_DEP_3) | instskip(SKIP_1) | instid1(VALU_DEP_3)
	v_add_f32_e32 v11, v13, v15
	v_add_co_u32 v13, vcc_lo, v1, v6
	v_add_f32_e32 v12, v14, v12
	s_wait_alu 0xfffd
	v_add_co_ci_u32_e64 v14, null, v8, v7, vcc_lo
	flat_store_b64 v[13:14], v[11:12]
	s_wait_alu 0xfffe
	s_or_b32 exec_lo, exec_lo, s27
	s_and_saveexec_b32 s27, s2
	s_cbranch_execz .LBB252_31
.LBB252_33:                             ;   in Loop: Header=BB252_4 Depth=1
	v_add_co_u32 v11, vcc_lo, v9, v6
	s_wait_alu 0xfffd
	v_add_co_ci_u32_e64 v12, null, v10, v7, vcc_lo
	flat_load_b64 v[11:12], v[11:12] offset:128
	v_mul_f32_e32 v13, s15, v31
	s_wait_loadcnt_dscnt 0x0
	v_dual_mul_f32 v14, s14, v31 :: v_dual_mul_f32 v15, s35, v12
	v_mul_f32_e32 v12, s34, v12
	s_delay_alu instid0(VALU_DEP_3) | instskip(NEXT) | instid1(VALU_DEP_3)
	v_fma_f32 v13, v30, s14, -v13
	v_fma_f32 v15, v11, s34, -v15
	s_delay_alu instid0(VALU_DEP_4) | instskip(NEXT) | instid1(VALU_DEP_4)
	v_fmac_f32_e32 v14, s15, v30
	v_fmac_f32_e32 v12, s35, v11
	s_delay_alu instid0(VALU_DEP_3) | instskip(SKIP_1) | instid1(VALU_DEP_3)
	v_add_f32_e32 v11, v13, v15
	v_add_co_u32 v13, vcc_lo, v1, v6
	v_add_f32_e32 v12, v14, v12
	s_wait_alu 0xfffd
	v_add_co_ci_u32_e64 v14, null, v8, v7, vcc_lo
	flat_store_b64 v[13:14], v[11:12] offset:128
	s_wait_alu 0xfffe
	s_or_b32 exec_lo, exec_lo, s27
	s_delay_alu instid0(SALU_CYCLE_1)
	s_and_b32 exec_lo, exec_lo, s3
	s_cbranch_execz .LBB252_2
.LBB252_34:                             ;   in Loop: Header=BB252_4 Depth=1
	v_add_co_u32 v9, vcc_lo, v9, s20
	s_lshl_b64 s[28:29], s[8:9], 3
	s_wait_alu 0xfffd
	v_add_co_ci_u32_e64 v11, null, s21, v10, vcc_lo
	s_wait_alu 0xfffe
	v_add_co_u32 v1, vcc_lo, v1, s28
	s_wait_alu 0xfffd
	v_add_co_ci_u32_e64 v12, null, s29, v8, vcc_lo
	v_add_co_u32 v10, vcc_lo, v9, v6
	s_wait_alu 0xfffd
	v_add_co_ci_u32_e64 v11, null, v11, v7, vcc_lo
	;; [unrolled: 3-line block ×3, first 2 shown]
	s_and_saveexec_b32 s27, s1
	s_cbranch_execz .LBB252_36
; %bb.35:                               ;   in Loop: Header=BB252_4 Depth=1
	flat_load_b64 v[12:13], v[10:11]
	s_wait_loadcnt_dscnt 0x0
	v_mul_f32_e32 v15, s35, v13
	s_delay_alu instid0(VALU_DEP_1) | instskip(SKIP_1) | instid1(VALU_DEP_1)
	v_fma_f32 v15, v12, s34, -v15
	v_mul_f32_e32 v13, s34, v13
	v_dual_mul_f32 v14, s14, v29 :: v_dual_fmac_f32 v13, s35, v12
	s_delay_alu instid0(VALU_DEP_1) | instskip(NEXT) | instid1(VALU_DEP_1)
	v_dual_mul_f32 v1, s15, v29 :: v_dual_fmac_f32 v14, s15, v28
	v_fma_f32 v1, v28, s14, -v1
	s_delay_alu instid0(VALU_DEP_1)
	v_dual_add_f32 v13, v14, v13 :: v_dual_add_f32 v12, v1, v15
	flat_store_b64 v[8:9], v[12:13]
.LBB252_36:                             ;   in Loop: Header=BB252_4 Depth=1
	s_wait_alu 0xfffe
	s_or_b32 exec_lo, exec_lo, s27
	s_delay_alu instid0(SALU_CYCLE_1)
	s_and_b32 exec_lo, exec_lo, s2
	s_cbranch_execz .LBB252_2
; %bb.37:                               ;   in Loop: Header=BB252_4 Depth=1
	flat_load_b64 v[10:11], v[10:11] offset:128
	s_wait_loadcnt_dscnt 0x0
	v_dual_mul_f32 v12, s14, v26 :: v_dual_mul_f32 v13, s35, v11
	s_delay_alu instid0(VALU_DEP_1) | instskip(NEXT) | instid1(VALU_DEP_2)
	v_dual_mul_f32 v1, s15, v26 :: v_dual_fmac_f32 v12, s15, v27
	v_fma_f32 v13, v10, s34, -v13
	s_delay_alu instid0(VALU_DEP_2) | instskip(SKIP_1) | instid1(VALU_DEP_1)
	v_fma_f32 v1, v27, s14, -v1
	v_mul_f32_e32 v11, s34, v11
	v_dual_fmac_f32 v11, s35, v10 :: v_dual_add_f32 v10, v1, v13
	s_delay_alu instid0(VALU_DEP_1)
	v_add_f32_e32 v11, v12, v11
	flat_store_b64 v[8:9], v[10:11] offset:128
	s_branch .LBB252_2
.LBB252_38:
	s_endpgm
	.section	.rodata,"a",@progbits
	.p2align	6, 0x0
	.amdhsa_kernel _ZN12_GLOBAL__N_135rocblas_gemm_batched_general_kernelI19rocblas_complex_numIfELi16ELi16ELi32ELi32ELi8ELi32ELi8ELi8ELi32ELc78ELc78EKPKS2_S5_KPS2_EEvlllT_PT11_llSA_llS8_PT12_llPT13_lli
		.amdhsa_group_segment_fixed_size 4096
		.amdhsa_private_segment_fixed_size 0
		.amdhsa_kernarg_size 140
		.amdhsa_user_sgpr_count 2
		.amdhsa_user_sgpr_dispatch_ptr 0
		.amdhsa_user_sgpr_queue_ptr 0
		.amdhsa_user_sgpr_kernarg_segment_ptr 1
		.amdhsa_user_sgpr_dispatch_id 0
		.amdhsa_user_sgpr_private_segment_size 0
		.amdhsa_wavefront_size32 1
		.amdhsa_uses_dynamic_stack 0
		.amdhsa_enable_private_segment 0
		.amdhsa_system_sgpr_workgroup_id_x 1
		.amdhsa_system_sgpr_workgroup_id_y 1
		.amdhsa_system_sgpr_workgroup_id_z 1
		.amdhsa_system_sgpr_workgroup_info 0
		.amdhsa_system_vgpr_workitem_id 1
		.amdhsa_next_free_vgpr 71
		.amdhsa_next_free_sgpr 47
		.amdhsa_reserve_vcc 1
		.amdhsa_float_round_mode_32 0
		.amdhsa_float_round_mode_16_64 0
		.amdhsa_float_denorm_mode_32 3
		.amdhsa_float_denorm_mode_16_64 3
		.amdhsa_fp16_overflow 0
		.amdhsa_workgroup_processor_mode 1
		.amdhsa_memory_ordered 1
		.amdhsa_forward_progress 1
		.amdhsa_inst_pref_size 28
		.amdhsa_round_robin_scheduling 0
		.amdhsa_exception_fp_ieee_invalid_op 0
		.amdhsa_exception_fp_denorm_src 0
		.amdhsa_exception_fp_ieee_div_zero 0
		.amdhsa_exception_fp_ieee_overflow 0
		.amdhsa_exception_fp_ieee_underflow 0
		.amdhsa_exception_fp_ieee_inexact 0
		.amdhsa_exception_int_div_zero 0
	.end_amdhsa_kernel
	.section	.text._ZN12_GLOBAL__N_135rocblas_gemm_batched_general_kernelI19rocblas_complex_numIfELi16ELi16ELi32ELi32ELi8ELi32ELi8ELi8ELi32ELc78ELc78EKPKS2_S5_KPS2_EEvlllT_PT11_llSA_llS8_PT12_llPT13_lli,"axG",@progbits,_ZN12_GLOBAL__N_135rocblas_gemm_batched_general_kernelI19rocblas_complex_numIfELi16ELi16ELi32ELi32ELi8ELi32ELi8ELi8ELi32ELc78ELc78EKPKS2_S5_KPS2_EEvlllT_PT11_llSA_llS8_PT12_llPT13_lli,comdat
.Lfunc_end252:
	.size	_ZN12_GLOBAL__N_135rocblas_gemm_batched_general_kernelI19rocblas_complex_numIfELi16ELi16ELi32ELi32ELi8ELi32ELi8ELi8ELi32ELc78ELc78EKPKS2_S5_KPS2_EEvlllT_PT11_llSA_llS8_PT12_llPT13_lli, .Lfunc_end252-_ZN12_GLOBAL__N_135rocblas_gemm_batched_general_kernelI19rocblas_complex_numIfELi16ELi16ELi32ELi32ELi8ELi32ELi8ELi8ELi32ELc78ELc78EKPKS2_S5_KPS2_EEvlllT_PT11_llSA_llS8_PT12_llPT13_lli
                                        ; -- End function
	.set _ZN12_GLOBAL__N_135rocblas_gemm_batched_general_kernelI19rocblas_complex_numIfELi16ELi16ELi32ELi32ELi8ELi32ELi8ELi8ELi32ELc78ELc78EKPKS2_S5_KPS2_EEvlllT_PT11_llSA_llS8_PT12_llPT13_lli.num_vgpr, 71
	.set _ZN12_GLOBAL__N_135rocblas_gemm_batched_general_kernelI19rocblas_complex_numIfELi16ELi16ELi32ELi32ELi8ELi32ELi8ELi8ELi32ELc78ELc78EKPKS2_S5_KPS2_EEvlllT_PT11_llSA_llS8_PT12_llPT13_lli.num_agpr, 0
	.set _ZN12_GLOBAL__N_135rocblas_gemm_batched_general_kernelI19rocblas_complex_numIfELi16ELi16ELi32ELi32ELi8ELi32ELi8ELi8ELi32ELc78ELc78EKPKS2_S5_KPS2_EEvlllT_PT11_llSA_llS8_PT12_llPT13_lli.numbered_sgpr, 47
	.set _ZN12_GLOBAL__N_135rocblas_gemm_batched_general_kernelI19rocblas_complex_numIfELi16ELi16ELi32ELi32ELi8ELi32ELi8ELi8ELi32ELc78ELc78EKPKS2_S5_KPS2_EEvlllT_PT11_llSA_llS8_PT12_llPT13_lli.num_named_barrier, 0
	.set _ZN12_GLOBAL__N_135rocblas_gemm_batched_general_kernelI19rocblas_complex_numIfELi16ELi16ELi32ELi32ELi8ELi32ELi8ELi8ELi32ELc78ELc78EKPKS2_S5_KPS2_EEvlllT_PT11_llSA_llS8_PT12_llPT13_lli.private_seg_size, 0
	.set _ZN12_GLOBAL__N_135rocblas_gemm_batched_general_kernelI19rocblas_complex_numIfELi16ELi16ELi32ELi32ELi8ELi32ELi8ELi8ELi32ELc78ELc78EKPKS2_S5_KPS2_EEvlllT_PT11_llSA_llS8_PT12_llPT13_lli.uses_vcc, 1
	.set _ZN12_GLOBAL__N_135rocblas_gemm_batched_general_kernelI19rocblas_complex_numIfELi16ELi16ELi32ELi32ELi8ELi32ELi8ELi8ELi32ELc78ELc78EKPKS2_S5_KPS2_EEvlllT_PT11_llSA_llS8_PT12_llPT13_lli.uses_flat_scratch, 0
	.set _ZN12_GLOBAL__N_135rocblas_gemm_batched_general_kernelI19rocblas_complex_numIfELi16ELi16ELi32ELi32ELi8ELi32ELi8ELi8ELi32ELc78ELc78EKPKS2_S5_KPS2_EEvlllT_PT11_llSA_llS8_PT12_llPT13_lli.has_dyn_sized_stack, 0
	.set _ZN12_GLOBAL__N_135rocblas_gemm_batched_general_kernelI19rocblas_complex_numIfELi16ELi16ELi32ELi32ELi8ELi32ELi8ELi8ELi32ELc78ELc78EKPKS2_S5_KPS2_EEvlllT_PT11_llSA_llS8_PT12_llPT13_lli.has_recursion, 0
	.set _ZN12_GLOBAL__N_135rocblas_gemm_batched_general_kernelI19rocblas_complex_numIfELi16ELi16ELi32ELi32ELi8ELi32ELi8ELi8ELi32ELc78ELc78EKPKS2_S5_KPS2_EEvlllT_PT11_llSA_llS8_PT12_llPT13_lli.has_indirect_call, 0
	.section	.AMDGPU.csdata,"",@progbits
; Kernel info:
; codeLenInByte = 3536
; TotalNumSgprs: 49
; NumVgprs: 71
; ScratchSize: 0
; MemoryBound: 1
; FloatMode: 240
; IeeeMode: 1
; LDSByteSize: 4096 bytes/workgroup (compile time only)
; SGPRBlocks: 0
; VGPRBlocks: 8
; NumSGPRsForWavesPerEU: 49
; NumVGPRsForWavesPerEU: 71
; Occupancy: 16
; WaveLimiterHint : 1
; COMPUTE_PGM_RSRC2:SCRATCH_EN: 0
; COMPUTE_PGM_RSRC2:USER_SGPR: 2
; COMPUTE_PGM_RSRC2:TRAP_HANDLER: 0
; COMPUTE_PGM_RSRC2:TGID_X_EN: 1
; COMPUTE_PGM_RSRC2:TGID_Y_EN: 1
; COMPUTE_PGM_RSRC2:TGID_Z_EN: 1
; COMPUTE_PGM_RSRC2:TIDIG_COMP_CNT: 1
	.section	.text._ZN12_GLOBAL__N_135rocblas_gemm_batched_general_kernelI19rocblas_complex_numIfELi16ELi16ELi32ELi32ELi8ELi32ELi8ELi8ELi32ELc84ELc78EKPKS2_S5_KPS2_EEvlllT_PT11_llSA_llS8_PT12_llPT13_lli,"axG",@progbits,_ZN12_GLOBAL__N_135rocblas_gemm_batched_general_kernelI19rocblas_complex_numIfELi16ELi16ELi32ELi32ELi8ELi32ELi8ELi8ELi32ELc84ELc78EKPKS2_S5_KPS2_EEvlllT_PT11_llSA_llS8_PT12_llPT13_lli,comdat
	.globl	_ZN12_GLOBAL__N_135rocblas_gemm_batched_general_kernelI19rocblas_complex_numIfELi16ELi16ELi32ELi32ELi8ELi32ELi8ELi8ELi32ELc84ELc78EKPKS2_S5_KPS2_EEvlllT_PT11_llSA_llS8_PT12_llPT13_lli ; -- Begin function _ZN12_GLOBAL__N_135rocblas_gemm_batched_general_kernelI19rocblas_complex_numIfELi16ELi16ELi32ELi32ELi8ELi32ELi8ELi8ELi32ELc84ELc78EKPKS2_S5_KPS2_EEvlllT_PT11_llSA_llS8_PT12_llPT13_lli
	.p2align	8
	.type	_ZN12_GLOBAL__N_135rocblas_gemm_batched_general_kernelI19rocblas_complex_numIfELi16ELi16ELi32ELi32ELi8ELi32ELi8ELi8ELi32ELc84ELc78EKPKS2_S5_KPS2_EEvlllT_PT11_llSA_llS8_PT12_llPT13_lli,@function
_ZN12_GLOBAL__N_135rocblas_gemm_batched_general_kernelI19rocblas_complex_numIfELi16ELi16ELi32ELi32ELi8ELi32ELi8ELi8ELi32ELc84ELc78EKPKS2_S5_KPS2_EEvlllT_PT11_llSA_llS8_PT12_llPT13_lli: ; @_ZN12_GLOBAL__N_135rocblas_gemm_batched_general_kernelI19rocblas_complex_numIfELi16ELi16ELi32ELi32ELi8ELi32ELi8ELi8ELi32ELc84ELc78EKPKS2_S5_KPS2_EEvlllT_PT11_llSA_llS8_PT12_llPT13_lli
; %bb.0:
	s_load_b32 s33, s[0:1], 0x88
	s_lshr_b32 s6, ttmp7, 16
	s_wait_kmcnt 0x0
	s_cmp_ge_i32 s6, s33
	s_cbranch_scc1 .LBB253_38
; %bb.1:
	v_bfe_u32 v5, v0, 10, 10
	v_and_b32_e32 v8, 0x3ff, v0
	s_clause 0x2
	s_load_b256 s[8:15], s[0:1], 0x0
	s_load_b256 s[16:23], s[0:1], 0x20
	s_load_b128 s[36:39], s[0:1], 0x78
	s_mov_b32 s2, ttmp9
	s_ashr_i32 s3, ttmp9, 31
	v_and_b32_e32 v17, 7, v0
	v_lshl_add_u32 v1, v5, 4, v8
	s_lshl_b64 s[44:45], s[2:3], 5
	s_clause 0x2
	s_load_b256 s[24:31], s[0:1], 0x58
	s_load_b128 s[40:43], s[0:1], 0x40
	s_load_b64 s[34:35], s[0:1], 0x50
	s_and_b32 s0, ttmp7, 0xffff
	v_dual_mov_b32 v2, s45 :: v_dual_and_b32 v3, 31, v1
	v_lshrrev_b32_e32 v0, 3, v1
	s_lshl_b32 s0, s0, 5
	v_lshrrev_b32_e32 v16, 5, v1
	s_delay_alu instid0(VALU_DEP_3)
	v_or_b32_e32 v1, s44, v3
	v_lshlrev_b32_e32 v6, 3, v3
	v_add_co_u32 v3, s1, v0, s0
	v_lshlrev_b32_e32 v26, 3, v17
	s_wait_alu 0xf1ff
	v_add_co_ci_u32_e64 v4, null, 0, 0, s1
	v_lshl_or_b32 v18, v16, 8, v6
	v_lshlrev_b32_e32 v20, 3, v8
	v_lshl_or_b32 v7, v0, 6, v26
	s_wait_kmcnt 0x0
	v_cmp_gt_i64_e64 s4, s[10:11], v[3:4]
	v_add_co_u32 v4, s0, s0, v5
	v_lshl_add_u32 v21, v5, 6, 0x800
	v_add_nc_u32_e32 v19, 0x800, v7
	s_wait_alu 0xf1ff
	v_add_co_ci_u32_e64 v5, null, 0, 0, s0
	v_mad_co_u64_u32 v[6:7], null, v4, s36, 0
	v_add_co_u32 v8, s0, s44, v8
	s_wait_alu 0xf1ff
	v_add_co_ci_u32_e64 v9, null, s45, 0, s0
	v_mad_co_u64_u32 v[12:13], null, s40, v3, 0
	s_delay_alu instid0(VALU_DEP_3)
	v_add_co_u32 v10, s0, v8, 16
	v_cmp_gt_i64_e32 vcc_lo, s[8:9], v[1:2]
	s_wait_alu 0xf1ff
	v_add_co_ci_u32_e64 v11, null, 0, v9, s0
	v_mov_b32_e32 v2, v7
	v_add_co_u32 v22, s3, v4, 16
	v_cmp_gt_i64_e64 s0, s[10:11], v[4:5]
	v_add_co_ci_u32_e64 v23, null, 0, v5, s3
	v_mul_lo_u32 v5, s19, v1
	v_mad_co_u64_u32 v[24:25], null, s18, v1, 0
	v_cmp_gt_i64_e64 s2, s[8:9], v[10:11]
	v_mad_co_u64_u32 v[10:11], null, v4, s37, v[2:3]
	v_mov_b32_e32 v2, v13
	v_mad_co_u64_u32 v[14:15], null, v4, s26, 0
	s_mul_i32 s5, s18, s45
	s_or_b32 s1, s34, s35
	v_add3_u32 v25, v25, s5, v5
	v_lshlrev_b32_e32 v5, 3, v16
	v_mad_co_u64_u32 v[2:3], null, s41, v3, v[2:3]
	v_mov_b32_e32 v3, v15
	s_wait_alu 0xfffe
	s_bitset0_b32 s1, 31
	v_cmp_gt_i64_e64 s3, s[10:11], v[22:23]
	s_wait_alu 0xfffe
	s_cmp_eq_u32 s1, 0
	v_mov_b32_e32 v7, v10
	v_mad_co_u64_u32 v[3:4], null, v4, s27, v[3:4]
	v_mov_b32_e32 v13, v2
	s_cselect_b32 s44, -1, 0
	s_lshl_b64 s[10:11], s[42:43], 3
	v_cmp_gt_i64_e64 s1, s[8:9], v[8:9]
	s_lshl_b64 s[18:19], s[26:27], 4
	v_lshlrev_b64_e32 v[1:2], 3, v[12:13]
	v_mov_b32_e32 v15, v3
	v_lshlrev_b64_e32 v[3:4], 3, v[24:25]
	v_cmp_gt_i64_e64 s26, s[12:13], 0
	v_mov_b32_e32 v0, 0
	s_mov_b32 s7, 0
	s_wait_alu 0xfffe
	v_add_co_u32 v1, s5, v1, s10
	s_wait_alu 0xf1ff
	v_add_co_ci_u32_e64 v2, null, s11, v2, s5
	s_lshl_b64 s[10:11], s[20:21], 3
	s_lshl_b64 s[8:9], s[36:37], 4
	s_wait_alu 0xfffe
	v_add_co_u32 v3, s5, v3, s10
	s_wait_alu 0xf1ff
	v_add_co_ci_u32_e64 v4, null, s11, v4, s5
	v_add_co_u32 v22, s5, v1, v26
	s_wait_alu 0xf1ff
	v_add_co_ci_u32_e64 v23, null, 0, v2, s5
	;; [unrolled: 3-line block ×3, first 2 shown]
	v_lshlrev_b64_e32 v[2:3], 3, v[14:15]
	v_lshlrev_b64_e32 v[4:5], 3, v[6:7]
	;; [unrolled: 1-line block ×3, first 2 shown]
	s_xor_b32 s27, vcc_lo, -1
	s_xor_b32 s36, s4, -1
	s_lshl_b64 s[4:5], s[38:39], 3
	s_lshl_b64 s[10:11], s[28:29], 3
	s_lshl_b64 s[18:19], s[18:19], 3
	s_branch .LBB253_4
.LBB253_2:                              ;   in Loop: Header=BB253_4 Depth=1
	s_wait_alu 0xfffe
	s_or_b32 exec_lo, exec_lo, s20
.LBB253_3:                              ;   in Loop: Header=BB253_4 Depth=1
	s_add_co_i32 s6, s6, 0x10000
	s_delay_alu instid0(SALU_CYCLE_1)
	s_cmp_lt_i32 s6, s33
	s_cbranch_scc0 .LBB253_38
.LBB253_4:                              ; =>This Loop Header: Depth=1
                                        ;     Child Loop BB253_7 Depth 2
	s_lshl_b64 s[20:21], s[6:7], 3
	v_dual_mov_b32 v32, v0 :: v_dual_mov_b32 v33, v0
	s_wait_alu 0xfffe
	s_add_nc_u64 s[28:29], s[24:25], s[20:21]
	s_add_nc_u64 s[38:39], s[30:31], s[20:21]
	s_clause 0x1
	global_load_b64 v[8:9], v0, s[28:29]
	global_load_b64 v[10:11], v0, s[38:39]
	v_dual_mov_b32 v30, v0 :: v_dual_mov_b32 v31, v0
	v_dual_mov_b32 v28, v0 :: v_dual_mov_b32 v29, v0
	;; [unrolled: 1-line block ×3, first 2 shown]
	s_and_not1_b32 vcc_lo, exec_lo, s26
	s_wait_alu 0xfffe
	s_cbranch_vccnz .LBB253_15
; %bb.5:                                ;   in Loop: Header=BB253_4 Depth=1
	s_add_nc_u64 s[28:29], s[22:23], s[20:21]
	s_add_nc_u64 s[20:21], s[16:17], s[20:21]
	s_clause 0x1
	global_load_b64 v[12:13], v0, s[28:29]
	global_load_b64 v[14:15], v0, s[20:21]
	v_dual_mov_b32 v26, 0 :: v_dual_mov_b32 v27, 0
	v_dual_mov_b32 v29, 0 :: v_dual_mov_b32 v28, 0
	;; [unrolled: 1-line block ×4, first 2 shown]
	s_mov_b64 s[20:21], 0
	s_wait_loadcnt 0x1
	v_add_co_u32 v12, vcc_lo, v12, v22
	s_wait_alu 0xfffd
	v_add_co_ci_u32_e64 v13, null, v13, v23, vcc_lo
	s_wait_loadcnt 0x0
	v_add_co_u32 v14, vcc_lo, v14, v24
	s_wait_alu 0xfffd
	v_add_co_ci_u32_e64 v15, null, v15, v25, vcc_lo
	s_branch .LBB253_7
.LBB253_6:                              ;   in Loop: Header=BB253_7 Depth=2
	s_wait_alu 0xfffe
	s_or_b32 exec_lo, exec_lo, s28
	s_wait_dscnt 0x0
	s_barrier_signal -1
	s_barrier_wait -1
	global_inv scope:SCOPE_SE
	ds_load_b128 v[34:37], v21
	ds_load_2addr_b64 v[38:41], v20 offset1:16
	ds_load_b128 v[42:45], v21 offset:1024
	ds_load_b128 v[46:49], v21 offset:16
	;; [unrolled: 1-line block ×4, first 2 shown]
	ds_load_2addr_b64 v[58:61], v20 offset0:32 offset1:48
	ds_load_b128 v[62:65], v21 offset:1040
	s_add_nc_u64 s[20:21], s[20:21], 8
	v_add_co_u32 v12, vcc_lo, v12, 64
	s_wait_alu 0xfffe
	v_cmp_lt_i64_e64 s28, s[20:21], s[12:13]
	s_wait_alu 0xfffd
	v_add_co_ci_u32_e64 v13, null, 0, v13, vcc_lo
	v_add_co_u32 v14, vcc_lo, v14, 64
	s_wait_alu 0xfffd
	v_add_co_ci_u32_e64 v15, null, 0, v15, vcc_lo
	s_and_b32 vcc_lo, exec_lo, s28
	s_wait_dscnt 0x6
	v_dual_mul_f32 v1, v35, v39 :: v_dual_mul_f32 v68, v34, v41
	v_dual_mul_f32 v66, v34, v39 :: v_dual_mul_f32 v67, v35, v41
	s_wait_dscnt 0x5
	v_mul_f32_e32 v70, v43, v41
	s_delay_alu instid0(VALU_DEP_3) | instskip(SKIP_3) | instid1(VALU_DEP_4)
	v_fma_f32 v1, v34, v38, -v1
	v_dual_mul_f32 v41, v42, v41 :: v_dual_fmac_f32 v68, v35, v40
	v_fmac_f32_e32 v66, v35, v38
	v_fma_f32 v34, v34, v40, -v67
	v_add_f32_e32 v1, v32, v1
	v_mul_f32_e32 v69, v43, v39
	s_delay_alu instid0(VALU_DEP_4) | instskip(NEXT) | instid1(VALU_DEP_4)
	v_dual_mul_f32 v39, v42, v39 :: v_dual_add_f32 v32, v33, v66
	v_add_f32_e32 v33, v30, v34
	v_fmac_f32_e32 v41, v43, v40
	s_delay_alu instid0(VALU_DEP_4) | instskip(NEXT) | instid1(VALU_DEP_4)
	v_fma_f32 v35, v42, v38, -v69
	v_fmac_f32_e32 v39, v43, v38
	v_fma_f32 v38, v42, v40, -v70
	s_wait_dscnt 0x1
	v_dual_mul_f32 v40, v36, v59 :: v_dual_add_f32 v31, v31, v68
	v_mul_f32_e32 v42, v37, v61
	v_add_f32_e32 v34, v28, v35
	v_dual_add_f32 v35, v29, v39 :: v_dual_add_f32 v38, v27, v38
	ds_load_2addr_b64 v[27:30], v20 offset0:64 offset1:80
	v_fmac_f32_e32 v40, v37, v58
	v_dual_mul_f32 v39, v37, v59 :: v_dual_add_f32 v26, v26, v41
	v_mul_f32_e32 v41, v36, v61
	s_delay_alu instid0(VALU_DEP_3) | instskip(NEXT) | instid1(VALU_DEP_3)
	v_add_f32_e32 v40, v32, v40
	v_fma_f32 v39, v36, v58, -v39
	v_fma_f32 v36, v36, v60, -v42
	v_mul_f32_e32 v32, v44, v59
	s_delay_alu instid0(VALU_DEP_3) | instskip(SKIP_1) | instid1(VALU_DEP_4)
	v_add_f32_e32 v1, v1, v39
	v_mul_f32_e32 v39, v45, v59
	v_add_f32_e32 v36, v33, v36
	v_fmac_f32_e32 v41, v37, v60
	v_mul_f32_e32 v37, v45, v61
	v_fmac_f32_e32 v32, v45, v58
	v_fma_f32 v33, v44, v58, -v39
	s_delay_alu instid0(VALU_DEP_4) | instskip(SKIP_4) | instid1(VALU_DEP_3)
	v_add_f32_e32 v39, v31, v41
	v_mul_f32_e32 v41, v44, v61
	v_fma_f32 v31, v44, v60, -v37
	s_wait_dscnt 0x0
	v_dual_add_f32 v42, v34, v33 :: v_dual_mul_f32 v33, v47, v28
	v_dual_mul_f32 v44, v47, v30 :: v_dual_fmac_f32 v41, v45, v60
	v_mul_f32_e32 v37, v46, v28
	v_add_f32_e32 v38, v38, v31
	s_delay_alu instid0(VALU_DEP_3) | instskip(SKIP_3) | instid1(VALU_DEP_2)
	v_add_f32_e32 v41, v26, v41
	v_mul_f32_e32 v26, v46, v30
	v_fma_f32 v43, v46, v27, -v33
	v_fmac_f32_e32 v37, v47, v27
	v_dual_fmac_f32 v26, v47, v29 :: v_dual_add_f32 v1, v1, v43
	v_fma_f32 v43, v46, v29, -v44
	v_add_f32_e32 v35, v35, v32
	ds_load_2addr_b64 v[31:34], v20 offset0:96 offset1:112
	v_dual_add_f32 v37, v40, v37 :: v_dual_mul_f32 v40, v63, v28
	v_mul_f32_e32 v28, v62, v28
	v_dual_add_f32 v36, v36, v43 :: v_dual_mul_f32 v43, v63, v30
	v_mul_f32_e32 v30, v62, v30
	s_delay_alu instid0(VALU_DEP_4) | instskip(NEXT) | instid1(VALU_DEP_4)
	v_fma_f32 v40, v62, v27, -v40
	v_fmac_f32_e32 v28, v63, v27
	v_add_f32_e32 v39, v39, v26
	v_fma_f32 v26, v62, v29, -v43
	v_fmac_f32_e32 v30, v63, v29
	v_add_f32_e32 v40, v42, v40
	s_delay_alu instid0(VALU_DEP_3)
	v_dual_add_f32 v42, v35, v28 :: v_dual_add_f32 v43, v38, v26
	ds_load_2addr_b64 v[26:29], v20 offset0:128 offset1:144
	s_wait_dscnt 0x1
	v_mul_f32_e32 v35, v49, v32
	v_mul_f32_e32 v38, v48, v32
	;; [unrolled: 1-line block ×4, first 2 shown]
	s_delay_alu instid0(VALU_DEP_4) | instskip(NEXT) | instid1(VALU_DEP_4)
	v_fma_f32 v35, v48, v31, -v35
	v_fmac_f32_e32 v38, v49, v31
	s_delay_alu instid0(VALU_DEP_2) | instskip(SKIP_1) | instid1(VALU_DEP_3)
	v_add_f32_e32 v1, v1, v35
	v_mul_f32_e32 v35, v65, v32
	v_dual_mul_f32 v32, v64, v32 :: v_dual_add_f32 v45, v37, v38
	s_delay_alu instid0(VALU_DEP_2) | instskip(NEXT) | instid1(VALU_DEP_2)
	v_fma_f32 v46, v64, v31, -v35
	v_fmac_f32_e32 v32, v65, v31
	s_wait_dscnt 0x0
	v_mul_f32_e32 v31, v51, v27
	v_fma_f32 v44, v48, v33, -v44
	v_add_f32_e32 v41, v41, v30
	v_mul_f32_e32 v30, v48, v34
	v_mul_f32_e32 v58, v50, v29
	s_delay_alu instid0(VALU_DEP_4) | instskip(SKIP_2) | instid1(VALU_DEP_1)
	v_add_f32_e32 v44, v36, v44
	ds_load_b128 v[35:38], v21 offset:1056
	v_dual_fmac_f32 v30, v49, v33 :: v_dual_mul_f32 v49, v50, v27
	v_add_f32_e32 v48, v39, v30
	v_fma_f32 v30, v64, v33, -v47
	v_fma_f32 v39, v50, v26, -v31
	v_mul_f32_e32 v34, v64, v34
	v_fmac_f32_e32 v49, v51, v26
	v_add_f32_e32 v46, v40, v46
	v_add_f32_e32 v43, v43, v30
	;; [unrolled: 1-line block ×4, first 2 shown]
	v_fmac_f32_e32 v34, v65, v33
	ds_load_2addr_b64 v[30:33], v20 offset0:160 offset1:176
	v_mul_f32_e32 v40, v51, v29
	v_add_f32_e32 v45, v45, v49
	v_add_f32_e32 v34, v41, v34
	s_delay_alu instid0(VALU_DEP_3)
	v_fma_f32 v50, v50, v28, -v40
	ds_load_b128 v[39:42], v21 offset:1072
	s_wait_dscnt 0x2
	v_mul_f32_e32 v59, v36, v27
	v_dual_mul_f32 v27, v35, v27 :: v_dual_add_f32 v44, v44, v50
	v_fmac_f32_e32 v58, v51, v28
	v_mul_f32_e32 v50, v36, v29
	s_delay_alu instid0(VALU_DEP_4) | instskip(NEXT) | instid1(VALU_DEP_4)
	v_fma_f32 v49, v35, v26, -v59
	v_fmac_f32_e32 v27, v36, v26
	s_delay_alu instid0(VALU_DEP_4) | instskip(SKIP_1) | instid1(VALU_DEP_3)
	v_dual_mul_f32 v51, v35, v29 :: v_dual_add_f32 v48, v48, v58
	s_wait_dscnt 0x1
	v_dual_add_f32 v46, v46, v49 :: v_dual_mul_f32 v29, v53, v31
	v_fma_f32 v26, v35, v28, -v50
	v_add_f32_e32 v35, v47, v27
	v_fmac_f32_e32 v51, v36, v28
	v_mul_f32_e32 v36, v52, v31
	v_fma_f32 v47, v52, v30, -v29
	v_add_f32_e32 v43, v43, v26
	ds_load_2addr_b64 v[26:29], v20 offset0:192 offset1:208
	v_fmac_f32_e32 v36, v53, v30
	v_dual_mul_f32 v49, v53, v33 :: v_dual_add_f32 v50, v34, v51
	v_dual_add_f32 v1, v1, v47 :: v_dual_mul_f32 v34, v52, v33
	s_delay_alu instid0(VALU_DEP_3) | instskip(NEXT) | instid1(VALU_DEP_3)
	v_dual_add_f32 v45, v45, v36 :: v_dual_mul_f32 v36, v38, v31
	v_fma_f32 v47, v52, v32, -v49
	s_delay_alu instid0(VALU_DEP_3) | instskip(NEXT) | instid1(VALU_DEP_3)
	v_fmac_f32_e32 v34, v53, v32
	v_fma_f32 v36, v37, v30, -v36
	s_delay_alu instid0(VALU_DEP_3) | instskip(SKIP_1) | instid1(VALU_DEP_3)
	v_dual_add_f32 v44, v44, v47 :: v_dual_mul_f32 v47, v38, v33
	v_mul_f32_e32 v31, v37, v31
	v_dual_mul_f32 v33, v37, v33 :: v_dual_add_f32 v46, v46, v36
	s_delay_alu instid0(VALU_DEP_2) | instskip(SKIP_2) | instid1(VALU_DEP_4)
	v_fmac_f32_e32 v31, v38, v30
	v_add_f32_e32 v30, v48, v34
	v_fma_f32 v34, v37, v32, -v47
	v_fmac_f32_e32 v33, v38, v32
	s_wait_dscnt 0x0
	v_mul_f32_e32 v38, v54, v27
	v_dual_add_f32 v31, v35, v31 :: v_dual_mul_f32 v48, v54, v29
	v_add_f32_e32 v32, v43, v34
	ds_load_2addr_b64 v[34:37], v20 offset0:224 offset1:240
	v_dual_add_f32 v33, v50, v33 :: v_dual_fmac_f32 v38, v55, v26
	v_mul_f32_e32 v47, v55, v27
	v_fmac_f32_e32 v48, v55, v28
	s_wait_loadcnt_dscnt 0x0
	s_barrier_signal -1
	v_add_f32_e32 v38, v45, v38
	v_fma_f32 v43, v54, v26, -v47
	v_mul_f32_e32 v47, v55, v29
	v_mul_f32_e32 v45, v40, v29
	;; [unrolled: 1-line block ×3, first 2 shown]
	s_barrier_wait -1
	v_add_f32_e32 v1, v1, v43
	v_fma_f32 v47, v54, v28, -v47
	v_mul_f32_e32 v43, v40, v27
	v_fmac_f32_e32 v29, v40, v28
	global_inv scope:SCOPE_SE
	v_dual_add_f32 v44, v44, v47 :: v_dual_add_f32 v47, v30, v48
	v_fma_f32 v30, v39, v28, -v45
	v_mul_f32_e32 v27, v39, v27
	s_delay_alu instid0(VALU_DEP_1) | instskip(NEXT) | instid1(VALU_DEP_3)
	v_fmac_f32_e32 v27, v40, v26
	v_add_f32_e32 v40, v32, v30
	v_mul_f32_e32 v30, v57, v37
	v_fma_f32 v43, v39, v26, -v43
	v_mul_f32_e32 v39, v57, v35
	s_delay_alu instid0(VALU_DEP_2) | instskip(NEXT) | instid1(VALU_DEP_2)
	v_add_f32_e32 v26, v46, v43
	v_fma_f32 v28, v56, v34, -v39
	v_add_f32_e32 v39, v33, v29
	v_mul_f32_e32 v29, v41, v35
	s_delay_alu instid0(VALU_DEP_3) | instskip(SKIP_4) | instid1(VALU_DEP_4)
	v_add_f32_e32 v32, v1, v28
	v_fma_f32 v1, v56, v36, -v30
	v_mul_f32_e32 v28, v42, v35
	v_add_f32_e32 v27, v31, v27
	v_mul_f32_e32 v31, v56, v37
	v_dual_fmac_f32 v29, v42, v34 :: v_dual_add_f32 v30, v44, v1
	s_delay_alu instid0(VALU_DEP_4) | instskip(SKIP_3) | instid1(VALU_DEP_4)
	v_fma_f32 v1, v41, v34, -v28
	v_mul_f32_e32 v43, v56, v35
	v_mul_f32_e32 v35, v42, v37
	;; [unrolled: 1-line block ×3, first 2 shown]
	v_dual_fmac_f32 v31, v57, v36 :: v_dual_add_f32 v28, v26, v1
	s_delay_alu instid0(VALU_DEP_4) | instskip(NEXT) | instid1(VALU_DEP_4)
	v_fmac_f32_e32 v43, v57, v34
	v_fma_f32 v34, v41, v36, -v35
	s_delay_alu instid0(VALU_DEP_4) | instskip(NEXT) | instid1(VALU_DEP_4)
	v_fmac_f32_e32 v37, v42, v36
	v_add_f32_e32 v31, v47, v31
	v_add_f32_e32 v29, v27, v29
	;; [unrolled: 1-line block ×3, first 2 shown]
	s_delay_alu instid0(VALU_DEP_4)
	v_dual_add_f32 v27, v40, v34 :: v_dual_add_f32 v26, v39, v37
	s_wait_alu 0xfffe
	s_cbranch_vccz .LBB253_15
.LBB253_7:                              ;   Parent Loop BB253_4 Depth=1
                                        ; =>  This Inner Loop Header: Depth=2
	s_wait_alu 0xfffe
	v_add_co_u32 v34, s28, v16, s20
	s_wait_alu 0xf1ff
	v_add_co_ci_u32_e64 v35, null, 0, s21, s28
	s_delay_alu instid0(VALU_DEP_1)
	v_cmp_le_i64_e32 vcc_lo, s[12:13], v[34:35]
	s_or_b32 s28, s27, vcc_lo
	s_wait_alu 0xfffe
	s_and_saveexec_b32 s29, s28
	s_wait_alu 0xfffe
	s_xor_b32 s28, exec_lo, s29
; %bb.8:                                ;   in Loop: Header=BB253_7 Depth=2
	v_mov_b32_e32 v1, v0
	ds_store_b64 v18, v[0:1]
; %bb.9:                                ;   in Loop: Header=BB253_7 Depth=2
	s_wait_alu 0xfffe
	s_and_not1_saveexec_b32 s28, s28
	s_cbranch_execz .LBB253_11
; %bb.10:                               ;   in Loop: Header=BB253_7 Depth=2
	flat_load_b64 v[34:35], v[14:15]
	s_wait_loadcnt_dscnt 0x0
	ds_store_b64 v18, v[34:35]
.LBB253_11:                             ;   in Loop: Header=BB253_7 Depth=2
	s_wait_alu 0xfffe
	s_or_b32 exec_lo, exec_lo, s28
	v_add_co_u32 v34, s28, v17, s20
	s_wait_alu 0xf1ff
	v_add_co_ci_u32_e64 v35, null, 0, s21, s28
	s_delay_alu instid0(VALU_DEP_1)
	v_cmp_le_i64_e32 vcc_lo, s[12:13], v[34:35]
	s_or_b32 s28, vcc_lo, s36
	s_wait_alu 0xfffe
	s_and_saveexec_b32 s29, s28
	s_wait_alu 0xfffe
	s_xor_b32 s28, exec_lo, s29
; %bb.12:                               ;   in Loop: Header=BB253_7 Depth=2
	v_mov_b32_e32 v1, v0
	ds_store_b64 v19, v[0:1]
; %bb.13:                               ;   in Loop: Header=BB253_7 Depth=2
	s_wait_alu 0xfffe
	s_and_not1_saveexec_b32 s28, s28
	s_cbranch_execz .LBB253_6
; %bb.14:                               ;   in Loop: Header=BB253_7 Depth=2
	flat_load_b64 v[34:35], v[12:13]
	s_wait_loadcnt_dscnt 0x0
	ds_store_b64 v19, v[34:35]
	s_branch .LBB253_6
.LBB253_15:                             ;   in Loop: Header=BB253_4 Depth=1
	s_wait_loadcnt 0x0
	s_wait_alu 0xfffe
	v_add_co_u32 v1, vcc_lo, v10, s4
	s_wait_alu 0xfffd
	v_add_co_ci_u32_e64 v12, null, s5, v11, vcc_lo
	s_and_not1_b32 vcc_lo, exec_lo, s44
	s_mov_b32 s20, -1
	s_wait_alu 0xfffe
	s_cbranch_vccz .LBB253_17
; %bb.16:                               ;   in Loop: Header=BB253_4 Depth=1
	s_and_not1_b32 vcc_lo, exec_lo, s20
	s_wait_alu 0xfffe
	s_cbranch_vccnz .LBB253_3
	s_branch .LBB253_28
.LBB253_17:                             ;   in Loop: Header=BB253_4 Depth=1
	s_and_saveexec_b32 s20, s0
	s_cbranch_execz .LBB253_27
; %bb.18:                               ;   in Loop: Header=BB253_4 Depth=1
	v_add_co_u32 v10, vcc_lo, v1, v4
	s_wait_alu 0xfffd
	v_add_co_ci_u32_e64 v11, null, v12, v5, vcc_lo
	s_and_saveexec_b32 s21, s1
	s_cbranch_execnz .LBB253_21
; %bb.19:                               ;   in Loop: Header=BB253_4 Depth=1
	s_wait_alu 0xfffe
	s_or_b32 exec_lo, exec_lo, s21
	s_and_saveexec_b32 s21, s2
	s_cbranch_execnz .LBB253_22
.LBB253_20:                             ;   in Loop: Header=BB253_4 Depth=1
	s_wait_alu 0xfffe
	s_or_b32 exec_lo, exec_lo, s21
	s_delay_alu instid0(SALU_CYCLE_1)
	s_and_b32 exec_lo, exec_lo, s3
	s_cbranch_execnz .LBB253_23
	s_branch .LBB253_27
.LBB253_21:                             ;   in Loop: Header=BB253_4 Depth=1
	v_mul_f32_e32 v14, s14, v33
	v_mul_f32_e32 v13, s15, v33
	v_add_co_u32 v34, vcc_lo, v10, v6
	s_wait_alu 0xfffd
	v_add_co_ci_u32_e64 v35, null, v11, v7, vcc_lo
	v_fmac_f32_e32 v14, s15, v32
	v_fma_f32 v13, v32, s14, -v13
	flat_store_b64 v[34:35], v[13:14]
	s_wait_alu 0xfffe
	s_or_b32 exec_lo, exec_lo, s21
	s_and_saveexec_b32 s21, s2
	s_cbranch_execz .LBB253_20
.LBB253_22:                             ;   in Loop: Header=BB253_4 Depth=1
	v_mul_f32_e32 v14, s14, v31
	v_mul_f32_e32 v13, s15, v31
	v_add_co_u32 v34, vcc_lo, v10, v6
	s_wait_alu 0xfffd
	v_add_co_ci_u32_e64 v35, null, v11, v7, vcc_lo
	v_fmac_f32_e32 v14, s15, v30
	v_fma_f32 v13, v30, s14, -v13
	flat_store_b64 v[34:35], v[13:14] offset:128
	s_wait_alu 0xfffe
	s_or_b32 exec_lo, exec_lo, s21
	s_delay_alu instid0(SALU_CYCLE_1)
	s_and_b32 exec_lo, exec_lo, s3
	s_cbranch_execz .LBB253_27
.LBB253_23:                             ;   in Loop: Header=BB253_4 Depth=1
	s_lshl_b64 s[28:29], s[8:9], 3
	s_wait_alu 0xfffe
	v_add_co_u32 v10, vcc_lo, v10, s28
	s_wait_alu 0xfffd
	v_add_co_ci_u32_e64 v11, null, s29, v11, vcc_lo
	s_delay_alu instid0(VALU_DEP_2) | instskip(SKIP_1) | instid1(VALU_DEP_2)
	v_add_co_u32 v10, vcc_lo, v10, v6
	s_wait_alu 0xfffd
	v_add_co_ci_u32_e64 v11, null, v11, v7, vcc_lo
	s_and_saveexec_b32 s21, s1
	s_cbranch_execz .LBB253_25
; %bb.24:                               ;   in Loop: Header=BB253_4 Depth=1
	v_mul_f32_e32 v14, s14, v29
	s_delay_alu instid0(VALU_DEP_1) | instskip(NEXT) | instid1(VALU_DEP_1)
	v_dual_mul_f32 v13, s15, v29 :: v_dual_fmac_f32 v14, s15, v28
	v_fma_f32 v13, v28, s14, -v13
	flat_store_b64 v[10:11], v[13:14]
.LBB253_25:                             ;   in Loop: Header=BB253_4 Depth=1
	s_wait_alu 0xfffe
	s_or_b32 exec_lo, exec_lo, s21
	s_delay_alu instid0(SALU_CYCLE_1)
	s_and_b32 exec_lo, exec_lo, s2
	s_cbranch_execz .LBB253_27
; %bb.26:                               ;   in Loop: Header=BB253_4 Depth=1
	v_mul_f32_e32 v14, s14, v26
	s_delay_alu instid0(VALU_DEP_1) | instskip(NEXT) | instid1(VALU_DEP_1)
	v_dual_mul_f32 v13, s15, v26 :: v_dual_fmac_f32 v14, s15, v27
	v_fma_f32 v13, v27, s14, -v13
	flat_store_b64 v[10:11], v[13:14] offset:128
.LBB253_27:                             ;   in Loop: Header=BB253_4 Depth=1
	s_wait_alu 0xfffe
	s_or_b32 exec_lo, exec_lo, s20
	s_cbranch_execnz .LBB253_3
.LBB253_28:                             ;   in Loop: Header=BB253_4 Depth=1
	s_and_saveexec_b32 s20, s0
	s_cbranch_execz .LBB253_2
; %bb.29:                               ;   in Loop: Header=BB253_4 Depth=1
	v_add_co_u32 v8, vcc_lo, v8, s10
	s_wait_alu 0xfffd
	v_add_co_ci_u32_e64 v10, null, s11, v9, vcc_lo
	s_delay_alu instid0(VALU_DEP_2) | instskip(SKIP_1) | instid1(VALU_DEP_2)
	v_add_co_u32 v9, vcc_lo, v8, v2
	s_wait_alu 0xfffd
	v_add_co_ci_u32_e64 v10, null, v10, v3, vcc_lo
	v_add_co_u32 v1, vcc_lo, v1, v4
	s_wait_alu 0xfffd
	v_add_co_ci_u32_e64 v8, null, v12, v5, vcc_lo
	s_and_saveexec_b32 s21, s1
	s_cbranch_execnz .LBB253_32
; %bb.30:                               ;   in Loop: Header=BB253_4 Depth=1
	s_wait_alu 0xfffe
	s_or_b32 exec_lo, exec_lo, s21
	s_and_saveexec_b32 s21, s2
	s_cbranch_execnz .LBB253_33
.LBB253_31:                             ;   in Loop: Header=BB253_4 Depth=1
	s_wait_alu 0xfffe
	s_or_b32 exec_lo, exec_lo, s21
	s_delay_alu instid0(SALU_CYCLE_1)
	s_and_b32 exec_lo, exec_lo, s3
	s_cbranch_execz .LBB253_2
	s_branch .LBB253_34
.LBB253_32:                             ;   in Loop: Header=BB253_4 Depth=1
	v_add_co_u32 v11, vcc_lo, v9, v6
	s_wait_alu 0xfffd
	v_add_co_ci_u32_e64 v12, null, v10, v7, vcc_lo
	flat_load_b64 v[11:12], v[11:12]
	v_mul_f32_e32 v13, s15, v33
	s_wait_loadcnt_dscnt 0x0
	v_dual_mul_f32 v14, s14, v33 :: v_dual_mul_f32 v15, s35, v12
	v_mul_f32_e32 v12, s34, v12
	s_delay_alu instid0(VALU_DEP_3) | instskip(NEXT) | instid1(VALU_DEP_3)
	v_fma_f32 v13, v32, s14, -v13
	v_fma_f32 v15, v11, s34, -v15
	s_delay_alu instid0(VALU_DEP_4) | instskip(NEXT) | instid1(VALU_DEP_4)
	v_fmac_f32_e32 v14, s15, v32
	v_fmac_f32_e32 v12, s35, v11
	s_delay_alu instid0(VALU_DEP_3) | instskip(SKIP_1) | instid1(VALU_DEP_3)
	v_add_f32_e32 v11, v13, v15
	v_add_co_u32 v13, vcc_lo, v1, v6
	v_add_f32_e32 v12, v14, v12
	s_wait_alu 0xfffd
	v_add_co_ci_u32_e64 v14, null, v8, v7, vcc_lo
	flat_store_b64 v[13:14], v[11:12]
	s_wait_alu 0xfffe
	s_or_b32 exec_lo, exec_lo, s21
	s_and_saveexec_b32 s21, s2
	s_cbranch_execz .LBB253_31
.LBB253_33:                             ;   in Loop: Header=BB253_4 Depth=1
	v_add_co_u32 v11, vcc_lo, v9, v6
	s_wait_alu 0xfffd
	v_add_co_ci_u32_e64 v12, null, v10, v7, vcc_lo
	flat_load_b64 v[11:12], v[11:12] offset:128
	v_mul_f32_e32 v13, s15, v31
	s_wait_loadcnt_dscnt 0x0
	v_dual_mul_f32 v14, s14, v31 :: v_dual_mul_f32 v15, s35, v12
	v_mul_f32_e32 v12, s34, v12
	s_delay_alu instid0(VALU_DEP_3) | instskip(NEXT) | instid1(VALU_DEP_3)
	v_fma_f32 v13, v30, s14, -v13
	v_fma_f32 v15, v11, s34, -v15
	s_delay_alu instid0(VALU_DEP_4) | instskip(NEXT) | instid1(VALU_DEP_4)
	v_fmac_f32_e32 v14, s15, v30
	v_fmac_f32_e32 v12, s35, v11
	s_delay_alu instid0(VALU_DEP_3) | instskip(SKIP_1) | instid1(VALU_DEP_3)
	v_add_f32_e32 v11, v13, v15
	v_add_co_u32 v13, vcc_lo, v1, v6
	v_add_f32_e32 v12, v14, v12
	s_wait_alu 0xfffd
	v_add_co_ci_u32_e64 v14, null, v8, v7, vcc_lo
	flat_store_b64 v[13:14], v[11:12] offset:128
	s_wait_alu 0xfffe
	s_or_b32 exec_lo, exec_lo, s21
	s_delay_alu instid0(SALU_CYCLE_1)
	s_and_b32 exec_lo, exec_lo, s3
	s_cbranch_execz .LBB253_2
.LBB253_34:                             ;   in Loop: Header=BB253_4 Depth=1
	v_add_co_u32 v9, vcc_lo, v9, s18
	s_lshl_b64 s[28:29], s[8:9], 3
	s_wait_alu 0xfffd
	v_add_co_ci_u32_e64 v11, null, s19, v10, vcc_lo
	s_wait_alu 0xfffe
	v_add_co_u32 v1, vcc_lo, v1, s28
	s_wait_alu 0xfffd
	v_add_co_ci_u32_e64 v12, null, s29, v8, vcc_lo
	v_add_co_u32 v10, vcc_lo, v9, v6
	s_wait_alu 0xfffd
	v_add_co_ci_u32_e64 v11, null, v11, v7, vcc_lo
	v_add_co_u32 v8, vcc_lo, v1, v6
	s_wait_alu 0xfffd
	v_add_co_ci_u32_e64 v9, null, v12, v7, vcc_lo
	s_and_saveexec_b32 s21, s1
	s_cbranch_execz .LBB253_36
; %bb.35:                               ;   in Loop: Header=BB253_4 Depth=1
	flat_load_b64 v[12:13], v[10:11]
	s_wait_loadcnt_dscnt 0x0
	v_mul_f32_e32 v15, s35, v13
	s_delay_alu instid0(VALU_DEP_1) | instskip(SKIP_1) | instid1(VALU_DEP_1)
	v_fma_f32 v15, v12, s34, -v15
	v_mul_f32_e32 v13, s34, v13
	v_dual_mul_f32 v14, s14, v29 :: v_dual_fmac_f32 v13, s35, v12
	s_delay_alu instid0(VALU_DEP_1) | instskip(NEXT) | instid1(VALU_DEP_1)
	v_dual_mul_f32 v1, s15, v29 :: v_dual_fmac_f32 v14, s15, v28
	v_fma_f32 v1, v28, s14, -v1
	s_delay_alu instid0(VALU_DEP_1)
	v_dual_add_f32 v13, v14, v13 :: v_dual_add_f32 v12, v1, v15
	flat_store_b64 v[8:9], v[12:13]
.LBB253_36:                             ;   in Loop: Header=BB253_4 Depth=1
	s_wait_alu 0xfffe
	s_or_b32 exec_lo, exec_lo, s21
	s_delay_alu instid0(SALU_CYCLE_1)
	s_and_b32 exec_lo, exec_lo, s2
	s_cbranch_execz .LBB253_2
; %bb.37:                               ;   in Loop: Header=BB253_4 Depth=1
	flat_load_b64 v[10:11], v[10:11] offset:128
	s_wait_loadcnt_dscnt 0x0
	v_dual_mul_f32 v12, s14, v26 :: v_dual_mul_f32 v13, s35, v11
	s_delay_alu instid0(VALU_DEP_1) | instskip(NEXT) | instid1(VALU_DEP_2)
	v_dual_mul_f32 v1, s15, v26 :: v_dual_fmac_f32 v12, s15, v27
	v_fma_f32 v13, v10, s34, -v13
	s_delay_alu instid0(VALU_DEP_2) | instskip(SKIP_1) | instid1(VALU_DEP_1)
	v_fma_f32 v1, v27, s14, -v1
	v_mul_f32_e32 v11, s34, v11
	v_dual_fmac_f32 v11, s35, v10 :: v_dual_add_f32 v10, v1, v13
	s_delay_alu instid0(VALU_DEP_1)
	v_add_f32_e32 v11, v12, v11
	flat_store_b64 v[8:9], v[10:11] offset:128
	s_branch .LBB253_2
.LBB253_38:
	s_endpgm
	.section	.rodata,"a",@progbits
	.p2align	6, 0x0
	.amdhsa_kernel _ZN12_GLOBAL__N_135rocblas_gemm_batched_general_kernelI19rocblas_complex_numIfELi16ELi16ELi32ELi32ELi8ELi32ELi8ELi8ELi32ELc84ELc78EKPKS2_S5_KPS2_EEvlllT_PT11_llSA_llS8_PT12_llPT13_lli
		.amdhsa_group_segment_fixed_size 4096
		.amdhsa_private_segment_fixed_size 0
		.amdhsa_kernarg_size 140
		.amdhsa_user_sgpr_count 2
		.amdhsa_user_sgpr_dispatch_ptr 0
		.amdhsa_user_sgpr_queue_ptr 0
		.amdhsa_user_sgpr_kernarg_segment_ptr 1
		.amdhsa_user_sgpr_dispatch_id 0
		.amdhsa_user_sgpr_private_segment_size 0
		.amdhsa_wavefront_size32 1
		.amdhsa_uses_dynamic_stack 0
		.amdhsa_enable_private_segment 0
		.amdhsa_system_sgpr_workgroup_id_x 1
		.amdhsa_system_sgpr_workgroup_id_y 1
		.amdhsa_system_sgpr_workgroup_id_z 1
		.amdhsa_system_sgpr_workgroup_info 0
		.amdhsa_system_vgpr_workitem_id 1
		.amdhsa_next_free_vgpr 71
		.amdhsa_next_free_sgpr 46
		.amdhsa_reserve_vcc 1
		.amdhsa_float_round_mode_32 0
		.amdhsa_float_round_mode_16_64 0
		.amdhsa_float_denorm_mode_32 3
		.amdhsa_float_denorm_mode_16_64 3
		.amdhsa_fp16_overflow 0
		.amdhsa_workgroup_processor_mode 1
		.amdhsa_memory_ordered 1
		.amdhsa_forward_progress 1
		.amdhsa_inst_pref_size 28
		.amdhsa_round_robin_scheduling 0
		.amdhsa_exception_fp_ieee_invalid_op 0
		.amdhsa_exception_fp_denorm_src 0
		.amdhsa_exception_fp_ieee_div_zero 0
		.amdhsa_exception_fp_ieee_overflow 0
		.amdhsa_exception_fp_ieee_underflow 0
		.amdhsa_exception_fp_ieee_inexact 0
		.amdhsa_exception_int_div_zero 0
	.end_amdhsa_kernel
	.section	.text._ZN12_GLOBAL__N_135rocblas_gemm_batched_general_kernelI19rocblas_complex_numIfELi16ELi16ELi32ELi32ELi8ELi32ELi8ELi8ELi32ELc84ELc78EKPKS2_S5_KPS2_EEvlllT_PT11_llSA_llS8_PT12_llPT13_lli,"axG",@progbits,_ZN12_GLOBAL__N_135rocblas_gemm_batched_general_kernelI19rocblas_complex_numIfELi16ELi16ELi32ELi32ELi8ELi32ELi8ELi8ELi32ELc84ELc78EKPKS2_S5_KPS2_EEvlllT_PT11_llSA_llS8_PT12_llPT13_lli,comdat
.Lfunc_end253:
	.size	_ZN12_GLOBAL__N_135rocblas_gemm_batched_general_kernelI19rocblas_complex_numIfELi16ELi16ELi32ELi32ELi8ELi32ELi8ELi8ELi32ELc84ELc78EKPKS2_S5_KPS2_EEvlllT_PT11_llSA_llS8_PT12_llPT13_lli, .Lfunc_end253-_ZN12_GLOBAL__N_135rocblas_gemm_batched_general_kernelI19rocblas_complex_numIfELi16ELi16ELi32ELi32ELi8ELi32ELi8ELi8ELi32ELc84ELc78EKPKS2_S5_KPS2_EEvlllT_PT11_llSA_llS8_PT12_llPT13_lli
                                        ; -- End function
	.set _ZN12_GLOBAL__N_135rocblas_gemm_batched_general_kernelI19rocblas_complex_numIfELi16ELi16ELi32ELi32ELi8ELi32ELi8ELi8ELi32ELc84ELc78EKPKS2_S5_KPS2_EEvlllT_PT11_llSA_llS8_PT12_llPT13_lli.num_vgpr, 71
	.set _ZN12_GLOBAL__N_135rocblas_gemm_batched_general_kernelI19rocblas_complex_numIfELi16ELi16ELi32ELi32ELi8ELi32ELi8ELi8ELi32ELc84ELc78EKPKS2_S5_KPS2_EEvlllT_PT11_llSA_llS8_PT12_llPT13_lli.num_agpr, 0
	.set _ZN12_GLOBAL__N_135rocblas_gemm_batched_general_kernelI19rocblas_complex_numIfELi16ELi16ELi32ELi32ELi8ELi32ELi8ELi8ELi32ELc84ELc78EKPKS2_S5_KPS2_EEvlllT_PT11_llSA_llS8_PT12_llPT13_lli.numbered_sgpr, 46
	.set _ZN12_GLOBAL__N_135rocblas_gemm_batched_general_kernelI19rocblas_complex_numIfELi16ELi16ELi32ELi32ELi8ELi32ELi8ELi8ELi32ELc84ELc78EKPKS2_S5_KPS2_EEvlllT_PT11_llSA_llS8_PT12_llPT13_lli.num_named_barrier, 0
	.set _ZN12_GLOBAL__N_135rocblas_gemm_batched_general_kernelI19rocblas_complex_numIfELi16ELi16ELi32ELi32ELi8ELi32ELi8ELi8ELi32ELc84ELc78EKPKS2_S5_KPS2_EEvlllT_PT11_llSA_llS8_PT12_llPT13_lli.private_seg_size, 0
	.set _ZN12_GLOBAL__N_135rocblas_gemm_batched_general_kernelI19rocblas_complex_numIfELi16ELi16ELi32ELi32ELi8ELi32ELi8ELi8ELi32ELc84ELc78EKPKS2_S5_KPS2_EEvlllT_PT11_llSA_llS8_PT12_llPT13_lli.uses_vcc, 1
	.set _ZN12_GLOBAL__N_135rocblas_gemm_batched_general_kernelI19rocblas_complex_numIfELi16ELi16ELi32ELi32ELi8ELi32ELi8ELi8ELi32ELc84ELc78EKPKS2_S5_KPS2_EEvlllT_PT11_llSA_llS8_PT12_llPT13_lli.uses_flat_scratch, 0
	.set _ZN12_GLOBAL__N_135rocblas_gemm_batched_general_kernelI19rocblas_complex_numIfELi16ELi16ELi32ELi32ELi8ELi32ELi8ELi8ELi32ELc84ELc78EKPKS2_S5_KPS2_EEvlllT_PT11_llSA_llS8_PT12_llPT13_lli.has_dyn_sized_stack, 0
	.set _ZN12_GLOBAL__N_135rocblas_gemm_batched_general_kernelI19rocblas_complex_numIfELi16ELi16ELi32ELi32ELi8ELi32ELi8ELi8ELi32ELc84ELc78EKPKS2_S5_KPS2_EEvlllT_PT11_llSA_llS8_PT12_llPT13_lli.has_recursion, 0
	.set _ZN12_GLOBAL__N_135rocblas_gemm_batched_general_kernelI19rocblas_complex_numIfELi16ELi16ELi32ELi32ELi8ELi32ELi8ELi8ELi32ELc84ELc78EKPKS2_S5_KPS2_EEvlllT_PT11_llSA_llS8_PT12_llPT13_lli.has_indirect_call, 0
	.section	.AMDGPU.csdata,"",@progbits
; Kernel info:
; codeLenInByte = 3536
; TotalNumSgprs: 48
; NumVgprs: 71
; ScratchSize: 0
; MemoryBound: 1
; FloatMode: 240
; IeeeMode: 1
; LDSByteSize: 4096 bytes/workgroup (compile time only)
; SGPRBlocks: 0
; VGPRBlocks: 8
; NumSGPRsForWavesPerEU: 48
; NumVGPRsForWavesPerEU: 71
; Occupancy: 16
; WaveLimiterHint : 1
; COMPUTE_PGM_RSRC2:SCRATCH_EN: 0
; COMPUTE_PGM_RSRC2:USER_SGPR: 2
; COMPUTE_PGM_RSRC2:TRAP_HANDLER: 0
; COMPUTE_PGM_RSRC2:TGID_X_EN: 1
; COMPUTE_PGM_RSRC2:TGID_Y_EN: 1
; COMPUTE_PGM_RSRC2:TGID_Z_EN: 1
; COMPUTE_PGM_RSRC2:TIDIG_COMP_CNT: 1
	.section	.text._ZN12_GLOBAL__N_135rocblas_gemm_batched_general_kernelI19rocblas_complex_numIfELi16ELi16ELi32ELi32ELi8ELi32ELi8ELi8ELi32ELc78ELc84EKPKS2_S5_KPS2_EEvlllT_PT11_llSA_llS8_PT12_llPT13_lli,"axG",@progbits,_ZN12_GLOBAL__N_135rocblas_gemm_batched_general_kernelI19rocblas_complex_numIfELi16ELi16ELi32ELi32ELi8ELi32ELi8ELi8ELi32ELc78ELc84EKPKS2_S5_KPS2_EEvlllT_PT11_llSA_llS8_PT12_llPT13_lli,comdat
	.globl	_ZN12_GLOBAL__N_135rocblas_gemm_batched_general_kernelI19rocblas_complex_numIfELi16ELi16ELi32ELi32ELi8ELi32ELi8ELi8ELi32ELc78ELc84EKPKS2_S5_KPS2_EEvlllT_PT11_llSA_llS8_PT12_llPT13_lli ; -- Begin function _ZN12_GLOBAL__N_135rocblas_gemm_batched_general_kernelI19rocblas_complex_numIfELi16ELi16ELi32ELi32ELi8ELi32ELi8ELi8ELi32ELc78ELc84EKPKS2_S5_KPS2_EEvlllT_PT11_llSA_llS8_PT12_llPT13_lli
	.p2align	8
	.type	_ZN12_GLOBAL__N_135rocblas_gemm_batched_general_kernelI19rocblas_complex_numIfELi16ELi16ELi32ELi32ELi8ELi32ELi8ELi8ELi32ELc78ELc84EKPKS2_S5_KPS2_EEvlllT_PT11_llSA_llS8_PT12_llPT13_lli,@function
_ZN12_GLOBAL__N_135rocblas_gemm_batched_general_kernelI19rocblas_complex_numIfELi16ELi16ELi32ELi32ELi8ELi32ELi8ELi8ELi32ELc78ELc84EKPKS2_S5_KPS2_EEvlllT_PT11_llSA_llS8_PT12_llPT13_lli: ; @_ZN12_GLOBAL__N_135rocblas_gemm_batched_general_kernelI19rocblas_complex_numIfELi16ELi16ELi32ELi32ELi8ELi32ELi8ELi8ELi32ELc78ELc84EKPKS2_S5_KPS2_EEvlllT_PT11_llSA_llS8_PT12_llPT13_lli
; %bb.0:
	s_load_b32 s33, s[0:1], 0x88
	s_lshr_b32 s6, ttmp7, 16
	s_wait_kmcnt 0x0
	s_cmp_ge_i32 s6, s33
	s_cbranch_scc1 .LBB254_38
; %bb.1:
	s_clause 0x2
	s_load_b256 s[8:15], s[0:1], 0x0
	s_load_b256 s[16:23], s[0:1], 0x20
	s_load_b128 s[36:39], s[0:1], 0x78
	v_bfe_u32 v5, v0, 10, 10
	v_and_b32_e32 v6, 0x3ff, v0
	s_mov_b32 s44, ttmp9
	s_ashr_i32 s45, ttmp9, 31
	s_clause 0x2
	s_load_b256 s[24:31], s[0:1], 0x58
	s_load_b128 s[40:43], s[0:1], 0x40
	s_load_b64 s[34:35], s[0:1], 0x50
	v_lshl_add_u32 v24, v5, 4, v6
	s_lshl_b64 s[0:1], s[44:45], 5
	v_and_b32_e32 v17, 7, v0
	s_and_b32 s5, ttmp7, 0xffff
	s_delay_alu instid0(VALU_DEP_2)
	v_dual_mov_b32 v2, s1 :: v_dual_and_b32 v3, 31, v24
	v_lshrrev_b32_e32 v16, 5, v24
	v_lshrrev_b32_e32 v0, 3, v24
	s_lshl_b32 s2, s5, 5
	v_lshlrev_b32_e32 v7, 3, v17
	v_or_b32_e32 v1, s0, v3
	v_lshl_add_u32 v21, v5, 6, 0x800
	s_wait_kmcnt 0x0
	v_mad_co_u64_u32 v[14:15], null, s18, v16, 0
	v_lshlrev_b32_e32 v25, 3, v3
	v_add_co_u32 v3, s3, v0, s2
	s_wait_alu 0xf1ff
	v_add_co_ci_u32_e64 v4, null, 0, 0, s3
	v_cmp_gt_i64_e32 vcc_lo, s[8:9], v[1:2]
	v_add_co_u32 v1, s2, s2, v5
	s_delay_alu instid0(VALU_DEP_3) | instskip(SKIP_2) | instid1(VALU_DEP_4)
	v_cmp_gt_i64_e64 s4, s[10:11], v[3:4]
	v_lshl_or_b32 v7, v0, 6, v7
	v_mov_b32_e32 v0, 0
	v_mad_co_u64_u32 v[4:5], null, v1, s36, 0
	v_mad_co_u64_u32 v[8:9], null, s40, v17, 0
	s_delay_alu instid0(VALU_DEP_4)
	v_add_nc_u32_e32 v19, 0x800, v7
	v_mad_co_u64_u32 v[12:13], null, v1, s26, 0
	s_or_b32 s3, s34, s35
	v_dual_mov_b32 v3, v5 :: v_dual_lshlrev_b32 v20, 3, v6
	v_mov_b32_e32 v5, v9
	v_add_co_u32 v6, s0, s0, v6
	s_wait_alu 0xf1ff
	v_add_co_ci_u32_e64 v7, null, s1, 0, s0
	v_add_co_ci_u32_e64 v2, null, 0, 0, s2
	s_delay_alu instid0(VALU_DEP_3) | instskip(SKIP_1) | instid1(VALU_DEP_3)
	v_add_co_u32 v10, s0, v6, 16
	s_wait_alu 0xf1ff
	v_add_co_ci_u32_e64 v11, null, 0, v7, s0
	s_wait_alu 0xfffe
	s_bitset0_b32 s3, 31
	v_cmp_gt_i64_e64 s0, s[10:11], v[1:2]
	s_wait_alu 0xfffe
	s_cmp_eq_u32 s3, 0
	v_cmp_gt_i64_e64 s2, s[8:9], v[10:11]
	v_mad_co_u64_u32 v[9:10], null, v1, s37, v[3:4]
	v_mov_b32_e32 v3, v13
	v_mad_co_u64_u32 v[10:11], null, s41, v17, v[5:6]
	v_add_co_u32 v22, s3, v1, 16
	s_wait_alu 0xf1ff
	v_add_co_ci_u32_e64 v23, null, 0, v2, s3
	v_mad_co_u64_u32 v[1:2], null, v1, s27, v[3:4]
	v_dual_mov_b32 v2, v15 :: v_dual_mov_b32 v5, v9
	v_mov_b32_e32 v9, v10
	s_mov_b32 s7, 0
	s_cselect_b32 s46, -1, 0
	s_delay_alu instid0(VALU_DEP_2) | instskip(NEXT) | instid1(VALU_DEP_2)
	v_mad_co_u64_u32 v[2:3], null, s19, v16, v[2:3]
	v_lshlrev_b64_e32 v[8:9], 3, v[8:9]
	v_cmp_gt_i64_e64 s1, s[8:9], v[6:7]
	v_cmp_gt_i64_e64 s3, s[10:11], v[22:23]
	s_lshl_b64 s[8:9], s[36:37], 4
	s_lshl_b32 s10, s5, 8
	s_mov_b32 s11, s7
	s_lshl_b64 s[36:37], s[42:43], 3
	v_mov_b32_e32 v15, v2
	s_wait_alu 0xfffe
	s_add_nc_u64 s[10:11], s[36:37], s[10:11]
	v_mov_b32_e32 v13, v1
	s_wait_alu 0xfffe
	v_add_co_u32 v3, s5, s10, v8
	s_delay_alu instid0(VALU_DEP_1)
	v_add_co_ci_u32_e64 v8, null, s11, v9, s5
	v_and_b32_e32 v9, 0x1ff8, v24
	v_lshlrev_b64_e32 v[1:2], 3, v[14:15]
	s_lshl_b64 s[10:11], s[44:45], 8
	s_lshl_b64 s[20:21], s[20:21], 3
	v_lshl_or_b32 v18, v16, 8, v25
	v_add_co_u32 v22, s5, v3, v9
	s_wait_alu 0xfffe
	s_add_nc_u64 s[10:11], s[20:21], s[10:11]
	v_add_co_ci_u32_e64 v23, null, 0, v8, s5
	s_wait_alu 0xfffe
	v_add_co_u32 v1, s5, s10, v1
	s_wait_alu 0xf1ff
	v_add_co_ci_u32_e64 v2, null, s11, v2, s5
	v_cmp_gt_i64_e64 s36, s[12:13], 0
	s_delay_alu instid0(VALU_DEP_3) | instskip(SKIP_1) | instid1(VALU_DEP_3)
	v_add_co_u32 v24, s5, v1, v25
	s_wait_alu 0xf1ff
	v_add_co_ci_u32_e64 v25, null, 0, v2, s5
	v_lshlrev_b64_e32 v[2:3], 3, v[12:13]
	v_lshlrev_b64_e32 v[4:5], 3, v[4:5]
	;; [unrolled: 1-line block ×3, first 2 shown]
	s_lshl_b64 s[26:27], s[26:27], 4
	s_lshl_b64 s[10:11], s[40:41], 6
	;; [unrolled: 1-line block ×3, first 2 shown]
	s_xor_b32 s37, vcc_lo, -1
	s_xor_b32 s40, s4, -1
	s_lshl_b64 s[4:5], s[38:39], 3
	s_lshl_b64 s[20:21], s[28:29], 3
	s_wait_alu 0xfffe
	s_lshl_b64 s[26:27], s[26:27], 3
	s_branch .LBB254_4
.LBB254_2:                              ;   in Loop: Header=BB254_4 Depth=1
	s_wait_alu 0xfffe
	s_or_b32 exec_lo, exec_lo, s28
.LBB254_3:                              ;   in Loop: Header=BB254_4 Depth=1
	s_add_co_i32 s6, s6, 0x10000
	s_delay_alu instid0(SALU_CYCLE_1)
	s_cmp_lt_i32 s6, s33
	s_cbranch_scc0 .LBB254_38
.LBB254_4:                              ; =>This Loop Header: Depth=1
                                        ;     Child Loop BB254_7 Depth 2
	s_lshl_b64 s[28:29], s[6:7], 3
	v_dual_mov_b32 v32, v0 :: v_dual_mov_b32 v33, v0
	s_wait_alu 0xfffe
	s_add_nc_u64 s[38:39], s[24:25], s[28:29]
	s_add_nc_u64 s[42:43], s[30:31], s[28:29]
	s_clause 0x1
	global_load_b64 v[8:9], v0, s[38:39]
	global_load_b64 v[10:11], v0, s[42:43]
	v_dual_mov_b32 v30, v0 :: v_dual_mov_b32 v31, v0
	v_dual_mov_b32 v28, v0 :: v_dual_mov_b32 v29, v0
	;; [unrolled: 1-line block ×3, first 2 shown]
	s_and_not1_b32 vcc_lo, exec_lo, s36
	s_wait_alu 0xfffe
	s_cbranch_vccnz .LBB254_15
; %bb.5:                                ;   in Loop: Header=BB254_4 Depth=1
	s_add_nc_u64 s[38:39], s[22:23], s[28:29]
	s_add_nc_u64 s[28:29], s[16:17], s[28:29]
	s_clause 0x1
	global_load_b64 v[12:13], v0, s[38:39]
	global_load_b64 v[14:15], v0, s[28:29]
	v_dual_mov_b32 v26, 0 :: v_dual_mov_b32 v27, 0
	v_dual_mov_b32 v29, 0 :: v_dual_mov_b32 v28, 0
	;; [unrolled: 1-line block ×4, first 2 shown]
	s_mov_b64 s[28:29], 0
	s_wait_loadcnt 0x1
	v_add_co_u32 v12, vcc_lo, v12, v22
	s_wait_alu 0xfffd
	v_add_co_ci_u32_e64 v13, null, v13, v23, vcc_lo
	s_wait_loadcnt 0x0
	v_add_co_u32 v14, vcc_lo, v14, v24
	s_wait_alu 0xfffd
	v_add_co_ci_u32_e64 v15, null, v15, v25, vcc_lo
	s_branch .LBB254_7
.LBB254_6:                              ;   in Loop: Header=BB254_7 Depth=2
	s_wait_alu 0xfffe
	s_or_b32 exec_lo, exec_lo, s38
	s_wait_dscnt 0x0
	s_barrier_signal -1
	s_barrier_wait -1
	global_inv scope:SCOPE_SE
	ds_load_b128 v[34:37], v21
	ds_load_2addr_b64 v[38:41], v20 offset1:16
	ds_load_b128 v[42:45], v21 offset:1024
	ds_load_b128 v[46:49], v21 offset:16
	;; [unrolled: 1-line block ×4, first 2 shown]
	ds_load_2addr_b64 v[58:61], v20 offset0:32 offset1:48
	ds_load_b128 v[62:65], v21 offset:1040
	s_add_nc_u64 s[28:29], s[28:29], 8
	v_add_co_u32 v12, vcc_lo, v12, s10
	s_wait_alu 0xfffe
	v_cmp_lt_i64_e64 s38, s[28:29], s[12:13]
	s_wait_alu 0xfffd
	v_add_co_ci_u32_e64 v13, null, s11, v13, vcc_lo
	v_add_co_u32 v14, vcc_lo, v14, s18
	s_wait_alu 0xfffd
	v_add_co_ci_u32_e64 v15, null, s19, v15, vcc_lo
	s_and_b32 vcc_lo, exec_lo, s38
	s_wait_dscnt 0x6
	v_dual_mul_f32 v1, v35, v39 :: v_dual_mul_f32 v68, v34, v41
	v_dual_mul_f32 v66, v34, v39 :: v_dual_mul_f32 v67, v35, v41
	s_wait_dscnt 0x5
	v_mul_f32_e32 v70, v43, v41
	s_delay_alu instid0(VALU_DEP_3) | instskip(SKIP_3) | instid1(VALU_DEP_4)
	v_fma_f32 v1, v34, v38, -v1
	v_dual_mul_f32 v41, v42, v41 :: v_dual_fmac_f32 v68, v35, v40
	v_fmac_f32_e32 v66, v35, v38
	v_fma_f32 v34, v34, v40, -v67
	v_add_f32_e32 v1, v32, v1
	v_mul_f32_e32 v69, v43, v39
	s_delay_alu instid0(VALU_DEP_4) | instskip(NEXT) | instid1(VALU_DEP_4)
	v_dual_mul_f32 v39, v42, v39 :: v_dual_add_f32 v32, v33, v66
	v_add_f32_e32 v33, v30, v34
	v_fmac_f32_e32 v41, v43, v40
	s_delay_alu instid0(VALU_DEP_4) | instskip(NEXT) | instid1(VALU_DEP_4)
	v_fma_f32 v35, v42, v38, -v69
	v_fmac_f32_e32 v39, v43, v38
	v_fma_f32 v38, v42, v40, -v70
	s_wait_dscnt 0x1
	v_dual_mul_f32 v40, v36, v59 :: v_dual_add_f32 v31, v31, v68
	v_mul_f32_e32 v42, v37, v61
	v_add_f32_e32 v34, v28, v35
	v_dual_add_f32 v35, v29, v39 :: v_dual_add_f32 v38, v27, v38
	ds_load_2addr_b64 v[27:30], v20 offset0:64 offset1:80
	v_fmac_f32_e32 v40, v37, v58
	v_dual_mul_f32 v39, v37, v59 :: v_dual_add_f32 v26, v26, v41
	v_mul_f32_e32 v41, v36, v61
	s_delay_alu instid0(VALU_DEP_3) | instskip(NEXT) | instid1(VALU_DEP_3)
	v_add_f32_e32 v40, v32, v40
	v_fma_f32 v39, v36, v58, -v39
	v_fma_f32 v36, v36, v60, -v42
	v_mul_f32_e32 v32, v44, v59
	s_delay_alu instid0(VALU_DEP_3) | instskip(SKIP_1) | instid1(VALU_DEP_4)
	v_add_f32_e32 v1, v1, v39
	v_mul_f32_e32 v39, v45, v59
	v_add_f32_e32 v36, v33, v36
	v_fmac_f32_e32 v41, v37, v60
	v_mul_f32_e32 v37, v45, v61
	v_fmac_f32_e32 v32, v45, v58
	v_fma_f32 v33, v44, v58, -v39
	s_delay_alu instid0(VALU_DEP_4) | instskip(SKIP_4) | instid1(VALU_DEP_3)
	v_add_f32_e32 v39, v31, v41
	v_mul_f32_e32 v41, v44, v61
	v_fma_f32 v31, v44, v60, -v37
	s_wait_dscnt 0x0
	v_dual_add_f32 v42, v34, v33 :: v_dual_mul_f32 v33, v47, v28
	v_dual_mul_f32 v44, v47, v30 :: v_dual_fmac_f32 v41, v45, v60
	v_mul_f32_e32 v37, v46, v28
	v_add_f32_e32 v38, v38, v31
	s_delay_alu instid0(VALU_DEP_3) | instskip(SKIP_3) | instid1(VALU_DEP_2)
	v_add_f32_e32 v41, v26, v41
	v_mul_f32_e32 v26, v46, v30
	v_fma_f32 v43, v46, v27, -v33
	v_fmac_f32_e32 v37, v47, v27
	v_dual_fmac_f32 v26, v47, v29 :: v_dual_add_f32 v1, v1, v43
	v_fma_f32 v43, v46, v29, -v44
	v_add_f32_e32 v35, v35, v32
	ds_load_2addr_b64 v[31:34], v20 offset0:96 offset1:112
	v_dual_add_f32 v37, v40, v37 :: v_dual_mul_f32 v40, v63, v28
	v_mul_f32_e32 v28, v62, v28
	v_dual_add_f32 v36, v36, v43 :: v_dual_mul_f32 v43, v63, v30
	v_mul_f32_e32 v30, v62, v30
	s_delay_alu instid0(VALU_DEP_4) | instskip(NEXT) | instid1(VALU_DEP_4)
	v_fma_f32 v40, v62, v27, -v40
	v_fmac_f32_e32 v28, v63, v27
	v_add_f32_e32 v39, v39, v26
	v_fma_f32 v26, v62, v29, -v43
	v_fmac_f32_e32 v30, v63, v29
	v_add_f32_e32 v40, v42, v40
	s_delay_alu instid0(VALU_DEP_3)
	v_dual_add_f32 v42, v35, v28 :: v_dual_add_f32 v43, v38, v26
	ds_load_2addr_b64 v[26:29], v20 offset0:128 offset1:144
	s_wait_dscnt 0x1
	v_mul_f32_e32 v35, v49, v32
	v_mul_f32_e32 v38, v48, v32
	;; [unrolled: 1-line block ×4, first 2 shown]
	s_delay_alu instid0(VALU_DEP_4) | instskip(NEXT) | instid1(VALU_DEP_4)
	v_fma_f32 v35, v48, v31, -v35
	v_fmac_f32_e32 v38, v49, v31
	s_delay_alu instid0(VALU_DEP_2) | instskip(SKIP_1) | instid1(VALU_DEP_3)
	v_add_f32_e32 v1, v1, v35
	v_mul_f32_e32 v35, v65, v32
	v_dual_mul_f32 v32, v64, v32 :: v_dual_add_f32 v45, v37, v38
	s_delay_alu instid0(VALU_DEP_2) | instskip(NEXT) | instid1(VALU_DEP_2)
	v_fma_f32 v46, v64, v31, -v35
	v_fmac_f32_e32 v32, v65, v31
	s_wait_dscnt 0x0
	v_mul_f32_e32 v31, v51, v27
	v_fma_f32 v44, v48, v33, -v44
	v_add_f32_e32 v41, v41, v30
	v_mul_f32_e32 v30, v48, v34
	v_mul_f32_e32 v58, v50, v29
	s_delay_alu instid0(VALU_DEP_4) | instskip(SKIP_2) | instid1(VALU_DEP_1)
	v_add_f32_e32 v44, v36, v44
	ds_load_b128 v[35:38], v21 offset:1056
	v_dual_fmac_f32 v30, v49, v33 :: v_dual_mul_f32 v49, v50, v27
	v_add_f32_e32 v48, v39, v30
	v_fma_f32 v30, v64, v33, -v47
	v_fma_f32 v39, v50, v26, -v31
	v_mul_f32_e32 v34, v64, v34
	v_fmac_f32_e32 v49, v51, v26
	v_add_f32_e32 v46, v40, v46
	v_add_f32_e32 v43, v43, v30
	;; [unrolled: 1-line block ×4, first 2 shown]
	v_fmac_f32_e32 v34, v65, v33
	ds_load_2addr_b64 v[30:33], v20 offset0:160 offset1:176
	v_mul_f32_e32 v40, v51, v29
	v_add_f32_e32 v45, v45, v49
	v_add_f32_e32 v34, v41, v34
	s_delay_alu instid0(VALU_DEP_3)
	v_fma_f32 v50, v50, v28, -v40
	ds_load_b128 v[39:42], v21 offset:1072
	s_wait_dscnt 0x2
	v_mul_f32_e32 v59, v36, v27
	v_dual_mul_f32 v27, v35, v27 :: v_dual_add_f32 v44, v44, v50
	v_fmac_f32_e32 v58, v51, v28
	v_mul_f32_e32 v50, v36, v29
	s_delay_alu instid0(VALU_DEP_4) | instskip(NEXT) | instid1(VALU_DEP_4)
	v_fma_f32 v49, v35, v26, -v59
	v_fmac_f32_e32 v27, v36, v26
	s_delay_alu instid0(VALU_DEP_4) | instskip(SKIP_1) | instid1(VALU_DEP_3)
	v_dual_mul_f32 v51, v35, v29 :: v_dual_add_f32 v48, v48, v58
	s_wait_dscnt 0x1
	v_dual_add_f32 v46, v46, v49 :: v_dual_mul_f32 v29, v53, v31
	v_fma_f32 v26, v35, v28, -v50
	v_add_f32_e32 v35, v47, v27
	v_fmac_f32_e32 v51, v36, v28
	v_mul_f32_e32 v36, v52, v31
	v_fma_f32 v47, v52, v30, -v29
	v_add_f32_e32 v43, v43, v26
	ds_load_2addr_b64 v[26:29], v20 offset0:192 offset1:208
	v_fmac_f32_e32 v36, v53, v30
	v_dual_mul_f32 v49, v53, v33 :: v_dual_add_f32 v50, v34, v51
	v_dual_add_f32 v1, v1, v47 :: v_dual_mul_f32 v34, v52, v33
	s_delay_alu instid0(VALU_DEP_3) | instskip(NEXT) | instid1(VALU_DEP_3)
	v_dual_add_f32 v45, v45, v36 :: v_dual_mul_f32 v36, v38, v31
	v_fma_f32 v47, v52, v32, -v49
	s_delay_alu instid0(VALU_DEP_3) | instskip(NEXT) | instid1(VALU_DEP_3)
	v_fmac_f32_e32 v34, v53, v32
	v_fma_f32 v36, v37, v30, -v36
	s_delay_alu instid0(VALU_DEP_3) | instskip(SKIP_1) | instid1(VALU_DEP_3)
	v_dual_add_f32 v44, v44, v47 :: v_dual_mul_f32 v47, v38, v33
	v_mul_f32_e32 v31, v37, v31
	v_dual_mul_f32 v33, v37, v33 :: v_dual_add_f32 v46, v46, v36
	s_delay_alu instid0(VALU_DEP_2) | instskip(SKIP_2) | instid1(VALU_DEP_4)
	v_fmac_f32_e32 v31, v38, v30
	v_add_f32_e32 v30, v48, v34
	v_fma_f32 v34, v37, v32, -v47
	v_fmac_f32_e32 v33, v38, v32
	s_wait_dscnt 0x0
	v_mul_f32_e32 v38, v54, v27
	v_dual_add_f32 v31, v35, v31 :: v_dual_mul_f32 v48, v54, v29
	v_add_f32_e32 v32, v43, v34
	ds_load_2addr_b64 v[34:37], v20 offset0:224 offset1:240
	v_dual_add_f32 v33, v50, v33 :: v_dual_fmac_f32 v38, v55, v26
	v_mul_f32_e32 v47, v55, v27
	v_fmac_f32_e32 v48, v55, v28
	s_wait_loadcnt_dscnt 0x0
	s_barrier_signal -1
	v_add_f32_e32 v38, v45, v38
	v_fma_f32 v43, v54, v26, -v47
	v_mul_f32_e32 v47, v55, v29
	v_mul_f32_e32 v45, v40, v29
	;; [unrolled: 1-line block ×3, first 2 shown]
	s_barrier_wait -1
	v_add_f32_e32 v1, v1, v43
	v_fma_f32 v47, v54, v28, -v47
	v_mul_f32_e32 v43, v40, v27
	v_fmac_f32_e32 v29, v40, v28
	global_inv scope:SCOPE_SE
	v_dual_add_f32 v44, v44, v47 :: v_dual_add_f32 v47, v30, v48
	v_fma_f32 v30, v39, v28, -v45
	v_mul_f32_e32 v27, v39, v27
	s_delay_alu instid0(VALU_DEP_1) | instskip(NEXT) | instid1(VALU_DEP_3)
	v_fmac_f32_e32 v27, v40, v26
	v_add_f32_e32 v40, v32, v30
	v_mul_f32_e32 v30, v57, v37
	v_fma_f32 v43, v39, v26, -v43
	v_mul_f32_e32 v39, v57, v35
	s_delay_alu instid0(VALU_DEP_2) | instskip(NEXT) | instid1(VALU_DEP_2)
	v_add_f32_e32 v26, v46, v43
	v_fma_f32 v28, v56, v34, -v39
	v_add_f32_e32 v39, v33, v29
	v_mul_f32_e32 v29, v41, v35
	s_delay_alu instid0(VALU_DEP_3) | instskip(SKIP_4) | instid1(VALU_DEP_4)
	v_add_f32_e32 v32, v1, v28
	v_fma_f32 v1, v56, v36, -v30
	v_mul_f32_e32 v28, v42, v35
	v_add_f32_e32 v27, v31, v27
	v_mul_f32_e32 v31, v56, v37
	v_dual_fmac_f32 v29, v42, v34 :: v_dual_add_f32 v30, v44, v1
	s_delay_alu instid0(VALU_DEP_4) | instskip(SKIP_3) | instid1(VALU_DEP_4)
	v_fma_f32 v1, v41, v34, -v28
	v_mul_f32_e32 v43, v56, v35
	v_mul_f32_e32 v35, v42, v37
	;; [unrolled: 1-line block ×3, first 2 shown]
	v_dual_fmac_f32 v31, v57, v36 :: v_dual_add_f32 v28, v26, v1
	s_delay_alu instid0(VALU_DEP_4) | instskip(NEXT) | instid1(VALU_DEP_4)
	v_fmac_f32_e32 v43, v57, v34
	v_fma_f32 v34, v41, v36, -v35
	s_delay_alu instid0(VALU_DEP_4) | instskip(NEXT) | instid1(VALU_DEP_4)
	v_fmac_f32_e32 v37, v42, v36
	v_add_f32_e32 v31, v47, v31
	v_add_f32_e32 v29, v27, v29
	;; [unrolled: 1-line block ×3, first 2 shown]
	s_delay_alu instid0(VALU_DEP_4)
	v_dual_add_f32 v27, v40, v34 :: v_dual_add_f32 v26, v39, v37
	s_wait_alu 0xfffe
	s_cbranch_vccz .LBB254_15
.LBB254_7:                              ;   Parent Loop BB254_4 Depth=1
                                        ; =>  This Inner Loop Header: Depth=2
	s_wait_alu 0xfffe
	v_add_co_u32 v34, s38, v16, s28
	s_wait_alu 0xf1ff
	v_add_co_ci_u32_e64 v35, null, 0, s29, s38
	s_delay_alu instid0(VALU_DEP_1)
	v_cmp_le_i64_e32 vcc_lo, s[12:13], v[34:35]
	s_or_b32 s38, s37, vcc_lo
	s_wait_alu 0xfffe
	s_and_saveexec_b32 s39, s38
	s_wait_alu 0xfffe
	s_xor_b32 s38, exec_lo, s39
; %bb.8:                                ;   in Loop: Header=BB254_7 Depth=2
	v_mov_b32_e32 v1, v0
	ds_store_b64 v18, v[0:1]
; %bb.9:                                ;   in Loop: Header=BB254_7 Depth=2
	s_wait_alu 0xfffe
	s_and_not1_saveexec_b32 s38, s38
	s_cbranch_execz .LBB254_11
; %bb.10:                               ;   in Loop: Header=BB254_7 Depth=2
	flat_load_b64 v[34:35], v[14:15]
	s_wait_loadcnt_dscnt 0x0
	ds_store_b64 v18, v[34:35]
.LBB254_11:                             ;   in Loop: Header=BB254_7 Depth=2
	s_wait_alu 0xfffe
	s_or_b32 exec_lo, exec_lo, s38
	v_add_co_u32 v34, s38, v17, s28
	s_wait_alu 0xf1ff
	v_add_co_ci_u32_e64 v35, null, 0, s29, s38
	s_delay_alu instid0(VALU_DEP_1)
	v_cmp_le_i64_e32 vcc_lo, s[12:13], v[34:35]
	s_or_b32 s38, vcc_lo, s40
	s_wait_alu 0xfffe
	s_and_saveexec_b32 s39, s38
	s_wait_alu 0xfffe
	s_xor_b32 s38, exec_lo, s39
; %bb.12:                               ;   in Loop: Header=BB254_7 Depth=2
	v_mov_b32_e32 v1, v0
	ds_store_b64 v19, v[0:1]
; %bb.13:                               ;   in Loop: Header=BB254_7 Depth=2
	s_wait_alu 0xfffe
	s_and_not1_saveexec_b32 s38, s38
	s_cbranch_execz .LBB254_6
; %bb.14:                               ;   in Loop: Header=BB254_7 Depth=2
	flat_load_b64 v[34:35], v[12:13]
	s_wait_loadcnt_dscnt 0x0
	ds_store_b64 v19, v[34:35]
	s_branch .LBB254_6
.LBB254_15:                             ;   in Loop: Header=BB254_4 Depth=1
	s_wait_loadcnt 0x0
	v_add_co_u32 v1, vcc_lo, v10, s4
	s_wait_alu 0xfffd
	v_add_co_ci_u32_e64 v12, null, s5, v11, vcc_lo
	s_and_not1_b32 vcc_lo, exec_lo, s46
	s_mov_b32 s28, -1
	s_wait_alu 0xfffe
	s_cbranch_vccz .LBB254_17
; %bb.16:                               ;   in Loop: Header=BB254_4 Depth=1
	s_and_not1_b32 vcc_lo, exec_lo, s28
	s_wait_alu 0xfffe
	s_cbranch_vccnz .LBB254_3
	s_branch .LBB254_28
.LBB254_17:                             ;   in Loop: Header=BB254_4 Depth=1
	s_and_saveexec_b32 s28, s0
	s_cbranch_execz .LBB254_27
; %bb.18:                               ;   in Loop: Header=BB254_4 Depth=1
	v_add_co_u32 v10, vcc_lo, v1, v4
	s_wait_alu 0xfffd
	v_add_co_ci_u32_e64 v11, null, v12, v5, vcc_lo
	s_and_saveexec_b32 s29, s1
	s_cbranch_execnz .LBB254_21
; %bb.19:                               ;   in Loop: Header=BB254_4 Depth=1
	s_wait_alu 0xfffe
	s_or_b32 exec_lo, exec_lo, s29
	s_and_saveexec_b32 s29, s2
	s_cbranch_execnz .LBB254_22
.LBB254_20:                             ;   in Loop: Header=BB254_4 Depth=1
	s_wait_alu 0xfffe
	s_or_b32 exec_lo, exec_lo, s29
	s_delay_alu instid0(SALU_CYCLE_1)
	s_and_b32 exec_lo, exec_lo, s3
	s_cbranch_execnz .LBB254_23
	s_branch .LBB254_27
.LBB254_21:                             ;   in Loop: Header=BB254_4 Depth=1
	v_mul_f32_e32 v14, s14, v33
	v_mul_f32_e32 v13, s15, v33
	v_add_co_u32 v34, vcc_lo, v10, v6
	s_wait_alu 0xfffd
	v_add_co_ci_u32_e64 v35, null, v11, v7, vcc_lo
	v_fmac_f32_e32 v14, s15, v32
	v_fma_f32 v13, v32, s14, -v13
	flat_store_b64 v[34:35], v[13:14]
	s_wait_alu 0xfffe
	s_or_b32 exec_lo, exec_lo, s29
	s_and_saveexec_b32 s29, s2
	s_cbranch_execz .LBB254_20
.LBB254_22:                             ;   in Loop: Header=BB254_4 Depth=1
	v_mul_f32_e32 v14, s14, v31
	v_mul_f32_e32 v13, s15, v31
	v_add_co_u32 v34, vcc_lo, v10, v6
	s_wait_alu 0xfffd
	v_add_co_ci_u32_e64 v35, null, v11, v7, vcc_lo
	v_fmac_f32_e32 v14, s15, v30
	v_fma_f32 v13, v30, s14, -v13
	flat_store_b64 v[34:35], v[13:14] offset:128
	s_wait_alu 0xfffe
	s_or_b32 exec_lo, exec_lo, s29
	s_delay_alu instid0(SALU_CYCLE_1)
	s_and_b32 exec_lo, exec_lo, s3
	s_cbranch_execz .LBB254_27
.LBB254_23:                             ;   in Loop: Header=BB254_4 Depth=1
	s_lshl_b64 s[38:39], s[8:9], 3
	s_wait_alu 0xfffe
	v_add_co_u32 v10, vcc_lo, v10, s38
	s_wait_alu 0xfffd
	v_add_co_ci_u32_e64 v11, null, s39, v11, vcc_lo
	s_delay_alu instid0(VALU_DEP_2) | instskip(SKIP_1) | instid1(VALU_DEP_2)
	v_add_co_u32 v10, vcc_lo, v10, v6
	s_wait_alu 0xfffd
	v_add_co_ci_u32_e64 v11, null, v11, v7, vcc_lo
	s_and_saveexec_b32 s29, s1
	s_cbranch_execz .LBB254_25
; %bb.24:                               ;   in Loop: Header=BB254_4 Depth=1
	v_mul_f32_e32 v14, s14, v29
	s_delay_alu instid0(VALU_DEP_1) | instskip(NEXT) | instid1(VALU_DEP_1)
	v_dual_mul_f32 v13, s15, v29 :: v_dual_fmac_f32 v14, s15, v28
	v_fma_f32 v13, v28, s14, -v13
	flat_store_b64 v[10:11], v[13:14]
.LBB254_25:                             ;   in Loop: Header=BB254_4 Depth=1
	s_wait_alu 0xfffe
	s_or_b32 exec_lo, exec_lo, s29
	s_delay_alu instid0(SALU_CYCLE_1)
	s_and_b32 exec_lo, exec_lo, s2
	s_cbranch_execz .LBB254_27
; %bb.26:                               ;   in Loop: Header=BB254_4 Depth=1
	v_mul_f32_e32 v14, s14, v26
	s_delay_alu instid0(VALU_DEP_1) | instskip(NEXT) | instid1(VALU_DEP_1)
	v_dual_mul_f32 v13, s15, v26 :: v_dual_fmac_f32 v14, s15, v27
	v_fma_f32 v13, v27, s14, -v13
	flat_store_b64 v[10:11], v[13:14] offset:128
.LBB254_27:                             ;   in Loop: Header=BB254_4 Depth=1
	s_wait_alu 0xfffe
	s_or_b32 exec_lo, exec_lo, s28
	s_cbranch_execnz .LBB254_3
.LBB254_28:                             ;   in Loop: Header=BB254_4 Depth=1
	s_and_saveexec_b32 s28, s0
	s_cbranch_execz .LBB254_2
; %bb.29:                               ;   in Loop: Header=BB254_4 Depth=1
	v_add_co_u32 v8, vcc_lo, v8, s20
	s_wait_alu 0xfffd
	v_add_co_ci_u32_e64 v10, null, s21, v9, vcc_lo
	s_delay_alu instid0(VALU_DEP_2) | instskip(SKIP_1) | instid1(VALU_DEP_2)
	v_add_co_u32 v9, vcc_lo, v8, v2
	s_wait_alu 0xfffd
	v_add_co_ci_u32_e64 v10, null, v10, v3, vcc_lo
	v_add_co_u32 v1, vcc_lo, v1, v4
	s_wait_alu 0xfffd
	v_add_co_ci_u32_e64 v8, null, v12, v5, vcc_lo
	s_and_saveexec_b32 s29, s1
	s_cbranch_execnz .LBB254_32
; %bb.30:                               ;   in Loop: Header=BB254_4 Depth=1
	s_wait_alu 0xfffe
	s_or_b32 exec_lo, exec_lo, s29
	s_and_saveexec_b32 s29, s2
	s_cbranch_execnz .LBB254_33
.LBB254_31:                             ;   in Loop: Header=BB254_4 Depth=1
	s_wait_alu 0xfffe
	s_or_b32 exec_lo, exec_lo, s29
	s_delay_alu instid0(SALU_CYCLE_1)
	s_and_b32 exec_lo, exec_lo, s3
	s_cbranch_execz .LBB254_2
	s_branch .LBB254_34
.LBB254_32:                             ;   in Loop: Header=BB254_4 Depth=1
	v_add_co_u32 v11, vcc_lo, v9, v6
	s_wait_alu 0xfffd
	v_add_co_ci_u32_e64 v12, null, v10, v7, vcc_lo
	flat_load_b64 v[11:12], v[11:12]
	v_mul_f32_e32 v13, s15, v33
	s_wait_loadcnt_dscnt 0x0
	v_dual_mul_f32 v14, s14, v33 :: v_dual_mul_f32 v15, s35, v12
	v_mul_f32_e32 v12, s34, v12
	s_delay_alu instid0(VALU_DEP_3) | instskip(NEXT) | instid1(VALU_DEP_3)
	v_fma_f32 v13, v32, s14, -v13
	v_fma_f32 v15, v11, s34, -v15
	s_delay_alu instid0(VALU_DEP_4) | instskip(NEXT) | instid1(VALU_DEP_4)
	v_fmac_f32_e32 v14, s15, v32
	v_fmac_f32_e32 v12, s35, v11
	s_delay_alu instid0(VALU_DEP_3) | instskip(SKIP_1) | instid1(VALU_DEP_3)
	v_add_f32_e32 v11, v13, v15
	v_add_co_u32 v13, vcc_lo, v1, v6
	v_add_f32_e32 v12, v14, v12
	s_wait_alu 0xfffd
	v_add_co_ci_u32_e64 v14, null, v8, v7, vcc_lo
	flat_store_b64 v[13:14], v[11:12]
	s_wait_alu 0xfffe
	s_or_b32 exec_lo, exec_lo, s29
	s_and_saveexec_b32 s29, s2
	s_cbranch_execz .LBB254_31
.LBB254_33:                             ;   in Loop: Header=BB254_4 Depth=1
	v_add_co_u32 v11, vcc_lo, v9, v6
	s_wait_alu 0xfffd
	v_add_co_ci_u32_e64 v12, null, v10, v7, vcc_lo
	flat_load_b64 v[11:12], v[11:12] offset:128
	v_mul_f32_e32 v13, s15, v31
	s_wait_loadcnt_dscnt 0x0
	v_dual_mul_f32 v14, s14, v31 :: v_dual_mul_f32 v15, s35, v12
	v_mul_f32_e32 v12, s34, v12
	s_delay_alu instid0(VALU_DEP_3) | instskip(NEXT) | instid1(VALU_DEP_3)
	v_fma_f32 v13, v30, s14, -v13
	v_fma_f32 v15, v11, s34, -v15
	s_delay_alu instid0(VALU_DEP_4) | instskip(NEXT) | instid1(VALU_DEP_4)
	v_fmac_f32_e32 v14, s15, v30
	v_fmac_f32_e32 v12, s35, v11
	s_delay_alu instid0(VALU_DEP_3) | instskip(SKIP_1) | instid1(VALU_DEP_3)
	v_add_f32_e32 v11, v13, v15
	v_add_co_u32 v13, vcc_lo, v1, v6
	v_add_f32_e32 v12, v14, v12
	s_wait_alu 0xfffd
	v_add_co_ci_u32_e64 v14, null, v8, v7, vcc_lo
	flat_store_b64 v[13:14], v[11:12] offset:128
	s_wait_alu 0xfffe
	s_or_b32 exec_lo, exec_lo, s29
	s_delay_alu instid0(SALU_CYCLE_1)
	s_and_b32 exec_lo, exec_lo, s3
	s_cbranch_execz .LBB254_2
.LBB254_34:                             ;   in Loop: Header=BB254_4 Depth=1
	v_add_co_u32 v9, vcc_lo, v9, s26
	s_lshl_b64 s[38:39], s[8:9], 3
	s_wait_alu 0xfffd
	v_add_co_ci_u32_e64 v11, null, s27, v10, vcc_lo
	s_wait_alu 0xfffe
	v_add_co_u32 v1, vcc_lo, v1, s38
	s_wait_alu 0xfffd
	v_add_co_ci_u32_e64 v12, null, s39, v8, vcc_lo
	v_add_co_u32 v10, vcc_lo, v9, v6
	s_wait_alu 0xfffd
	v_add_co_ci_u32_e64 v11, null, v11, v7, vcc_lo
	;; [unrolled: 3-line block ×3, first 2 shown]
	s_and_saveexec_b32 s29, s1
	s_cbranch_execz .LBB254_36
; %bb.35:                               ;   in Loop: Header=BB254_4 Depth=1
	flat_load_b64 v[12:13], v[10:11]
	s_wait_loadcnt_dscnt 0x0
	v_mul_f32_e32 v15, s35, v13
	s_delay_alu instid0(VALU_DEP_1) | instskip(SKIP_1) | instid1(VALU_DEP_1)
	v_fma_f32 v15, v12, s34, -v15
	v_mul_f32_e32 v13, s34, v13
	v_dual_mul_f32 v14, s14, v29 :: v_dual_fmac_f32 v13, s35, v12
	s_delay_alu instid0(VALU_DEP_1) | instskip(NEXT) | instid1(VALU_DEP_1)
	v_dual_mul_f32 v1, s15, v29 :: v_dual_fmac_f32 v14, s15, v28
	v_fma_f32 v1, v28, s14, -v1
	s_delay_alu instid0(VALU_DEP_1)
	v_dual_add_f32 v13, v14, v13 :: v_dual_add_f32 v12, v1, v15
	flat_store_b64 v[8:9], v[12:13]
.LBB254_36:                             ;   in Loop: Header=BB254_4 Depth=1
	s_wait_alu 0xfffe
	s_or_b32 exec_lo, exec_lo, s29
	s_delay_alu instid0(SALU_CYCLE_1)
	s_and_b32 exec_lo, exec_lo, s2
	s_cbranch_execz .LBB254_2
; %bb.37:                               ;   in Loop: Header=BB254_4 Depth=1
	flat_load_b64 v[10:11], v[10:11] offset:128
	s_wait_loadcnt_dscnt 0x0
	v_dual_mul_f32 v12, s14, v26 :: v_dual_mul_f32 v13, s35, v11
	s_delay_alu instid0(VALU_DEP_1) | instskip(NEXT) | instid1(VALU_DEP_2)
	v_dual_mul_f32 v1, s15, v26 :: v_dual_fmac_f32 v12, s15, v27
	v_fma_f32 v13, v10, s34, -v13
	s_delay_alu instid0(VALU_DEP_2) | instskip(SKIP_1) | instid1(VALU_DEP_1)
	v_fma_f32 v1, v27, s14, -v1
	v_mul_f32_e32 v11, s34, v11
	v_dual_fmac_f32 v11, s35, v10 :: v_dual_add_f32 v10, v1, v13
	s_delay_alu instid0(VALU_DEP_1)
	v_add_f32_e32 v11, v12, v11
	flat_store_b64 v[8:9], v[10:11] offset:128
	s_branch .LBB254_2
.LBB254_38:
	s_endpgm
	.section	.rodata,"a",@progbits
	.p2align	6, 0x0
	.amdhsa_kernel _ZN12_GLOBAL__N_135rocblas_gemm_batched_general_kernelI19rocblas_complex_numIfELi16ELi16ELi32ELi32ELi8ELi32ELi8ELi8ELi32ELc78ELc84EKPKS2_S5_KPS2_EEvlllT_PT11_llSA_llS8_PT12_llPT13_lli
		.amdhsa_group_segment_fixed_size 4096
		.amdhsa_private_segment_fixed_size 0
		.amdhsa_kernarg_size 140
		.amdhsa_user_sgpr_count 2
		.amdhsa_user_sgpr_dispatch_ptr 0
		.amdhsa_user_sgpr_queue_ptr 0
		.amdhsa_user_sgpr_kernarg_segment_ptr 1
		.amdhsa_user_sgpr_dispatch_id 0
		.amdhsa_user_sgpr_private_segment_size 0
		.amdhsa_wavefront_size32 1
		.amdhsa_uses_dynamic_stack 0
		.amdhsa_enable_private_segment 0
		.amdhsa_system_sgpr_workgroup_id_x 1
		.amdhsa_system_sgpr_workgroup_id_y 1
		.amdhsa_system_sgpr_workgroup_id_z 1
		.amdhsa_system_sgpr_workgroup_info 0
		.amdhsa_system_vgpr_workitem_id 1
		.amdhsa_next_free_vgpr 71
		.amdhsa_next_free_sgpr 47
		.amdhsa_reserve_vcc 1
		.amdhsa_float_round_mode_32 0
		.amdhsa_float_round_mode_16_64 0
		.amdhsa_float_denorm_mode_32 3
		.amdhsa_float_denorm_mode_16_64 3
		.amdhsa_fp16_overflow 0
		.amdhsa_workgroup_processor_mode 1
		.amdhsa_memory_ordered 1
		.amdhsa_forward_progress 1
		.amdhsa_inst_pref_size 28
		.amdhsa_round_robin_scheduling 0
		.amdhsa_exception_fp_ieee_invalid_op 0
		.amdhsa_exception_fp_denorm_src 0
		.amdhsa_exception_fp_ieee_div_zero 0
		.amdhsa_exception_fp_ieee_overflow 0
		.amdhsa_exception_fp_ieee_underflow 0
		.amdhsa_exception_fp_ieee_inexact 0
		.amdhsa_exception_int_div_zero 0
	.end_amdhsa_kernel
	.section	.text._ZN12_GLOBAL__N_135rocblas_gemm_batched_general_kernelI19rocblas_complex_numIfELi16ELi16ELi32ELi32ELi8ELi32ELi8ELi8ELi32ELc78ELc84EKPKS2_S5_KPS2_EEvlllT_PT11_llSA_llS8_PT12_llPT13_lli,"axG",@progbits,_ZN12_GLOBAL__N_135rocblas_gemm_batched_general_kernelI19rocblas_complex_numIfELi16ELi16ELi32ELi32ELi8ELi32ELi8ELi8ELi32ELc78ELc84EKPKS2_S5_KPS2_EEvlllT_PT11_llSA_llS8_PT12_llPT13_lli,comdat
.Lfunc_end254:
	.size	_ZN12_GLOBAL__N_135rocblas_gemm_batched_general_kernelI19rocblas_complex_numIfELi16ELi16ELi32ELi32ELi8ELi32ELi8ELi8ELi32ELc78ELc84EKPKS2_S5_KPS2_EEvlllT_PT11_llSA_llS8_PT12_llPT13_lli, .Lfunc_end254-_ZN12_GLOBAL__N_135rocblas_gemm_batched_general_kernelI19rocblas_complex_numIfELi16ELi16ELi32ELi32ELi8ELi32ELi8ELi8ELi32ELc78ELc84EKPKS2_S5_KPS2_EEvlllT_PT11_llSA_llS8_PT12_llPT13_lli
                                        ; -- End function
	.set _ZN12_GLOBAL__N_135rocblas_gemm_batched_general_kernelI19rocblas_complex_numIfELi16ELi16ELi32ELi32ELi8ELi32ELi8ELi8ELi32ELc78ELc84EKPKS2_S5_KPS2_EEvlllT_PT11_llSA_llS8_PT12_llPT13_lli.num_vgpr, 71
	.set _ZN12_GLOBAL__N_135rocblas_gemm_batched_general_kernelI19rocblas_complex_numIfELi16ELi16ELi32ELi32ELi8ELi32ELi8ELi8ELi32ELc78ELc84EKPKS2_S5_KPS2_EEvlllT_PT11_llSA_llS8_PT12_llPT13_lli.num_agpr, 0
	.set _ZN12_GLOBAL__N_135rocblas_gemm_batched_general_kernelI19rocblas_complex_numIfELi16ELi16ELi32ELi32ELi8ELi32ELi8ELi8ELi32ELc78ELc84EKPKS2_S5_KPS2_EEvlllT_PT11_llSA_llS8_PT12_llPT13_lli.numbered_sgpr, 47
	.set _ZN12_GLOBAL__N_135rocblas_gemm_batched_general_kernelI19rocblas_complex_numIfELi16ELi16ELi32ELi32ELi8ELi32ELi8ELi8ELi32ELc78ELc84EKPKS2_S5_KPS2_EEvlllT_PT11_llSA_llS8_PT12_llPT13_lli.num_named_barrier, 0
	.set _ZN12_GLOBAL__N_135rocblas_gemm_batched_general_kernelI19rocblas_complex_numIfELi16ELi16ELi32ELi32ELi8ELi32ELi8ELi8ELi32ELc78ELc84EKPKS2_S5_KPS2_EEvlllT_PT11_llSA_llS8_PT12_llPT13_lli.private_seg_size, 0
	.set _ZN12_GLOBAL__N_135rocblas_gemm_batched_general_kernelI19rocblas_complex_numIfELi16ELi16ELi32ELi32ELi8ELi32ELi8ELi8ELi32ELc78ELc84EKPKS2_S5_KPS2_EEvlllT_PT11_llSA_llS8_PT12_llPT13_lli.uses_vcc, 1
	.set _ZN12_GLOBAL__N_135rocblas_gemm_batched_general_kernelI19rocblas_complex_numIfELi16ELi16ELi32ELi32ELi8ELi32ELi8ELi8ELi32ELc78ELc84EKPKS2_S5_KPS2_EEvlllT_PT11_llSA_llS8_PT12_llPT13_lli.uses_flat_scratch, 0
	.set _ZN12_GLOBAL__N_135rocblas_gemm_batched_general_kernelI19rocblas_complex_numIfELi16ELi16ELi32ELi32ELi8ELi32ELi8ELi8ELi32ELc78ELc84EKPKS2_S5_KPS2_EEvlllT_PT11_llSA_llS8_PT12_llPT13_lli.has_dyn_sized_stack, 0
	.set _ZN12_GLOBAL__N_135rocblas_gemm_batched_general_kernelI19rocblas_complex_numIfELi16ELi16ELi32ELi32ELi8ELi32ELi8ELi8ELi32ELc78ELc84EKPKS2_S5_KPS2_EEvlllT_PT11_llSA_llS8_PT12_llPT13_lli.has_recursion, 0
	.set _ZN12_GLOBAL__N_135rocblas_gemm_batched_general_kernelI19rocblas_complex_numIfELi16ELi16ELi32ELi32ELi8ELi32ELi8ELi8ELi32ELc78ELc84EKPKS2_S5_KPS2_EEvlllT_PT11_llSA_llS8_PT12_llPT13_lli.has_indirect_call, 0
	.section	.AMDGPU.csdata,"",@progbits
; Kernel info:
; codeLenInByte = 3584
; TotalNumSgprs: 49
; NumVgprs: 71
; ScratchSize: 0
; MemoryBound: 1
; FloatMode: 240
; IeeeMode: 1
; LDSByteSize: 4096 bytes/workgroup (compile time only)
; SGPRBlocks: 0
; VGPRBlocks: 8
; NumSGPRsForWavesPerEU: 49
; NumVGPRsForWavesPerEU: 71
; Occupancy: 16
; WaveLimiterHint : 1
; COMPUTE_PGM_RSRC2:SCRATCH_EN: 0
; COMPUTE_PGM_RSRC2:USER_SGPR: 2
; COMPUTE_PGM_RSRC2:TRAP_HANDLER: 0
; COMPUTE_PGM_RSRC2:TGID_X_EN: 1
; COMPUTE_PGM_RSRC2:TGID_Y_EN: 1
; COMPUTE_PGM_RSRC2:TGID_Z_EN: 1
; COMPUTE_PGM_RSRC2:TIDIG_COMP_CNT: 1
	.section	.text._ZN12_GLOBAL__N_135rocblas_gemm_batched_general_kernelI19rocblas_complex_numIfELi16ELi16ELi32ELi32ELi8ELi32ELi8ELi8ELi32ELc84ELc84EKPKS2_S5_KPS2_EEvlllT_PT11_llSA_llS8_PT12_llPT13_lli,"axG",@progbits,_ZN12_GLOBAL__N_135rocblas_gemm_batched_general_kernelI19rocblas_complex_numIfELi16ELi16ELi32ELi32ELi8ELi32ELi8ELi8ELi32ELc84ELc84EKPKS2_S5_KPS2_EEvlllT_PT11_llSA_llS8_PT12_llPT13_lli,comdat
	.globl	_ZN12_GLOBAL__N_135rocblas_gemm_batched_general_kernelI19rocblas_complex_numIfELi16ELi16ELi32ELi32ELi8ELi32ELi8ELi8ELi32ELc84ELc84EKPKS2_S5_KPS2_EEvlllT_PT11_llSA_llS8_PT12_llPT13_lli ; -- Begin function _ZN12_GLOBAL__N_135rocblas_gemm_batched_general_kernelI19rocblas_complex_numIfELi16ELi16ELi32ELi32ELi8ELi32ELi8ELi8ELi32ELc84ELc84EKPKS2_S5_KPS2_EEvlllT_PT11_llSA_llS8_PT12_llPT13_lli
	.p2align	8
	.type	_ZN12_GLOBAL__N_135rocblas_gemm_batched_general_kernelI19rocblas_complex_numIfELi16ELi16ELi32ELi32ELi8ELi32ELi8ELi8ELi32ELc84ELc84EKPKS2_S5_KPS2_EEvlllT_PT11_llSA_llS8_PT12_llPT13_lli,@function
_ZN12_GLOBAL__N_135rocblas_gemm_batched_general_kernelI19rocblas_complex_numIfELi16ELi16ELi32ELi32ELi8ELi32ELi8ELi8ELi32ELc84ELc84EKPKS2_S5_KPS2_EEvlllT_PT11_llSA_llS8_PT12_llPT13_lli: ; @_ZN12_GLOBAL__N_135rocblas_gemm_batched_general_kernelI19rocblas_complex_numIfELi16ELi16ELi32ELi32ELi8ELi32ELi8ELi8ELi32ELc84ELc84EKPKS2_S5_KPS2_EEvlllT_PT11_llSA_llS8_PT12_llPT13_lli
; %bb.0:
	s_load_b32 s33, s[0:1], 0x88
	s_lshr_b32 s6, ttmp7, 16
	s_wait_kmcnt 0x0
	s_cmp_ge_i32 s6, s33
	s_cbranch_scc1 .LBB255_38
; %bb.1:
	s_mov_b32 s2, ttmp9
	s_ashr_i32 s3, ttmp9, 31
	v_bfe_u32 v6, v0, 10, 10
	s_lshl_b64 s[44:45], s[2:3], 5
	s_delay_alu instid0(SALU_CYCLE_1)
	v_dual_mov_b32 v2, s45 :: v_dual_and_b32 v7, 0x3ff, v0
	s_clause 0x5
	s_load_b256 s[8:15], s[0:1], 0x0
	s_load_b256 s[16:23], s[0:1], 0x20
	s_load_b128 s[36:39], s[0:1], 0x78
	s_load_b128 s[40:43], s[0:1], 0x40
	s_load_b64 s[34:35], s[0:1], 0x50
	s_load_b256 s[24:31], s[0:1], 0x58
	v_lshl_add_u32 v26, v6, 4, v7
	v_and_b32_e32 v17, 7, v0
	s_and_b32 s5, ttmp7, 0xffff
	v_lshl_add_u32 v21, v6, 6, 0x800
	s_lshl_b32 s0, s5, 5
	v_and_b32_e32 v3, 31, v26
	v_lshrrev_b32_e32 v0, 3, v26
	v_lshlrev_b32_e32 v8, 3, v17
	v_lshrrev_b32_e32 v16, 5, v26
	s_mov_b32 s7, 0
	v_or_b32_e32 v1, s44, v3
	v_lshlrev_b32_e32 v5, 3, v3
	v_add_co_u32 v3, s1, v0, s0
	s_wait_alu 0xf1ff
	v_add_co_ci_u32_e64 v4, null, 0, 0, s1
	v_lshl_or_b32 v8, v0, 6, v8
	s_wait_kmcnt 0x0
	v_cmp_gt_i64_e32 vcc_lo, s[8:9], v[1:2]
	v_add_co_u32 v2, s0, s0, v6
	s_or_b32 s1, s34, s35
	v_lshl_or_b32 v18, v16, 8, v5
	v_cmp_gt_i64_e64 s4, s[10:11], v[3:4]
	v_add_nc_u32_e32 v19, 0x800, v8
	v_mad_co_u64_u32 v[4:5], null, v2, s36, 0
	v_mad_co_u64_u32 v[8:9], null, v2, s26, 0
	s_wait_alu 0xfffe
	s_bitset0_b32 s1, 31
	v_mad_co_u64_u32 v[10:11], null, s40, v17, 0
	s_wait_alu 0xfffe
	s_cmp_eq_u32 s1, 0
	v_add_co_u32 v6, s1, s44, v7
	v_lshlrev_b32_e32 v20, 3, v7
	s_wait_alu 0xf1ff
	v_add_co_ci_u32_e64 v7, null, s45, 0, s1
	v_add_co_ci_u32_e64 v3, null, 0, 0, s0
	v_mad_co_u64_u32 v[14:15], null, v2, s37, v[5:6]
	v_mov_b32_e32 v5, v9
	v_add_co_u32 v12, s1, v6, 16
	v_mov_b32_e32 v9, v11
	s_wait_alu 0xf1ff
	v_add_co_ci_u32_e64 v13, null, 0, v7, s1
	v_add_co_u32 v22, s1, v2, 16
	v_cmp_gt_i64_e64 s0, s[10:11], v[2:3]
	s_wait_alu 0xf1ff
	v_add_co_ci_u32_e64 v23, null, 0, v3, s1
	v_mad_co_u64_u32 v[2:3], null, v2, s27, v[5:6]
	v_mad_co_u64_u32 v[24:25], null, s41, v17, v[9:10]
	v_mul_lo_u32 v3, s19, v1
	s_cselect_b32 s46, -1, 0
	v_cmp_gt_i64_e64 s3, s[10:11], v[22:23]
	s_lshl_b32 s10, s5, 8
	v_mov_b32_e32 v9, v2
	v_mad_co_u64_u32 v[1:2], null, s18, v1, 0
	v_mov_b32_e32 v11, v24
	s_mul_i32 s5, s18, s45
	v_cmp_gt_i64_e64 s1, s[8:9], v[6:7]
	v_cmp_gt_i64_e64 s2, s[8:9], v[12:13]
	s_lshl_b64 s[8:9], s[36:37], 4
	v_lshlrev_b64_e32 v[10:11], 3, v[10:11]
	s_mov_b32 s11, s7
	s_lshl_b64 s[36:37], s[42:43], 3
	v_add3_u32 v2, v2, s5, v3
	s_wait_alu 0xfffe
	s_add_nc_u64 s[10:11], s[36:37], s[10:11]
	v_dual_mov_b32 v5, v14 :: v_dual_and_b32 v12, 0x1ff8, v26
	s_wait_alu 0xfffe
	v_add_co_u32 v3, s5, s10, v10
	v_lshlrev_b64_e32 v[1:2], 3, v[1:2]
	s_wait_alu 0xf1ff
	v_add_co_ci_u32_e64 v10, null, s11, v11, s5
	s_delay_alu instid0(VALU_DEP_3)
	v_add_co_u32 v22, s5, v3, v12
	s_lshl_b64 s[10:11], s[20:21], 3
	s_wait_alu 0xf1ff
	v_add_co_ci_u32_e64 v23, null, 0, v10, s5
	v_lshlrev_b32_e32 v3, 3, v16
	s_wait_alu 0xfffe
	v_add_co_u32 v1, s5, v1, s10
	s_wait_alu 0xf1ff
	v_add_co_ci_u32_e64 v2, null, s11, v2, s5
	v_cmp_gt_i64_e64 s36, s[12:13], 0
	s_delay_alu instid0(VALU_DEP_3) | instskip(SKIP_1) | instid1(VALU_DEP_3)
	v_add_co_u32 v24, s5, v1, v3
	s_wait_alu 0xf1ff
	v_add_co_ci_u32_e64 v25, null, 0, v2, s5
	v_lshlrev_b64_e32 v[2:3], 3, v[8:9]
	v_lshlrev_b64_e32 v[4:5], 3, v[4:5]
	;; [unrolled: 1-line block ×3, first 2 shown]
	v_mov_b32_e32 v0, 0
	s_lshl_b64 s[26:27], s[26:27], 4
	s_lshl_b64 s[10:11], s[40:41], 6
	s_xor_b32 s37, vcc_lo, -1
	s_xor_b32 s40, s4, -1
	s_lshl_b64 s[4:5], s[38:39], 3
	s_lshl_b64 s[18:19], s[28:29], 3
	s_wait_alu 0xfffe
	s_lshl_b64 s[20:21], s[26:27], 3
	s_branch .LBB255_4
.LBB255_2:                              ;   in Loop: Header=BB255_4 Depth=1
	s_wait_alu 0xfffe
	s_or_b32 exec_lo, exec_lo, s26
.LBB255_3:                              ;   in Loop: Header=BB255_4 Depth=1
	s_add_co_i32 s6, s6, 0x10000
	s_delay_alu instid0(SALU_CYCLE_1)
	s_cmp_lt_i32 s6, s33
	s_cbranch_scc0 .LBB255_38
.LBB255_4:                              ; =>This Loop Header: Depth=1
                                        ;     Child Loop BB255_7 Depth 2
	s_lshl_b64 s[26:27], s[6:7], 3
	v_dual_mov_b32 v32, v0 :: v_dual_mov_b32 v33, v0
	s_wait_alu 0xfffe
	s_add_nc_u64 s[28:29], s[24:25], s[26:27]
	s_add_nc_u64 s[38:39], s[30:31], s[26:27]
	s_clause 0x1
	global_load_b64 v[8:9], v0, s[28:29]
	global_load_b64 v[10:11], v0, s[38:39]
	v_dual_mov_b32 v30, v0 :: v_dual_mov_b32 v31, v0
	v_dual_mov_b32 v28, v0 :: v_dual_mov_b32 v29, v0
	v_dual_mov_b32 v27, v0 :: v_dual_mov_b32 v26, v0
	s_and_not1_b32 vcc_lo, exec_lo, s36
	s_wait_alu 0xfffe
	s_cbranch_vccnz .LBB255_15
; %bb.5:                                ;   in Loop: Header=BB255_4 Depth=1
	s_add_nc_u64 s[28:29], s[22:23], s[26:27]
	s_add_nc_u64 s[26:27], s[16:17], s[26:27]
	s_clause 0x1
	global_load_b64 v[12:13], v0, s[28:29]
	global_load_b64 v[14:15], v0, s[26:27]
	v_dual_mov_b32 v26, 0 :: v_dual_mov_b32 v27, 0
	v_dual_mov_b32 v29, 0 :: v_dual_mov_b32 v28, 0
	;; [unrolled: 1-line block ×4, first 2 shown]
	s_mov_b64 s[26:27], 0
	s_wait_loadcnt 0x1
	v_add_co_u32 v12, vcc_lo, v12, v22
	s_wait_alu 0xfffd
	v_add_co_ci_u32_e64 v13, null, v13, v23, vcc_lo
	s_wait_loadcnt 0x0
	v_add_co_u32 v14, vcc_lo, v14, v24
	s_wait_alu 0xfffd
	v_add_co_ci_u32_e64 v15, null, v15, v25, vcc_lo
	s_branch .LBB255_7
.LBB255_6:                              ;   in Loop: Header=BB255_7 Depth=2
	s_wait_alu 0xfffe
	s_or_b32 exec_lo, exec_lo, s28
	s_wait_dscnt 0x0
	s_barrier_signal -1
	s_barrier_wait -1
	global_inv scope:SCOPE_SE
	ds_load_b128 v[34:37], v21
	ds_load_2addr_b64 v[38:41], v20 offset1:16
	ds_load_b128 v[42:45], v21 offset:1024
	ds_load_b128 v[46:49], v21 offset:16
	;; [unrolled: 1-line block ×4, first 2 shown]
	ds_load_2addr_b64 v[58:61], v20 offset0:32 offset1:48
	ds_load_b128 v[62:65], v21 offset:1040
	s_add_nc_u64 s[26:27], s[26:27], 8
	v_add_co_u32 v12, vcc_lo, v12, s10
	s_wait_alu 0xfffe
	v_cmp_lt_i64_e64 s28, s[26:27], s[12:13]
	s_wait_alu 0xfffd
	v_add_co_ci_u32_e64 v13, null, s11, v13, vcc_lo
	v_add_co_u32 v14, vcc_lo, v14, 64
	s_wait_alu 0xfffd
	v_add_co_ci_u32_e64 v15, null, 0, v15, vcc_lo
	s_and_b32 vcc_lo, exec_lo, s28
	s_wait_dscnt 0x6
	v_dual_mul_f32 v1, v35, v39 :: v_dual_mul_f32 v68, v34, v41
	v_dual_mul_f32 v66, v34, v39 :: v_dual_mul_f32 v67, v35, v41
	s_wait_dscnt 0x5
	v_mul_f32_e32 v70, v43, v41
	s_delay_alu instid0(VALU_DEP_3) | instskip(SKIP_3) | instid1(VALU_DEP_4)
	v_fma_f32 v1, v34, v38, -v1
	v_dual_mul_f32 v41, v42, v41 :: v_dual_fmac_f32 v68, v35, v40
	v_fmac_f32_e32 v66, v35, v38
	v_fma_f32 v34, v34, v40, -v67
	v_add_f32_e32 v1, v32, v1
	v_mul_f32_e32 v69, v43, v39
	s_delay_alu instid0(VALU_DEP_4) | instskip(NEXT) | instid1(VALU_DEP_4)
	v_dual_mul_f32 v39, v42, v39 :: v_dual_add_f32 v32, v33, v66
	v_add_f32_e32 v33, v30, v34
	v_fmac_f32_e32 v41, v43, v40
	s_delay_alu instid0(VALU_DEP_4) | instskip(NEXT) | instid1(VALU_DEP_4)
	v_fma_f32 v35, v42, v38, -v69
	v_fmac_f32_e32 v39, v43, v38
	v_fma_f32 v38, v42, v40, -v70
	s_wait_dscnt 0x1
	v_dual_mul_f32 v40, v36, v59 :: v_dual_add_f32 v31, v31, v68
	v_mul_f32_e32 v42, v37, v61
	v_add_f32_e32 v34, v28, v35
	v_dual_add_f32 v35, v29, v39 :: v_dual_add_f32 v38, v27, v38
	ds_load_2addr_b64 v[27:30], v20 offset0:64 offset1:80
	v_fmac_f32_e32 v40, v37, v58
	v_dual_mul_f32 v39, v37, v59 :: v_dual_add_f32 v26, v26, v41
	v_mul_f32_e32 v41, v36, v61
	s_delay_alu instid0(VALU_DEP_3) | instskip(NEXT) | instid1(VALU_DEP_3)
	v_add_f32_e32 v40, v32, v40
	v_fma_f32 v39, v36, v58, -v39
	v_fma_f32 v36, v36, v60, -v42
	v_mul_f32_e32 v32, v44, v59
	s_delay_alu instid0(VALU_DEP_3) | instskip(SKIP_1) | instid1(VALU_DEP_4)
	v_add_f32_e32 v1, v1, v39
	v_mul_f32_e32 v39, v45, v59
	v_add_f32_e32 v36, v33, v36
	v_fmac_f32_e32 v41, v37, v60
	v_mul_f32_e32 v37, v45, v61
	v_fmac_f32_e32 v32, v45, v58
	v_fma_f32 v33, v44, v58, -v39
	s_delay_alu instid0(VALU_DEP_4) | instskip(SKIP_4) | instid1(VALU_DEP_3)
	v_add_f32_e32 v39, v31, v41
	v_mul_f32_e32 v41, v44, v61
	v_fma_f32 v31, v44, v60, -v37
	s_wait_dscnt 0x0
	v_dual_add_f32 v42, v34, v33 :: v_dual_mul_f32 v33, v47, v28
	v_dual_mul_f32 v44, v47, v30 :: v_dual_fmac_f32 v41, v45, v60
	v_mul_f32_e32 v37, v46, v28
	v_add_f32_e32 v38, v38, v31
	s_delay_alu instid0(VALU_DEP_3) | instskip(SKIP_3) | instid1(VALU_DEP_2)
	v_add_f32_e32 v41, v26, v41
	v_mul_f32_e32 v26, v46, v30
	v_fma_f32 v43, v46, v27, -v33
	v_fmac_f32_e32 v37, v47, v27
	v_dual_fmac_f32 v26, v47, v29 :: v_dual_add_f32 v1, v1, v43
	v_fma_f32 v43, v46, v29, -v44
	v_add_f32_e32 v35, v35, v32
	ds_load_2addr_b64 v[31:34], v20 offset0:96 offset1:112
	v_dual_add_f32 v37, v40, v37 :: v_dual_mul_f32 v40, v63, v28
	v_mul_f32_e32 v28, v62, v28
	v_dual_add_f32 v36, v36, v43 :: v_dual_mul_f32 v43, v63, v30
	v_mul_f32_e32 v30, v62, v30
	s_delay_alu instid0(VALU_DEP_4) | instskip(NEXT) | instid1(VALU_DEP_4)
	v_fma_f32 v40, v62, v27, -v40
	v_fmac_f32_e32 v28, v63, v27
	v_add_f32_e32 v39, v39, v26
	v_fma_f32 v26, v62, v29, -v43
	v_fmac_f32_e32 v30, v63, v29
	v_add_f32_e32 v40, v42, v40
	s_delay_alu instid0(VALU_DEP_3)
	v_dual_add_f32 v42, v35, v28 :: v_dual_add_f32 v43, v38, v26
	ds_load_2addr_b64 v[26:29], v20 offset0:128 offset1:144
	s_wait_dscnt 0x1
	v_mul_f32_e32 v35, v49, v32
	v_mul_f32_e32 v38, v48, v32
	;; [unrolled: 1-line block ×4, first 2 shown]
	s_delay_alu instid0(VALU_DEP_4) | instskip(NEXT) | instid1(VALU_DEP_4)
	v_fma_f32 v35, v48, v31, -v35
	v_fmac_f32_e32 v38, v49, v31
	s_delay_alu instid0(VALU_DEP_2) | instskip(SKIP_1) | instid1(VALU_DEP_3)
	v_add_f32_e32 v1, v1, v35
	v_mul_f32_e32 v35, v65, v32
	v_dual_mul_f32 v32, v64, v32 :: v_dual_add_f32 v45, v37, v38
	s_delay_alu instid0(VALU_DEP_2) | instskip(NEXT) | instid1(VALU_DEP_2)
	v_fma_f32 v46, v64, v31, -v35
	v_fmac_f32_e32 v32, v65, v31
	s_wait_dscnt 0x0
	v_mul_f32_e32 v31, v51, v27
	v_fma_f32 v44, v48, v33, -v44
	v_add_f32_e32 v41, v41, v30
	v_mul_f32_e32 v30, v48, v34
	v_mul_f32_e32 v58, v50, v29
	s_delay_alu instid0(VALU_DEP_4) | instskip(SKIP_2) | instid1(VALU_DEP_1)
	v_add_f32_e32 v44, v36, v44
	ds_load_b128 v[35:38], v21 offset:1056
	v_dual_fmac_f32 v30, v49, v33 :: v_dual_mul_f32 v49, v50, v27
	v_add_f32_e32 v48, v39, v30
	v_fma_f32 v30, v64, v33, -v47
	v_fma_f32 v39, v50, v26, -v31
	v_mul_f32_e32 v34, v64, v34
	v_fmac_f32_e32 v49, v51, v26
	v_add_f32_e32 v46, v40, v46
	v_add_f32_e32 v43, v43, v30
	;; [unrolled: 1-line block ×4, first 2 shown]
	v_fmac_f32_e32 v34, v65, v33
	ds_load_2addr_b64 v[30:33], v20 offset0:160 offset1:176
	v_mul_f32_e32 v40, v51, v29
	v_add_f32_e32 v45, v45, v49
	v_add_f32_e32 v34, v41, v34
	s_delay_alu instid0(VALU_DEP_3)
	v_fma_f32 v50, v50, v28, -v40
	ds_load_b128 v[39:42], v21 offset:1072
	s_wait_dscnt 0x2
	v_mul_f32_e32 v59, v36, v27
	v_dual_mul_f32 v27, v35, v27 :: v_dual_add_f32 v44, v44, v50
	v_fmac_f32_e32 v58, v51, v28
	v_mul_f32_e32 v50, v36, v29
	s_delay_alu instid0(VALU_DEP_4) | instskip(NEXT) | instid1(VALU_DEP_4)
	v_fma_f32 v49, v35, v26, -v59
	v_fmac_f32_e32 v27, v36, v26
	s_delay_alu instid0(VALU_DEP_4) | instskip(SKIP_1) | instid1(VALU_DEP_3)
	v_dual_mul_f32 v51, v35, v29 :: v_dual_add_f32 v48, v48, v58
	s_wait_dscnt 0x1
	v_dual_add_f32 v46, v46, v49 :: v_dual_mul_f32 v29, v53, v31
	v_fma_f32 v26, v35, v28, -v50
	v_add_f32_e32 v35, v47, v27
	v_fmac_f32_e32 v51, v36, v28
	v_mul_f32_e32 v36, v52, v31
	v_fma_f32 v47, v52, v30, -v29
	v_add_f32_e32 v43, v43, v26
	ds_load_2addr_b64 v[26:29], v20 offset0:192 offset1:208
	v_fmac_f32_e32 v36, v53, v30
	v_dual_mul_f32 v49, v53, v33 :: v_dual_add_f32 v50, v34, v51
	v_dual_add_f32 v1, v1, v47 :: v_dual_mul_f32 v34, v52, v33
	s_delay_alu instid0(VALU_DEP_3) | instskip(NEXT) | instid1(VALU_DEP_3)
	v_dual_add_f32 v45, v45, v36 :: v_dual_mul_f32 v36, v38, v31
	v_fma_f32 v47, v52, v32, -v49
	s_delay_alu instid0(VALU_DEP_3) | instskip(NEXT) | instid1(VALU_DEP_3)
	v_fmac_f32_e32 v34, v53, v32
	v_fma_f32 v36, v37, v30, -v36
	s_delay_alu instid0(VALU_DEP_3) | instskip(SKIP_1) | instid1(VALU_DEP_3)
	v_dual_add_f32 v44, v44, v47 :: v_dual_mul_f32 v47, v38, v33
	v_mul_f32_e32 v31, v37, v31
	v_dual_mul_f32 v33, v37, v33 :: v_dual_add_f32 v46, v46, v36
	s_delay_alu instid0(VALU_DEP_2) | instskip(SKIP_2) | instid1(VALU_DEP_4)
	v_fmac_f32_e32 v31, v38, v30
	v_add_f32_e32 v30, v48, v34
	v_fma_f32 v34, v37, v32, -v47
	v_fmac_f32_e32 v33, v38, v32
	s_wait_dscnt 0x0
	v_mul_f32_e32 v38, v54, v27
	v_dual_add_f32 v31, v35, v31 :: v_dual_mul_f32 v48, v54, v29
	v_add_f32_e32 v32, v43, v34
	ds_load_2addr_b64 v[34:37], v20 offset0:224 offset1:240
	v_dual_add_f32 v33, v50, v33 :: v_dual_fmac_f32 v38, v55, v26
	v_mul_f32_e32 v47, v55, v27
	v_fmac_f32_e32 v48, v55, v28
	s_wait_loadcnt_dscnt 0x0
	s_barrier_signal -1
	v_add_f32_e32 v38, v45, v38
	v_fma_f32 v43, v54, v26, -v47
	v_mul_f32_e32 v47, v55, v29
	v_mul_f32_e32 v45, v40, v29
	v_mul_f32_e32 v29, v39, v29
	s_barrier_wait -1
	v_add_f32_e32 v1, v1, v43
	v_fma_f32 v47, v54, v28, -v47
	v_mul_f32_e32 v43, v40, v27
	v_fmac_f32_e32 v29, v40, v28
	global_inv scope:SCOPE_SE
	v_dual_add_f32 v44, v44, v47 :: v_dual_add_f32 v47, v30, v48
	v_fma_f32 v30, v39, v28, -v45
	v_mul_f32_e32 v27, v39, v27
	s_delay_alu instid0(VALU_DEP_1) | instskip(NEXT) | instid1(VALU_DEP_3)
	v_fmac_f32_e32 v27, v40, v26
	v_add_f32_e32 v40, v32, v30
	v_mul_f32_e32 v30, v57, v37
	v_fma_f32 v43, v39, v26, -v43
	v_mul_f32_e32 v39, v57, v35
	s_delay_alu instid0(VALU_DEP_2) | instskip(NEXT) | instid1(VALU_DEP_2)
	v_add_f32_e32 v26, v46, v43
	v_fma_f32 v28, v56, v34, -v39
	v_add_f32_e32 v39, v33, v29
	v_mul_f32_e32 v29, v41, v35
	s_delay_alu instid0(VALU_DEP_3) | instskip(SKIP_4) | instid1(VALU_DEP_4)
	v_add_f32_e32 v32, v1, v28
	v_fma_f32 v1, v56, v36, -v30
	v_mul_f32_e32 v28, v42, v35
	v_add_f32_e32 v27, v31, v27
	v_mul_f32_e32 v31, v56, v37
	v_dual_fmac_f32 v29, v42, v34 :: v_dual_add_f32 v30, v44, v1
	s_delay_alu instid0(VALU_DEP_4) | instskip(SKIP_3) | instid1(VALU_DEP_4)
	v_fma_f32 v1, v41, v34, -v28
	v_mul_f32_e32 v43, v56, v35
	v_mul_f32_e32 v35, v42, v37
	v_mul_f32_e32 v37, v41, v37
	v_dual_fmac_f32 v31, v57, v36 :: v_dual_add_f32 v28, v26, v1
	s_delay_alu instid0(VALU_DEP_4) | instskip(NEXT) | instid1(VALU_DEP_4)
	v_fmac_f32_e32 v43, v57, v34
	v_fma_f32 v34, v41, v36, -v35
	s_delay_alu instid0(VALU_DEP_4) | instskip(NEXT) | instid1(VALU_DEP_4)
	v_fmac_f32_e32 v37, v42, v36
	v_add_f32_e32 v31, v47, v31
	v_add_f32_e32 v29, v27, v29
	;; [unrolled: 1-line block ×3, first 2 shown]
	s_delay_alu instid0(VALU_DEP_4)
	v_dual_add_f32 v27, v40, v34 :: v_dual_add_f32 v26, v39, v37
	s_wait_alu 0xfffe
	s_cbranch_vccz .LBB255_15
.LBB255_7:                              ;   Parent Loop BB255_4 Depth=1
                                        ; =>  This Inner Loop Header: Depth=2
	s_wait_alu 0xfffe
	v_add_co_u32 v34, s28, v16, s26
	s_wait_alu 0xf1ff
	v_add_co_ci_u32_e64 v35, null, 0, s27, s28
	s_delay_alu instid0(VALU_DEP_1)
	v_cmp_le_i64_e32 vcc_lo, s[12:13], v[34:35]
	s_or_b32 s28, s37, vcc_lo
	s_wait_alu 0xfffe
	s_and_saveexec_b32 s29, s28
	s_wait_alu 0xfffe
	s_xor_b32 s28, exec_lo, s29
; %bb.8:                                ;   in Loop: Header=BB255_7 Depth=2
	v_mov_b32_e32 v1, v0
	ds_store_b64 v18, v[0:1]
; %bb.9:                                ;   in Loop: Header=BB255_7 Depth=2
	s_wait_alu 0xfffe
	s_and_not1_saveexec_b32 s28, s28
	s_cbranch_execz .LBB255_11
; %bb.10:                               ;   in Loop: Header=BB255_7 Depth=2
	flat_load_b64 v[34:35], v[14:15]
	s_wait_loadcnt_dscnt 0x0
	ds_store_b64 v18, v[34:35]
.LBB255_11:                             ;   in Loop: Header=BB255_7 Depth=2
	s_wait_alu 0xfffe
	s_or_b32 exec_lo, exec_lo, s28
	v_add_co_u32 v34, s28, v17, s26
	s_wait_alu 0xf1ff
	v_add_co_ci_u32_e64 v35, null, 0, s27, s28
	s_delay_alu instid0(VALU_DEP_1)
	v_cmp_le_i64_e32 vcc_lo, s[12:13], v[34:35]
	s_or_b32 s28, vcc_lo, s40
	s_wait_alu 0xfffe
	s_and_saveexec_b32 s29, s28
	s_wait_alu 0xfffe
	s_xor_b32 s28, exec_lo, s29
; %bb.12:                               ;   in Loop: Header=BB255_7 Depth=2
	v_mov_b32_e32 v1, v0
	ds_store_b64 v19, v[0:1]
; %bb.13:                               ;   in Loop: Header=BB255_7 Depth=2
	s_wait_alu 0xfffe
	s_and_not1_saveexec_b32 s28, s28
	s_cbranch_execz .LBB255_6
; %bb.14:                               ;   in Loop: Header=BB255_7 Depth=2
	flat_load_b64 v[34:35], v[12:13]
	s_wait_loadcnt_dscnt 0x0
	ds_store_b64 v19, v[34:35]
	s_branch .LBB255_6
.LBB255_15:                             ;   in Loop: Header=BB255_4 Depth=1
	s_wait_loadcnt 0x0
	v_add_co_u32 v1, vcc_lo, v10, s4
	s_wait_alu 0xfffd
	v_add_co_ci_u32_e64 v12, null, s5, v11, vcc_lo
	s_and_not1_b32 vcc_lo, exec_lo, s46
	s_mov_b32 s26, -1
	s_wait_alu 0xfffe
	s_cbranch_vccz .LBB255_17
; %bb.16:                               ;   in Loop: Header=BB255_4 Depth=1
	s_and_not1_b32 vcc_lo, exec_lo, s26
	s_wait_alu 0xfffe
	s_cbranch_vccnz .LBB255_3
	s_branch .LBB255_28
.LBB255_17:                             ;   in Loop: Header=BB255_4 Depth=1
	s_and_saveexec_b32 s26, s0
	s_cbranch_execz .LBB255_27
; %bb.18:                               ;   in Loop: Header=BB255_4 Depth=1
	v_add_co_u32 v10, vcc_lo, v1, v4
	s_wait_alu 0xfffd
	v_add_co_ci_u32_e64 v11, null, v12, v5, vcc_lo
	s_and_saveexec_b32 s27, s1
	s_cbranch_execnz .LBB255_21
; %bb.19:                               ;   in Loop: Header=BB255_4 Depth=1
	s_wait_alu 0xfffe
	s_or_b32 exec_lo, exec_lo, s27
	s_and_saveexec_b32 s27, s2
	s_cbranch_execnz .LBB255_22
.LBB255_20:                             ;   in Loop: Header=BB255_4 Depth=1
	s_wait_alu 0xfffe
	s_or_b32 exec_lo, exec_lo, s27
	s_delay_alu instid0(SALU_CYCLE_1)
	s_and_b32 exec_lo, exec_lo, s3
	s_cbranch_execnz .LBB255_23
	s_branch .LBB255_27
.LBB255_21:                             ;   in Loop: Header=BB255_4 Depth=1
	v_mul_f32_e32 v14, s14, v33
	v_mul_f32_e32 v13, s15, v33
	v_add_co_u32 v34, vcc_lo, v10, v6
	s_wait_alu 0xfffd
	v_add_co_ci_u32_e64 v35, null, v11, v7, vcc_lo
	v_fmac_f32_e32 v14, s15, v32
	v_fma_f32 v13, v32, s14, -v13
	flat_store_b64 v[34:35], v[13:14]
	s_wait_alu 0xfffe
	s_or_b32 exec_lo, exec_lo, s27
	s_and_saveexec_b32 s27, s2
	s_cbranch_execz .LBB255_20
.LBB255_22:                             ;   in Loop: Header=BB255_4 Depth=1
	v_mul_f32_e32 v14, s14, v31
	v_mul_f32_e32 v13, s15, v31
	v_add_co_u32 v34, vcc_lo, v10, v6
	s_wait_alu 0xfffd
	v_add_co_ci_u32_e64 v35, null, v11, v7, vcc_lo
	v_fmac_f32_e32 v14, s15, v30
	v_fma_f32 v13, v30, s14, -v13
	flat_store_b64 v[34:35], v[13:14] offset:128
	s_wait_alu 0xfffe
	s_or_b32 exec_lo, exec_lo, s27
	s_delay_alu instid0(SALU_CYCLE_1)
	s_and_b32 exec_lo, exec_lo, s3
	s_cbranch_execz .LBB255_27
.LBB255_23:                             ;   in Loop: Header=BB255_4 Depth=1
	s_lshl_b64 s[28:29], s[8:9], 3
	s_wait_alu 0xfffe
	v_add_co_u32 v10, vcc_lo, v10, s28
	s_wait_alu 0xfffd
	v_add_co_ci_u32_e64 v11, null, s29, v11, vcc_lo
	s_delay_alu instid0(VALU_DEP_2) | instskip(SKIP_1) | instid1(VALU_DEP_2)
	v_add_co_u32 v10, vcc_lo, v10, v6
	s_wait_alu 0xfffd
	v_add_co_ci_u32_e64 v11, null, v11, v7, vcc_lo
	s_and_saveexec_b32 s27, s1
	s_cbranch_execz .LBB255_25
; %bb.24:                               ;   in Loop: Header=BB255_4 Depth=1
	v_mul_f32_e32 v14, s14, v29
	s_delay_alu instid0(VALU_DEP_1) | instskip(NEXT) | instid1(VALU_DEP_1)
	v_dual_mul_f32 v13, s15, v29 :: v_dual_fmac_f32 v14, s15, v28
	v_fma_f32 v13, v28, s14, -v13
	flat_store_b64 v[10:11], v[13:14]
.LBB255_25:                             ;   in Loop: Header=BB255_4 Depth=1
	s_wait_alu 0xfffe
	s_or_b32 exec_lo, exec_lo, s27
	s_delay_alu instid0(SALU_CYCLE_1)
	s_and_b32 exec_lo, exec_lo, s2
	s_cbranch_execz .LBB255_27
; %bb.26:                               ;   in Loop: Header=BB255_4 Depth=1
	v_mul_f32_e32 v14, s14, v26
	s_delay_alu instid0(VALU_DEP_1) | instskip(NEXT) | instid1(VALU_DEP_1)
	v_dual_mul_f32 v13, s15, v26 :: v_dual_fmac_f32 v14, s15, v27
	v_fma_f32 v13, v27, s14, -v13
	flat_store_b64 v[10:11], v[13:14] offset:128
.LBB255_27:                             ;   in Loop: Header=BB255_4 Depth=1
	s_wait_alu 0xfffe
	s_or_b32 exec_lo, exec_lo, s26
	s_cbranch_execnz .LBB255_3
.LBB255_28:                             ;   in Loop: Header=BB255_4 Depth=1
	s_and_saveexec_b32 s26, s0
	s_cbranch_execz .LBB255_2
; %bb.29:                               ;   in Loop: Header=BB255_4 Depth=1
	v_add_co_u32 v8, vcc_lo, v8, s18
	s_wait_alu 0xfffd
	v_add_co_ci_u32_e64 v10, null, s19, v9, vcc_lo
	s_delay_alu instid0(VALU_DEP_2) | instskip(SKIP_1) | instid1(VALU_DEP_2)
	v_add_co_u32 v9, vcc_lo, v8, v2
	s_wait_alu 0xfffd
	v_add_co_ci_u32_e64 v10, null, v10, v3, vcc_lo
	v_add_co_u32 v1, vcc_lo, v1, v4
	s_wait_alu 0xfffd
	v_add_co_ci_u32_e64 v8, null, v12, v5, vcc_lo
	s_and_saveexec_b32 s27, s1
	s_cbranch_execnz .LBB255_32
; %bb.30:                               ;   in Loop: Header=BB255_4 Depth=1
	s_wait_alu 0xfffe
	s_or_b32 exec_lo, exec_lo, s27
	s_and_saveexec_b32 s27, s2
	s_cbranch_execnz .LBB255_33
.LBB255_31:                             ;   in Loop: Header=BB255_4 Depth=1
	s_wait_alu 0xfffe
	s_or_b32 exec_lo, exec_lo, s27
	s_delay_alu instid0(SALU_CYCLE_1)
	s_and_b32 exec_lo, exec_lo, s3
	s_cbranch_execz .LBB255_2
	s_branch .LBB255_34
.LBB255_32:                             ;   in Loop: Header=BB255_4 Depth=1
	v_add_co_u32 v11, vcc_lo, v9, v6
	s_wait_alu 0xfffd
	v_add_co_ci_u32_e64 v12, null, v10, v7, vcc_lo
	flat_load_b64 v[11:12], v[11:12]
	v_mul_f32_e32 v13, s15, v33
	s_wait_loadcnt_dscnt 0x0
	v_dual_mul_f32 v14, s14, v33 :: v_dual_mul_f32 v15, s35, v12
	v_mul_f32_e32 v12, s34, v12
	s_delay_alu instid0(VALU_DEP_3) | instskip(NEXT) | instid1(VALU_DEP_3)
	v_fma_f32 v13, v32, s14, -v13
	v_fma_f32 v15, v11, s34, -v15
	s_delay_alu instid0(VALU_DEP_4) | instskip(NEXT) | instid1(VALU_DEP_4)
	v_fmac_f32_e32 v14, s15, v32
	v_fmac_f32_e32 v12, s35, v11
	s_delay_alu instid0(VALU_DEP_3) | instskip(SKIP_1) | instid1(VALU_DEP_3)
	v_add_f32_e32 v11, v13, v15
	v_add_co_u32 v13, vcc_lo, v1, v6
	v_add_f32_e32 v12, v14, v12
	s_wait_alu 0xfffd
	v_add_co_ci_u32_e64 v14, null, v8, v7, vcc_lo
	flat_store_b64 v[13:14], v[11:12]
	s_wait_alu 0xfffe
	s_or_b32 exec_lo, exec_lo, s27
	s_and_saveexec_b32 s27, s2
	s_cbranch_execz .LBB255_31
.LBB255_33:                             ;   in Loop: Header=BB255_4 Depth=1
	v_add_co_u32 v11, vcc_lo, v9, v6
	s_wait_alu 0xfffd
	v_add_co_ci_u32_e64 v12, null, v10, v7, vcc_lo
	flat_load_b64 v[11:12], v[11:12] offset:128
	v_mul_f32_e32 v13, s15, v31
	s_wait_loadcnt_dscnt 0x0
	v_dual_mul_f32 v14, s14, v31 :: v_dual_mul_f32 v15, s35, v12
	v_mul_f32_e32 v12, s34, v12
	s_delay_alu instid0(VALU_DEP_3) | instskip(NEXT) | instid1(VALU_DEP_3)
	v_fma_f32 v13, v30, s14, -v13
	v_fma_f32 v15, v11, s34, -v15
	s_delay_alu instid0(VALU_DEP_4) | instskip(NEXT) | instid1(VALU_DEP_4)
	v_fmac_f32_e32 v14, s15, v30
	v_fmac_f32_e32 v12, s35, v11
	s_delay_alu instid0(VALU_DEP_3) | instskip(SKIP_1) | instid1(VALU_DEP_3)
	v_add_f32_e32 v11, v13, v15
	v_add_co_u32 v13, vcc_lo, v1, v6
	v_add_f32_e32 v12, v14, v12
	s_wait_alu 0xfffd
	v_add_co_ci_u32_e64 v14, null, v8, v7, vcc_lo
	flat_store_b64 v[13:14], v[11:12] offset:128
	s_wait_alu 0xfffe
	s_or_b32 exec_lo, exec_lo, s27
	s_delay_alu instid0(SALU_CYCLE_1)
	s_and_b32 exec_lo, exec_lo, s3
	s_cbranch_execz .LBB255_2
.LBB255_34:                             ;   in Loop: Header=BB255_4 Depth=1
	v_add_co_u32 v9, vcc_lo, v9, s20
	s_lshl_b64 s[28:29], s[8:9], 3
	s_wait_alu 0xfffd
	v_add_co_ci_u32_e64 v11, null, s21, v10, vcc_lo
	s_wait_alu 0xfffe
	v_add_co_u32 v1, vcc_lo, v1, s28
	s_wait_alu 0xfffd
	v_add_co_ci_u32_e64 v12, null, s29, v8, vcc_lo
	v_add_co_u32 v10, vcc_lo, v9, v6
	s_wait_alu 0xfffd
	v_add_co_ci_u32_e64 v11, null, v11, v7, vcc_lo
	v_add_co_u32 v8, vcc_lo, v1, v6
	s_wait_alu 0xfffd
	v_add_co_ci_u32_e64 v9, null, v12, v7, vcc_lo
	s_and_saveexec_b32 s27, s1
	s_cbranch_execz .LBB255_36
; %bb.35:                               ;   in Loop: Header=BB255_4 Depth=1
	flat_load_b64 v[12:13], v[10:11]
	s_wait_loadcnt_dscnt 0x0
	v_mul_f32_e32 v15, s35, v13
	s_delay_alu instid0(VALU_DEP_1) | instskip(SKIP_1) | instid1(VALU_DEP_1)
	v_fma_f32 v15, v12, s34, -v15
	v_mul_f32_e32 v13, s34, v13
	v_dual_mul_f32 v14, s14, v29 :: v_dual_fmac_f32 v13, s35, v12
	s_delay_alu instid0(VALU_DEP_1) | instskip(NEXT) | instid1(VALU_DEP_1)
	v_dual_mul_f32 v1, s15, v29 :: v_dual_fmac_f32 v14, s15, v28
	v_fma_f32 v1, v28, s14, -v1
	s_delay_alu instid0(VALU_DEP_1)
	v_dual_add_f32 v13, v14, v13 :: v_dual_add_f32 v12, v1, v15
	flat_store_b64 v[8:9], v[12:13]
.LBB255_36:                             ;   in Loop: Header=BB255_4 Depth=1
	s_wait_alu 0xfffe
	s_or_b32 exec_lo, exec_lo, s27
	s_delay_alu instid0(SALU_CYCLE_1)
	s_and_b32 exec_lo, exec_lo, s2
	s_cbranch_execz .LBB255_2
; %bb.37:                               ;   in Loop: Header=BB255_4 Depth=1
	flat_load_b64 v[10:11], v[10:11] offset:128
	s_wait_loadcnt_dscnt 0x0
	v_dual_mul_f32 v12, s14, v26 :: v_dual_mul_f32 v13, s35, v11
	s_delay_alu instid0(VALU_DEP_1) | instskip(NEXT) | instid1(VALU_DEP_2)
	v_dual_mul_f32 v1, s15, v26 :: v_dual_fmac_f32 v12, s15, v27
	v_fma_f32 v13, v10, s34, -v13
	s_delay_alu instid0(VALU_DEP_2) | instskip(SKIP_1) | instid1(VALU_DEP_1)
	v_fma_f32 v1, v27, s14, -v1
	v_mul_f32_e32 v11, s34, v11
	v_dual_fmac_f32 v11, s35, v10 :: v_dual_add_f32 v10, v1, v13
	s_delay_alu instid0(VALU_DEP_1)
	v_add_f32_e32 v11, v12, v11
	flat_store_b64 v[8:9], v[10:11] offset:128
	s_branch .LBB255_2
.LBB255_38:
	s_endpgm
	.section	.rodata,"a",@progbits
	.p2align	6, 0x0
	.amdhsa_kernel _ZN12_GLOBAL__N_135rocblas_gemm_batched_general_kernelI19rocblas_complex_numIfELi16ELi16ELi32ELi32ELi8ELi32ELi8ELi8ELi32ELc84ELc84EKPKS2_S5_KPS2_EEvlllT_PT11_llSA_llS8_PT12_llPT13_lli
		.amdhsa_group_segment_fixed_size 4096
		.amdhsa_private_segment_fixed_size 0
		.amdhsa_kernarg_size 140
		.amdhsa_user_sgpr_count 2
		.amdhsa_user_sgpr_dispatch_ptr 0
		.amdhsa_user_sgpr_queue_ptr 0
		.amdhsa_user_sgpr_kernarg_segment_ptr 1
		.amdhsa_user_sgpr_dispatch_id 0
		.amdhsa_user_sgpr_private_segment_size 0
		.amdhsa_wavefront_size32 1
		.amdhsa_uses_dynamic_stack 0
		.amdhsa_enable_private_segment 0
		.amdhsa_system_sgpr_workgroup_id_x 1
		.amdhsa_system_sgpr_workgroup_id_y 1
		.amdhsa_system_sgpr_workgroup_id_z 1
		.amdhsa_system_sgpr_workgroup_info 0
		.amdhsa_system_vgpr_workitem_id 1
		.amdhsa_next_free_vgpr 71
		.amdhsa_next_free_sgpr 47
		.amdhsa_reserve_vcc 1
		.amdhsa_float_round_mode_32 0
		.amdhsa_float_round_mode_16_64 0
		.amdhsa_float_denorm_mode_32 3
		.amdhsa_float_denorm_mode_16_64 3
		.amdhsa_fp16_overflow 0
		.amdhsa_workgroup_processor_mode 1
		.amdhsa_memory_ordered 1
		.amdhsa_forward_progress 1
		.amdhsa_inst_pref_size 28
		.amdhsa_round_robin_scheduling 0
		.amdhsa_exception_fp_ieee_invalid_op 0
		.amdhsa_exception_fp_denorm_src 0
		.amdhsa_exception_fp_ieee_div_zero 0
		.amdhsa_exception_fp_ieee_overflow 0
		.amdhsa_exception_fp_ieee_underflow 0
		.amdhsa_exception_fp_ieee_inexact 0
		.amdhsa_exception_int_div_zero 0
	.end_amdhsa_kernel
	.section	.text._ZN12_GLOBAL__N_135rocblas_gemm_batched_general_kernelI19rocblas_complex_numIfELi16ELi16ELi32ELi32ELi8ELi32ELi8ELi8ELi32ELc84ELc84EKPKS2_S5_KPS2_EEvlllT_PT11_llSA_llS8_PT12_llPT13_lli,"axG",@progbits,_ZN12_GLOBAL__N_135rocblas_gemm_batched_general_kernelI19rocblas_complex_numIfELi16ELi16ELi32ELi32ELi8ELi32ELi8ELi8ELi32ELc84ELc84EKPKS2_S5_KPS2_EEvlllT_PT11_llSA_llS8_PT12_llPT13_lli,comdat
.Lfunc_end255:
	.size	_ZN12_GLOBAL__N_135rocblas_gemm_batched_general_kernelI19rocblas_complex_numIfELi16ELi16ELi32ELi32ELi8ELi32ELi8ELi8ELi32ELc84ELc84EKPKS2_S5_KPS2_EEvlllT_PT11_llSA_llS8_PT12_llPT13_lli, .Lfunc_end255-_ZN12_GLOBAL__N_135rocblas_gemm_batched_general_kernelI19rocblas_complex_numIfELi16ELi16ELi32ELi32ELi8ELi32ELi8ELi8ELi32ELc84ELc84EKPKS2_S5_KPS2_EEvlllT_PT11_llSA_llS8_PT12_llPT13_lli
                                        ; -- End function
	.set _ZN12_GLOBAL__N_135rocblas_gemm_batched_general_kernelI19rocblas_complex_numIfELi16ELi16ELi32ELi32ELi8ELi32ELi8ELi8ELi32ELc84ELc84EKPKS2_S5_KPS2_EEvlllT_PT11_llSA_llS8_PT12_llPT13_lli.num_vgpr, 71
	.set _ZN12_GLOBAL__N_135rocblas_gemm_batched_general_kernelI19rocblas_complex_numIfELi16ELi16ELi32ELi32ELi8ELi32ELi8ELi8ELi32ELc84ELc84EKPKS2_S5_KPS2_EEvlllT_PT11_llSA_llS8_PT12_llPT13_lli.num_agpr, 0
	.set _ZN12_GLOBAL__N_135rocblas_gemm_batched_general_kernelI19rocblas_complex_numIfELi16ELi16ELi32ELi32ELi8ELi32ELi8ELi8ELi32ELc84ELc84EKPKS2_S5_KPS2_EEvlllT_PT11_llSA_llS8_PT12_llPT13_lli.numbered_sgpr, 47
	.set _ZN12_GLOBAL__N_135rocblas_gemm_batched_general_kernelI19rocblas_complex_numIfELi16ELi16ELi32ELi32ELi8ELi32ELi8ELi8ELi32ELc84ELc84EKPKS2_S5_KPS2_EEvlllT_PT11_llSA_llS8_PT12_llPT13_lli.num_named_barrier, 0
	.set _ZN12_GLOBAL__N_135rocblas_gemm_batched_general_kernelI19rocblas_complex_numIfELi16ELi16ELi32ELi32ELi8ELi32ELi8ELi8ELi32ELc84ELc84EKPKS2_S5_KPS2_EEvlllT_PT11_llSA_llS8_PT12_llPT13_lli.private_seg_size, 0
	.set _ZN12_GLOBAL__N_135rocblas_gemm_batched_general_kernelI19rocblas_complex_numIfELi16ELi16ELi32ELi32ELi8ELi32ELi8ELi8ELi32ELc84ELc84EKPKS2_S5_KPS2_EEvlllT_PT11_llSA_llS8_PT12_llPT13_lli.uses_vcc, 1
	.set _ZN12_GLOBAL__N_135rocblas_gemm_batched_general_kernelI19rocblas_complex_numIfELi16ELi16ELi32ELi32ELi8ELi32ELi8ELi8ELi32ELc84ELc84EKPKS2_S5_KPS2_EEvlllT_PT11_llSA_llS8_PT12_llPT13_lli.uses_flat_scratch, 0
	.set _ZN12_GLOBAL__N_135rocblas_gemm_batched_general_kernelI19rocblas_complex_numIfELi16ELi16ELi32ELi32ELi8ELi32ELi8ELi8ELi32ELc84ELc84EKPKS2_S5_KPS2_EEvlllT_PT11_llSA_llS8_PT12_llPT13_lli.has_dyn_sized_stack, 0
	.set _ZN12_GLOBAL__N_135rocblas_gemm_batched_general_kernelI19rocblas_complex_numIfELi16ELi16ELi32ELi32ELi8ELi32ELi8ELi8ELi32ELc84ELc84EKPKS2_S5_KPS2_EEvlllT_PT11_llSA_llS8_PT12_llPT13_lli.has_recursion, 0
	.set _ZN12_GLOBAL__N_135rocblas_gemm_batched_general_kernelI19rocblas_complex_numIfELi16ELi16ELi32ELi32ELi8ELi32ELi8ELi8ELi32ELc84ELc84EKPKS2_S5_KPS2_EEvlllT_PT11_llSA_llS8_PT12_llPT13_lli.has_indirect_call, 0
	.section	.AMDGPU.csdata,"",@progbits
; Kernel info:
; codeLenInByte = 3560
; TotalNumSgprs: 49
; NumVgprs: 71
; ScratchSize: 0
; MemoryBound: 1
; FloatMode: 240
; IeeeMode: 1
; LDSByteSize: 4096 bytes/workgroup (compile time only)
; SGPRBlocks: 0
; VGPRBlocks: 8
; NumSGPRsForWavesPerEU: 49
; NumVGPRsForWavesPerEU: 71
; Occupancy: 16
; WaveLimiterHint : 1
; COMPUTE_PGM_RSRC2:SCRATCH_EN: 0
; COMPUTE_PGM_RSRC2:USER_SGPR: 2
; COMPUTE_PGM_RSRC2:TRAP_HANDLER: 0
; COMPUTE_PGM_RSRC2:TGID_X_EN: 1
; COMPUTE_PGM_RSRC2:TGID_Y_EN: 1
; COMPUTE_PGM_RSRC2:TGID_Z_EN: 1
; COMPUTE_PGM_RSRC2:TIDIG_COMP_CNT: 1
	.section	.text._ZN12_GLOBAL__N_135rocblas_gemm_batched_general_kernelI19rocblas_complex_numIfELi16ELi16ELi32ELi32ELi8ELi32ELi8ELi8ELi32ELc67ELc67EKPKS2_S5_KPS2_EEvlllT_PT11_llSA_llS8_PT12_llPT13_lli,"axG",@progbits,_ZN12_GLOBAL__N_135rocblas_gemm_batched_general_kernelI19rocblas_complex_numIfELi16ELi16ELi32ELi32ELi8ELi32ELi8ELi8ELi32ELc67ELc67EKPKS2_S5_KPS2_EEvlllT_PT11_llSA_llS8_PT12_llPT13_lli,comdat
	.globl	_ZN12_GLOBAL__N_135rocblas_gemm_batched_general_kernelI19rocblas_complex_numIfELi16ELi16ELi32ELi32ELi8ELi32ELi8ELi8ELi32ELc67ELc67EKPKS2_S5_KPS2_EEvlllT_PT11_llSA_llS8_PT12_llPT13_lli ; -- Begin function _ZN12_GLOBAL__N_135rocblas_gemm_batched_general_kernelI19rocblas_complex_numIfELi16ELi16ELi32ELi32ELi8ELi32ELi8ELi8ELi32ELc67ELc67EKPKS2_S5_KPS2_EEvlllT_PT11_llSA_llS8_PT12_llPT13_lli
	.p2align	8
	.type	_ZN12_GLOBAL__N_135rocblas_gemm_batched_general_kernelI19rocblas_complex_numIfELi16ELi16ELi32ELi32ELi8ELi32ELi8ELi8ELi32ELc67ELc67EKPKS2_S5_KPS2_EEvlllT_PT11_llSA_llS8_PT12_llPT13_lli,@function
_ZN12_GLOBAL__N_135rocblas_gemm_batched_general_kernelI19rocblas_complex_numIfELi16ELi16ELi32ELi32ELi8ELi32ELi8ELi8ELi32ELc67ELc67EKPKS2_S5_KPS2_EEvlllT_PT11_llSA_llS8_PT12_llPT13_lli: ; @_ZN12_GLOBAL__N_135rocblas_gemm_batched_general_kernelI19rocblas_complex_numIfELi16ELi16ELi32ELi32ELi8ELi32ELi8ELi8ELi32ELc67ELc67EKPKS2_S5_KPS2_EEvlllT_PT11_llSA_llS8_PT12_llPT13_lli
; %bb.0:
	s_load_b32 s33, s[0:1], 0x88
	s_lshr_b32 s34, ttmp7, 16
	s_wait_kmcnt 0x0
	s_cmp_ge_i32 s34, s33
	s_cbranch_scc1 .LBB256_38
; %bb.1:
	s_clause 0x4
	s_load_b256 s[8:15], s[0:1], 0x0
	s_load_b256 s[16:23], s[0:1], 0x20
	s_load_b128 s[36:39], s[0:1], 0x78
	s_load_b128 s[40:43], s[0:1], 0x40
	s_load_b64 s[44:45], s[0:1], 0x50
	v_bfe_u32 v4, v0, 10, 10
	v_dual_mov_b32 v16, 0 :: v_dual_and_b32 v5, 0x3ff, v0
	s_load_b256 s[24:31], s[0:1], 0x58
	s_mov_b32 s2, ttmp9
	s_ashr_i32 s3, ttmp9, 31
	s_delay_alu instid0(VALU_DEP_1) | instskip(SKIP_3) | instid1(VALU_DEP_2)
	v_lshl_add_u32 v23, v4, 4, v5
	v_and_b32_e32 v15, 7, v0
	s_lshl_b64 s[6:7], s[2:3], 5
	s_and_b32 s5, ttmp7, 0xffff
	v_dual_mov_b32 v1, s7 :: v_dual_and_b32 v2, 31, v23
	v_lshrrev_b32_e32 v6, 3, v23
	s_lshl_b32 s0, s5, 5
	v_lshlrev_b32_e32 v8, 3, v15
	v_lshlrev_b32_e32 v19, 3, v5
	v_or_b32_e32 v0, s6, v2
	v_lshlrev_b32_e32 v7, 3, v2
	v_add_co_u32 v2, s1, v6, s0
	s_wait_alu 0xf1ff
	v_add_co_ci_u32_e64 v3, null, 0, 0, s1
	s_wait_kmcnt 0x0
	s_or_b32 s1, s44, s45
	v_lshl_or_b32 v6, v6, 6, v8
	s_wait_alu 0xfffe
	s_bitset0_b32 s1, 31
	v_cmp_gt_i64_e32 vcc_lo, s[8:9], v[0:1]
	v_add_co_u32 v1, s0, s0, v4
	s_wait_alu 0xfffe
	s_cmp_eq_u32 s1, 0
	v_add_co_u32 v5, s1, s6, v5
	v_add_nc_u32_e32 v18, 0x800, v6
	s_wait_alu 0xf1ff
	v_add_co_ci_u32_e64 v6, null, s7, 0, s1
	v_cmp_gt_i64_e64 s4, s[10:11], v[2:3]
	v_lshl_add_u32 v20, v4, 6, 0x800
	v_mad_co_u64_u32 v[3:4], null, v1, s36, 0
	v_mad_co_u64_u32 v[11:12], null, v1, s26, 0
	v_add_co_u32 v9, s1, v5, 16
	v_lshrrev_b32_e32 v14, 5, v23
	s_wait_alu 0xf1ff
	v_add_co_ci_u32_e64 v10, null, 0, v6, s1
	v_add_co_ci_u32_e64 v2, null, 0, 0, s0
	s_delay_alu instid0(VALU_DEP_3) | instskip(NEXT) | instid1(VALU_DEP_3)
	v_lshl_or_b32 v17, v14, 8, v7
	v_cmp_gt_i64_e64 s2, s[8:9], v[9:10]
	v_mad_co_u64_u32 v[9:10], null, v1, s37, v[4:5]
	v_mov_b32_e32 v4, v12
	v_mad_co_u64_u32 v[7:8], null, s40, v15, 0
	v_add_co_u32 v12, s3, v1, 16
	v_cmp_gt_i64_e64 s0, s[10:11], v[1:2]
	v_add_co_ci_u32_e64 v13, null, 0, v2, s3
	v_mad_co_u64_u32 v[1:2], null, v1, s27, v[4:5]
	v_mad_co_u64_u32 v[21:22], null, s41, v15, v[8:9]
	v_mul_lo_u32 v2, s19, v0
	s_mul_i32 s7, s18, s7
	s_mov_b32 s35, 0
	v_cmp_gt_i64_e64 s3, s[10:11], v[12:13]
	s_delay_alu instid0(VALU_DEP_4)
	v_mov_b32_e32 v12, v1
	s_cselect_b32 s46, -1, 0
	v_mov_b32_e32 v8, v21
	v_mad_co_u64_u32 v[21:22], null, s18, v0, 0
	s_lshl_b32 s6, s5, 8
	s_lshl_b64 s[10:11], s[42:43], 3
	v_lshlrev_b64_e32 v[0:1], 3, v[7:8]
	v_dual_mov_b32 v4, v9 :: v_dual_lshlrev_b32 v9, 3, v14
	v_cmp_gt_i64_e64 s1, s[8:9], v[5:6]
	s_wait_alu 0xfffe
	v_add3_u32 v22, v22, s7, v2
	s_mov_b32 s7, s35
	v_and_b32_e32 v2, 0x1ff8, v23
	s_wait_alu 0xfffe
	s_add_nc_u64 s[6:7], s[10:11], s[6:7]
	s_lshl_b64 s[18:19], s[26:27], 4
	v_lshlrev_b64_e32 v[7:8], 3, v[21:22]
	s_wait_alu 0xfffe
	v_add_co_u32 v0, s5, s6, v0
	s_delay_alu instid0(VALU_DEP_1)
	v_add_co_ci_u32_e64 v1, null, s7, v1, s5
	s_lshl_b64 s[6:7], s[20:21], 3
	v_cmp_gt_i64_e64 s26, s[12:13], 0
	s_wait_alu 0xfffe
	v_add_co_u32 v7, s5, v7, s6
	v_add_co_u32 v0, s6, v0, v2
	s_wait_alu 0xf1ff
	v_add_co_ci_u32_e64 v21, null, 0, v1, s6
	v_add_co_ci_u32_e64 v1, null, s7, v8, s5
	v_add_co_u32 v2, s5, v7, v9
	v_or_b32_e32 v22, 4, v0
	s_wait_alu 0xf1ff
	s_delay_alu instid0(VALU_DEP_3) | instskip(NEXT) | instid1(VALU_DEP_3)
	v_add_co_ci_u32_e64 v23, null, 0, v1, s5
	v_or_b32_e32 v24, 4, v2
	v_lshlrev_b64_e32 v[0:1], 3, v[11:12]
	v_lshlrev_b64_e32 v[2:3], 3, v[3:4]
	;; [unrolled: 1-line block ×3, first 2 shown]
	s_lshl_b64 s[8:9], s[36:37], 4
	s_lshl_b64 s[6:7], s[40:41], 6
	s_xor_b32 s27, vcc_lo, -1
	s_xor_b32 s36, s4, -1
	s_lshl_b64 s[4:5], s[38:39], 3
	s_lshl_b64 s[10:11], s[28:29], 3
	;; [unrolled: 1-line block ×3, first 2 shown]
	s_branch .LBB256_4
.LBB256_2:                              ;   in Loop: Header=BB256_4 Depth=1
	s_wait_alu 0xfffe
	s_or_b32 exec_lo, exec_lo, s20
.LBB256_3:                              ;   in Loop: Header=BB256_4 Depth=1
	s_add_co_i32 s34, s34, 0x10000
	s_delay_alu instid0(SALU_CYCLE_1)
	s_cmp_lt_i32 s34, s33
	s_cbranch_scc0 .LBB256_38
.LBB256_4:                              ; =>This Loop Header: Depth=1
                                        ;     Child Loop BB256_7 Depth 2
	s_lshl_b64 s[20:21], s[34:35], 3
	v_dual_mov_b32 v31, 0 :: v_dual_mov_b32 v32, 0
	s_wait_alu 0xfffe
	s_add_nc_u64 s[28:29], s[24:25], s[20:21]
	s_add_nc_u64 s[38:39], s[30:31], s[20:21]
	s_clause 0x1
	global_load_b64 v[6:7], v16, s[28:29]
	global_load_b64 v[8:9], v16, s[38:39]
	v_dual_mov_b32 v29, 0 :: v_dual_mov_b32 v30, 0
	v_dual_mov_b32 v27, 0 :: v_dual_mov_b32 v28, 0
	;; [unrolled: 1-line block ×3, first 2 shown]
	s_and_not1_b32 vcc_lo, exec_lo, s26
	s_wait_alu 0xfffe
	s_cbranch_vccnz .LBB256_15
; %bb.5:                                ;   in Loop: Header=BB256_4 Depth=1
	s_add_nc_u64 s[28:29], s[22:23], s[20:21]
	s_add_nc_u64 s[20:21], s[16:17], s[20:21]
	s_clause 0x1
	global_load_b64 v[10:11], v16, s[28:29]
	global_load_b64 v[12:13], v16, s[20:21]
	v_dual_mov_b32 v25, 0 :: v_dual_mov_b32 v26, 0
	v_dual_mov_b32 v28, 0 :: v_dual_mov_b32 v27, 0
	;; [unrolled: 1-line block ×4, first 2 shown]
	s_mov_b64 s[20:21], 0
	s_wait_loadcnt 0x1
	v_add_co_u32 v10, vcc_lo, v10, v22
	s_wait_alu 0xfffd
	v_add_co_ci_u32_e64 v11, null, v11, v21, vcc_lo
	s_wait_loadcnt 0x0
	v_add_co_u32 v12, vcc_lo, v12, v24
	s_wait_alu 0xfffd
	v_add_co_ci_u32_e64 v13, null, v13, v23, vcc_lo
	s_branch .LBB256_7
.LBB256_6:                              ;   in Loop: Header=BB256_7 Depth=2
	s_or_b32 exec_lo, exec_lo, s28
	ds_store_b32 v18, v33 offset:4
	s_wait_dscnt 0x0
	s_barrier_signal -1
	s_barrier_wait -1
	global_inv scope:SCOPE_SE
	ds_load_b128 v[33:36], v20
	ds_load_2addr_b64 v[37:40], v19 offset1:16
	ds_load_b128 v[41:44], v20 offset:1024
	ds_load_b128 v[45:48], v20 offset:16
	;; [unrolled: 1-line block ×4, first 2 shown]
	ds_load_2addr_b64 v[57:60], v19 offset0:32 offset1:48
	ds_load_b128 v[61:64], v20 offset:1040
	s_add_nc_u64 s[20:21], s[20:21], 8
	v_add_co_u32 v10, vcc_lo, v10, s6
	s_wait_alu 0xfffe
	v_cmp_lt_i64_e64 s28, s[20:21], s[12:13]
	s_wait_alu 0xfffd
	v_add_co_ci_u32_e64 v11, null, s7, v11, vcc_lo
	v_add_co_u32 v12, vcc_lo, v12, 64
	s_wait_alu 0xfffd
	v_add_co_ci_u32_e64 v13, null, 0, v13, vcc_lo
	s_and_b32 vcc_lo, exec_lo, s28
	s_wait_dscnt 0x6
	v_dual_mul_f32 v65, v34, v38 :: v_dual_mul_f32 v68, v33, v40
	v_dual_mul_f32 v66, v33, v38 :: v_dual_mul_f32 v67, v34, v40
	s_wait_dscnt 0x5
	v_mul_f32_e32 v69, v42, v38
	s_delay_alu instid0(VALU_DEP_3)
	v_fma_f32 v65, v33, v37, -v65
	v_mul_f32_e32 v38, v41, v38
	v_fmac_f32_e32 v68, v34, v39
	v_fma_f32 v33, v33, v39, -v67
	v_mul_f32_e32 v70, v42, v40
	v_dual_mul_f32 v40, v41, v40 :: v_dual_add_f32 v31, v31, v65
	s_delay_alu instid0(VALU_DEP_3) | instskip(NEXT) | instid1(VALU_DEP_3)
	v_add_f32_e32 v33, v29, v33
	v_fma_f32 v29, v41, v39, -v70
	s_delay_alu instid0(VALU_DEP_3) | instskip(SKIP_1) | instid1(VALU_DEP_3)
	v_fmac_f32_e32 v40, v42, v39
	v_fmac_f32_e32 v38, v42, v37
	v_add_f32_e32 v39, v26, v29
	s_delay_alu instid0(VALU_DEP_3)
	v_dual_add_f32 v25, v25, v40 :: v_dual_fmac_f32 v66, v34, v37
	v_fma_f32 v34, v41, v37, -v69
	s_wait_dscnt 0x1
	v_dual_mul_f32 v41, v35, v58 :: v_dual_add_f32 v30, v30, v68
	v_add_f32_e32 v37, v28, v38
	v_add_f32_e32 v32, v32, v66
	s_delay_alu instid0(VALU_DEP_3) | instskip(SKIP_4) | instid1(VALU_DEP_1)
	v_dual_fmac_f32 v41, v36, v57 :: v_dual_add_f32 v34, v27, v34
	ds_load_2addr_b64 v[26:29], v19 offset0:64 offset1:80
	v_mul_f32_e32 v40, v35, v60
	v_mul_f32_e32 v42, v36, v60
	v_dual_add_f32 v41, v32, v41 :: v_dual_mul_f32 v32, v43, v58
	v_fmac_f32_e32 v32, v44, v57
	s_delay_alu instid0(VALU_DEP_1) | instskip(SKIP_1) | instid1(VALU_DEP_1)
	v_dual_fmac_f32 v40, v36, v59 :: v_dual_add_f32 v37, v37, v32
	v_mul_f32_e32 v38, v36, v58
	v_fma_f32 v38, v35, v57, -v38
	s_delay_alu instid0(VALU_DEP_1) | instskip(SKIP_3) | instid1(VALU_DEP_2)
	v_add_f32_e32 v38, v31, v38
	v_fma_f32 v31, v35, v59, -v42
	s_wait_dscnt 0x0
	v_dual_mul_f32 v35, v44, v58 :: v_dual_mul_f32 v42, v45, v27
	v_add_f32_e32 v36, v33, v31
	s_delay_alu instid0(VALU_DEP_2) | instskip(SKIP_3) | instid1(VALU_DEP_4)
	v_fma_f32 v31, v43, v57, -v35
	v_mul_f32_e32 v33, v44, v60
	v_add_f32_e32 v35, v30, v40
	v_mul_f32_e32 v40, v43, v60
	v_add_f32_e32 v34, v34, v31
	s_delay_alu instid0(VALU_DEP_4) | instskip(SKIP_1) | instid1(VALU_DEP_2)
	v_fma_f32 v30, v43, v59, -v33
	v_mul_f32_e32 v31, v46, v27
	v_dual_fmac_f32 v40, v44, v59 :: v_dual_add_f32 v39, v39, v30
	s_delay_alu instid0(VALU_DEP_2) | instskip(SKIP_4) | instid1(VALU_DEP_3)
	v_fma_f32 v43, v45, v26, -v31
	ds_load_2addr_b64 v[30:33], v19 offset0:96 offset1:112
	v_fmac_f32_e32 v42, v46, v26
	v_add_f32_e32 v40, v25, v40
	v_dual_mul_f32 v25, v45, v29 :: v_dual_add_f32 v38, v38, v43
	v_dual_add_f32 v41, v41, v42 :: v_dual_mul_f32 v42, v62, v27
	v_mul_f32_e32 v27, v61, v27
	s_delay_alu instid0(VALU_DEP_3) | instskip(NEXT) | instid1(VALU_DEP_2)
	v_fmac_f32_e32 v25, v46, v28
	v_fmac_f32_e32 v27, v62, v26
	v_mul_f32_e32 v44, v46, v29
	s_delay_alu instid0(VALU_DEP_1) | instskip(NEXT) | instid1(VALU_DEP_4)
	v_fma_f32 v43, v45, v28, -v44
	v_add_f32_e32 v44, v35, v25
	s_wait_dscnt 0x0
	v_mul_f32_e32 v35, v47, v31
	s_delay_alu instid0(VALU_DEP_3) | instskip(SKIP_1) | instid1(VALU_DEP_3)
	v_dual_add_f32 v36, v36, v43 :: v_dual_mul_f32 v43, v62, v29
	v_mul_f32_e32 v29, v61, v29
	v_fmac_f32_e32 v35, v48, v30
	v_fma_f32 v42, v61, v26, -v42
	s_delay_alu instid0(VALU_DEP_4) | instskip(NEXT) | instid1(VALU_DEP_4)
	v_fma_f32 v25, v61, v28, -v43
	v_fmac_f32_e32 v29, v62, v28
	s_delay_alu instid0(VALU_DEP_3) | instskip(NEXT) | instid1(VALU_DEP_3)
	v_dual_add_f32 v43, v37, v27 :: v_dual_add_f32 v42, v34, v42
	v_dual_mul_f32 v34, v48, v31 :: v_dual_add_f32 v39, v39, v25
	v_mul_f32_e32 v37, v48, v33
	ds_load_2addr_b64 v[25:28], v19 offset0:128 offset1:144
	v_add_f32_e32 v40, v40, v29
	v_fma_f32 v34, v47, v30, -v34
	v_mul_f32_e32 v29, v47, v33
	v_fma_f32 v37, v47, v32, -v37
	v_mul_f32_e32 v47, v64, v33
	s_delay_alu instid0(VALU_DEP_4) | instskip(NEXT) | instid1(VALU_DEP_4)
	v_dual_add_f32 v45, v41, v35 :: v_dual_add_f32 v38, v38, v34
	v_fmac_f32_e32 v29, v48, v32
	v_mul_f32_e32 v33, v63, v33
	s_delay_alu instid0(VALU_DEP_2) | instskip(SKIP_4) | instid1(VALU_DEP_4)
	v_add_f32_e32 v44, v44, v29
	v_fma_f32 v29, v63, v32, -v47
	v_mul_f32_e32 v34, v64, v31
	v_mul_f32_e32 v31, v63, v31
	v_fmac_f32_e32 v33, v64, v32
	v_add_f32_e32 v47, v39, v29
	s_delay_alu instid0(VALU_DEP_4) | instskip(NEXT) | instid1(VALU_DEP_4)
	v_fma_f32 v41, v63, v30, -v34
	v_fmac_f32_e32 v31, v64, v30
	s_wait_dscnt 0x0
	v_mul_f32_e32 v30, v50, v26
	v_dual_mul_f32 v48, v49, v26 :: v_dual_add_f32 v33, v40, v33
	v_mul_f32_e32 v58, v49, v28
	v_add_f32_e32 v42, v42, v41
	v_dual_add_f32 v46, v36, v37 :: v_dual_add_f32 v43, v43, v31
	ds_load_b128 v[34:37], v20 offset:1056
	v_fma_f32 v39, v49, v25, -v30
	ds_load_2addr_b64 v[29:32], v19 offset0:160 offset1:176
	v_mul_f32_e32 v41, v50, v28
	v_fmac_f32_e32 v58, v50, v27
	v_add_f32_e32 v57, v38, v39
	s_delay_alu instid0(VALU_DEP_3) | instskip(SKIP_4) | instid1(VALU_DEP_2)
	v_fma_f32 v49, v49, v27, -v41
	ds_load_b128 v[38:41], v20 offset:1072
	v_fmac_f32_e32 v48, v50, v25
	s_wait_dscnt 0x2
	v_dual_add_f32 v46, v46, v49 :: v_dual_mul_f32 v59, v35, v26
	v_dual_add_f32 v45, v45, v48 :: v_dual_mul_f32 v26, v34, v26
	v_mul_f32_e32 v49, v35, v28
	v_mul_f32_e32 v50, v34, v28
	s_delay_alu instid0(VALU_DEP_4)
	v_fma_f32 v48, v34, v25, -v59
	v_add_f32_e32 v44, v44, v58
	s_wait_dscnt 0x1
	v_mul_f32_e32 v28, v52, v30
	v_fmac_f32_e32 v50, v35, v27
	v_fmac_f32_e32 v26, v35, v25
	v_fma_f32 v25, v34, v27, -v49
	v_dual_mul_f32 v35, v51, v30 :: v_dual_add_f32 v42, v42, v48
	s_delay_alu instid0(VALU_DEP_4) | instskip(SKIP_1) | instid1(VALU_DEP_3)
	v_add_f32_e32 v49, v33, v50
	v_mul_f32_e32 v33, v51, v32
	v_dual_fmac_f32 v35, v52, v29 :: v_dual_add_f32 v34, v43, v26
	v_add_f32_e32 v43, v47, v25
	v_fma_f32 v47, v51, v29, -v28
	ds_load_2addr_b64 v[25:28], v19 offset0:192 offset1:208
	v_dual_mul_f32 v48, v52, v32 :: v_dual_add_f32 v45, v45, v35
	v_mul_f32_e32 v35, v37, v30
	v_dual_mul_f32 v30, v36, v30 :: v_dual_add_f32 v47, v57, v47
	s_delay_alu instid0(VALU_DEP_3) | instskip(SKIP_1) | instid1(VALU_DEP_4)
	v_fma_f32 v48, v51, v31, -v48
	v_fmac_f32_e32 v33, v52, v31
	v_fma_f32 v35, v36, v29, -v35
	s_delay_alu instid0(VALU_DEP_4) | instskip(NEXT) | instid1(VALU_DEP_4)
	v_fmac_f32_e32 v30, v37, v29
	v_add_f32_e32 v46, v46, v48
	s_delay_alu instid0(VALU_DEP_4) | instskip(SKIP_2) | instid1(VALU_DEP_3)
	v_dual_mul_f32 v48, v37, v32 :: v_dual_add_f32 v29, v44, v33
	v_mul_f32_e32 v32, v36, v32
	v_add_f32_e32 v42, v42, v35
	v_fma_f32 v33, v36, v31, -v48
	s_delay_alu instid0(VALU_DEP_3) | instskip(SKIP_3) | instid1(VALU_DEP_2)
	v_fmac_f32_e32 v32, v37, v31
	s_wait_dscnt 0x0
	v_mul_f32_e32 v48, v53, v28
	v_mul_f32_e32 v37, v53, v26
	v_dual_add_f32 v31, v43, v33 :: v_dual_fmac_f32 v48, v54, v27
	v_mul_f32_e32 v44, v54, v26
	s_delay_alu instid0(VALU_DEP_3) | instskip(NEXT) | instid1(VALU_DEP_2)
	v_fmac_f32_e32 v37, v54, v25
	v_fma_f32 v43, v53, v25, -v44
	s_delay_alu instid0(VALU_DEP_2) | instskip(NEXT) | instid1(VALU_DEP_2)
	v_dual_mul_f32 v44, v54, v28 :: v_dual_add_f32 v37, v45, v37
	v_dual_add_f32 v43, v47, v43 :: v_dual_add_f32 v30, v34, v30
	ds_load_2addr_b64 v[33:36], v19 offset0:224 offset1:240
	v_mul_f32_e32 v47, v39, v26
	v_fma_f32 v44, v53, v27, -v44
	v_mul_f32_e32 v26, v38, v26
	s_wait_loadcnt_dscnt 0x0
	s_barrier_signal -1
	v_fma_f32 v45, v38, v25, -v47
	v_add_f32_e32 v32, v49, v32
	v_dual_fmac_f32 v26, v39, v25 :: v_dual_add_f32 v47, v29, v48
	s_barrier_wait -1
	s_delay_alu instid0(VALU_DEP_3)
	v_add_f32_e32 v25, v42, v45
	v_add_f32_e32 v44, v46, v44
	v_mul_f32_e32 v46, v39, v28
	v_mul_f32_e32 v28, v38, v28
	v_add_f32_e32 v26, v30, v26
	global_inv scope:SCOPE_SE
	v_fma_f32 v29, v38, v27, -v46
	v_fmac_f32_e32 v28, v39, v27
	v_mul_f32_e32 v38, v56, v34
	v_mul_f32_e32 v42, v55, v34
	v_mul_f32_e32 v30, v55, v36
	v_add_f32_e32 v39, v31, v29
	v_mul_f32_e32 v29, v56, v36
	v_fma_f32 v27, v55, v33, -v38
	v_fmac_f32_e32 v42, v56, v33
	v_add_f32_e32 v38, v32, v28
	v_mul_f32_e32 v28, v41, v34
	s_delay_alu instid0(VALU_DEP_4) | instskip(NEXT) | instid1(VALU_DEP_4)
	v_dual_mul_f32 v34, v40, v34 :: v_dual_add_f32 v31, v43, v27
	v_add_f32_e32 v32, v37, v42
	v_fma_f32 v27, v55, v35, -v29
	v_mul_f32_e32 v37, v41, v36
	v_mul_f32_e32 v36, v40, v36
	v_fmac_f32_e32 v30, v56, v35
	s_delay_alu instid0(VALU_DEP_4) | instskip(SKIP_4) | instid1(VALU_DEP_4)
	v_dual_fmac_f32 v34, v41, v33 :: v_dual_add_f32 v29, v44, v27
	v_fma_f32 v27, v40, v33, -v28
	v_fma_f32 v33, v40, v35, -v37
	v_fmac_f32_e32 v36, v41, v35
	v_add_f32_e32 v30, v47, v30
	v_dual_add_f32 v28, v26, v34 :: v_dual_add_f32 v27, v25, v27
	s_delay_alu instid0(VALU_DEP_3)
	v_dual_add_f32 v26, v39, v33 :: v_dual_add_f32 v25, v38, v36
	s_wait_alu 0xfffe
	s_cbranch_vccz .LBB256_15
.LBB256_7:                              ;   Parent Loop BB256_4 Depth=1
                                        ; =>  This Inner Loop Header: Depth=2
	s_wait_alu 0xfffe
	v_add_co_u32 v33, s28, v14, s20
	s_wait_alu 0xf1ff
	v_add_co_ci_u32_e64 v34, null, 0, s21, s28
	s_delay_alu instid0(VALU_DEP_1)
	v_cmp_le_i64_e32 vcc_lo, s[12:13], v[33:34]
	s_or_b32 s28, s27, vcc_lo
	s_wait_alu 0xfffe
	s_and_saveexec_b32 s29, s28
	s_wait_alu 0xfffe
	s_xor_b32 s28, exec_lo, s29
; %bb.8:                                ;   in Loop: Header=BB256_7 Depth=2
	ds_store_b32 v17, v16
; %bb.9:                                ;   in Loop: Header=BB256_7 Depth=2
	s_wait_alu 0xfffe
	s_or_saveexec_b32 s28, s28
	v_mov_b32_e32 v33, 0
	s_wait_alu 0xfffe
	s_xor_b32 exec_lo, exec_lo, s28
	s_cbranch_execz .LBB256_11
; %bb.10:                               ;   in Loop: Header=BB256_7 Depth=2
	flat_load_b64 v[34:35], v[12:13] offset:-4
	s_wait_loadcnt_dscnt 0x0
	v_xor_b32_e32 v33, 0x80000000, v35
	ds_store_b32 v17, v34
.LBB256_11:                             ;   in Loop: Header=BB256_7 Depth=2
	s_or_b32 exec_lo, exec_lo, s28
	v_add_co_u32 v34, s28, v15, s20
	s_wait_alu 0xf1ff
	v_add_co_ci_u32_e64 v35, null, 0, s21, s28
	ds_store_b32 v17, v33 offset:4
	v_cmp_le_i64_e32 vcc_lo, s[12:13], v[34:35]
	s_or_b32 s28, vcc_lo, s36
	s_wait_alu 0xfffe
	s_and_saveexec_b32 s29, s28
	s_wait_alu 0xfffe
	s_xor_b32 s28, exec_lo, s29
; %bb.12:                               ;   in Loop: Header=BB256_7 Depth=2
	ds_store_b32 v18, v16
; %bb.13:                               ;   in Loop: Header=BB256_7 Depth=2
	s_wait_alu 0xfffe
	s_or_saveexec_b32 s28, s28
	v_mov_b32_e32 v33, 0
	s_wait_alu 0xfffe
	s_xor_b32 exec_lo, exec_lo, s28
	s_cbranch_execz .LBB256_6
; %bb.14:                               ;   in Loop: Header=BB256_7 Depth=2
	flat_load_b64 v[34:35], v[10:11] offset:-4
	s_wait_loadcnt_dscnt 0x0
	v_xor_b32_e32 v33, 0x80000000, v35
	ds_store_b32 v18, v34
	s_branch .LBB256_6
.LBB256_15:                             ;   in Loop: Header=BB256_4 Depth=1
	s_wait_loadcnt 0x0
	s_wait_alu 0xfffe
	v_add_co_u32 v10, vcc_lo, v8, s4
	s_wait_alu 0xfffd
	v_add_co_ci_u32_e64 v11, null, s5, v9, vcc_lo
	s_and_not1_b32 vcc_lo, exec_lo, s46
	s_mov_b32 s20, -1
	s_wait_alu 0xfffe
	s_cbranch_vccz .LBB256_17
; %bb.16:                               ;   in Loop: Header=BB256_4 Depth=1
	s_and_not1_b32 vcc_lo, exec_lo, s20
	s_wait_alu 0xfffe
	s_cbranch_vccnz .LBB256_3
	s_branch .LBB256_28
.LBB256_17:                             ;   in Loop: Header=BB256_4 Depth=1
	s_and_saveexec_b32 s20, s0
	s_cbranch_execz .LBB256_27
; %bb.18:                               ;   in Loop: Header=BB256_4 Depth=1
	v_add_co_u32 v8, vcc_lo, v10, v2
	s_wait_alu 0xfffd
	v_add_co_ci_u32_e64 v9, null, v11, v3, vcc_lo
	s_and_saveexec_b32 s21, s1
	s_cbranch_execnz .LBB256_21
; %bb.19:                               ;   in Loop: Header=BB256_4 Depth=1
	s_wait_alu 0xfffe
	s_or_b32 exec_lo, exec_lo, s21
	s_and_saveexec_b32 s21, s2
	s_cbranch_execnz .LBB256_22
.LBB256_20:                             ;   in Loop: Header=BB256_4 Depth=1
	s_wait_alu 0xfffe
	s_or_b32 exec_lo, exec_lo, s21
	s_delay_alu instid0(SALU_CYCLE_1)
	s_and_b32 exec_lo, exec_lo, s3
	s_cbranch_execnz .LBB256_23
	s_branch .LBB256_27
.LBB256_21:                             ;   in Loop: Header=BB256_4 Depth=1
	v_mul_f32_e32 v13, s14, v32
	v_mul_f32_e32 v12, s15, v32
	v_add_co_u32 v33, vcc_lo, v8, v4
	s_wait_alu 0xfffd
	v_add_co_ci_u32_e64 v34, null, v9, v5, vcc_lo
	v_fmac_f32_e32 v13, s15, v31
	v_fma_f32 v12, v31, s14, -v12
	flat_store_b64 v[33:34], v[12:13]
	s_wait_alu 0xfffe
	s_or_b32 exec_lo, exec_lo, s21
	s_and_saveexec_b32 s21, s2
	s_cbranch_execz .LBB256_20
.LBB256_22:                             ;   in Loop: Header=BB256_4 Depth=1
	v_mul_f32_e32 v13, s14, v30
	v_mul_f32_e32 v12, s15, v30
	v_add_co_u32 v33, vcc_lo, v8, v4
	s_wait_alu 0xfffd
	v_add_co_ci_u32_e64 v34, null, v9, v5, vcc_lo
	v_fmac_f32_e32 v13, s15, v29
	v_fma_f32 v12, v29, s14, -v12
	flat_store_b64 v[33:34], v[12:13] offset:128
	s_wait_alu 0xfffe
	s_or_b32 exec_lo, exec_lo, s21
	s_delay_alu instid0(SALU_CYCLE_1)
	s_and_b32 exec_lo, exec_lo, s3
	s_cbranch_execz .LBB256_27
.LBB256_23:                             ;   in Loop: Header=BB256_4 Depth=1
	s_lshl_b64 s[28:29], s[8:9], 3
	s_wait_alu 0xfffe
	v_add_co_u32 v8, vcc_lo, v8, s28
	s_wait_alu 0xfffd
	v_add_co_ci_u32_e64 v9, null, s29, v9, vcc_lo
	s_delay_alu instid0(VALU_DEP_2) | instskip(SKIP_1) | instid1(VALU_DEP_2)
	v_add_co_u32 v8, vcc_lo, v8, v4
	s_wait_alu 0xfffd
	v_add_co_ci_u32_e64 v9, null, v9, v5, vcc_lo
	s_and_saveexec_b32 s21, s1
	s_cbranch_execz .LBB256_25
; %bb.24:                               ;   in Loop: Header=BB256_4 Depth=1
	v_mul_f32_e32 v13, s14, v28
	s_delay_alu instid0(VALU_DEP_1) | instskip(NEXT) | instid1(VALU_DEP_1)
	v_dual_mul_f32 v12, s15, v28 :: v_dual_fmac_f32 v13, s15, v27
	v_fma_f32 v12, v27, s14, -v12
	flat_store_b64 v[8:9], v[12:13]
.LBB256_25:                             ;   in Loop: Header=BB256_4 Depth=1
	s_wait_alu 0xfffe
	s_or_b32 exec_lo, exec_lo, s21
	s_delay_alu instid0(SALU_CYCLE_1)
	s_and_b32 exec_lo, exec_lo, s2
	s_cbranch_execz .LBB256_27
; %bb.26:                               ;   in Loop: Header=BB256_4 Depth=1
	v_mul_f32_e32 v13, s14, v25
	s_delay_alu instid0(VALU_DEP_1) | instskip(NEXT) | instid1(VALU_DEP_1)
	v_dual_mul_f32 v12, s15, v25 :: v_dual_fmac_f32 v13, s15, v26
	v_fma_f32 v12, v26, s14, -v12
	flat_store_b64 v[8:9], v[12:13] offset:128
.LBB256_27:                             ;   in Loop: Header=BB256_4 Depth=1
	s_wait_alu 0xfffe
	s_or_b32 exec_lo, exec_lo, s20
	s_cbranch_execnz .LBB256_3
.LBB256_28:                             ;   in Loop: Header=BB256_4 Depth=1
	s_and_saveexec_b32 s20, s0
	s_cbranch_execz .LBB256_2
; %bb.29:                               ;   in Loop: Header=BB256_4 Depth=1
	v_add_co_u32 v6, vcc_lo, v6, s10
	s_wait_alu 0xfffd
	v_add_co_ci_u32_e64 v7, null, s11, v7, vcc_lo
	s_delay_alu instid0(VALU_DEP_2) | instskip(SKIP_1) | instid1(VALU_DEP_2)
	v_add_co_u32 v8, vcc_lo, v6, v0
	s_wait_alu 0xfffd
	v_add_co_ci_u32_e64 v9, null, v7, v1, vcc_lo
	v_add_co_u32 v6, vcc_lo, v10, v2
	s_wait_alu 0xfffd
	v_add_co_ci_u32_e64 v7, null, v11, v3, vcc_lo
	s_and_saveexec_b32 s21, s1
	s_cbranch_execnz .LBB256_32
; %bb.30:                               ;   in Loop: Header=BB256_4 Depth=1
	s_wait_alu 0xfffe
	s_or_b32 exec_lo, exec_lo, s21
	s_and_saveexec_b32 s21, s2
	s_cbranch_execnz .LBB256_33
.LBB256_31:                             ;   in Loop: Header=BB256_4 Depth=1
	s_wait_alu 0xfffe
	s_or_b32 exec_lo, exec_lo, s21
	s_delay_alu instid0(SALU_CYCLE_1)
	s_and_b32 exec_lo, exec_lo, s3
	s_cbranch_execz .LBB256_2
	s_branch .LBB256_34
.LBB256_32:                             ;   in Loop: Header=BB256_4 Depth=1
	v_add_co_u32 v10, vcc_lo, v8, v4
	s_wait_alu 0xfffd
	v_add_co_ci_u32_e64 v11, null, v9, v5, vcc_lo
	flat_load_b64 v[10:11], v[10:11]
	v_mul_f32_e32 v12, s15, v32
	s_wait_loadcnt_dscnt 0x0
	v_dual_mul_f32 v13, s14, v32 :: v_dual_mul_f32 v32, s45, v11
	v_mul_f32_e32 v11, s44, v11
	s_delay_alu instid0(VALU_DEP_3) | instskip(NEXT) | instid1(VALU_DEP_3)
	v_fma_f32 v12, v31, s14, -v12
	v_fmac_f32_e32 v13, s15, v31
	s_delay_alu instid0(VALU_DEP_4) | instskip(NEXT) | instid1(VALU_DEP_1)
	v_fma_f32 v31, v10, s44, -v32
	v_dual_fmac_f32 v11, s45, v10 :: v_dual_add_f32 v10, v12, v31
	v_add_co_u32 v12, vcc_lo, v6, v4
	s_delay_alu instid0(VALU_DEP_2)
	v_add_f32_e32 v11, v13, v11
	s_wait_alu 0xfffd
	v_add_co_ci_u32_e64 v13, null, v7, v5, vcc_lo
	flat_store_b64 v[12:13], v[10:11]
	s_wait_alu 0xfffe
	s_or_b32 exec_lo, exec_lo, s21
	s_and_saveexec_b32 s21, s2
	s_cbranch_execz .LBB256_31
.LBB256_33:                             ;   in Loop: Header=BB256_4 Depth=1
	v_add_co_u32 v10, vcc_lo, v8, v4
	s_wait_alu 0xfffd
	v_add_co_ci_u32_e64 v11, null, v9, v5, vcc_lo
	flat_load_b64 v[10:11], v[10:11] offset:128
	v_mul_f32_e32 v12, s15, v30
	s_wait_loadcnt_dscnt 0x0
	v_dual_mul_f32 v13, s14, v30 :: v_dual_mul_f32 v30, s45, v11
	v_mul_f32_e32 v11, s44, v11
	s_delay_alu instid0(VALU_DEP_3) | instskip(NEXT) | instid1(VALU_DEP_3)
	v_fma_f32 v12, v29, s14, -v12
	v_fmac_f32_e32 v13, s15, v29
	s_delay_alu instid0(VALU_DEP_4) | instskip(NEXT) | instid1(VALU_DEP_1)
	v_fma_f32 v29, v10, s44, -v30
	v_dual_fmac_f32 v11, s45, v10 :: v_dual_add_f32 v10, v12, v29
	v_add_co_u32 v12, vcc_lo, v6, v4
	s_delay_alu instid0(VALU_DEP_2)
	v_add_f32_e32 v11, v13, v11
	s_wait_alu 0xfffd
	v_add_co_ci_u32_e64 v13, null, v7, v5, vcc_lo
	flat_store_b64 v[12:13], v[10:11] offset:128
	s_wait_alu 0xfffe
	s_or_b32 exec_lo, exec_lo, s21
	s_delay_alu instid0(SALU_CYCLE_1)
	s_and_b32 exec_lo, exec_lo, s3
	s_cbranch_execz .LBB256_2
.LBB256_34:                             ;   in Loop: Header=BB256_4 Depth=1
	v_add_co_u32 v8, vcc_lo, v8, s18
	s_lshl_b64 s[28:29], s[8:9], 3
	s_wait_alu 0xfffd
	v_add_co_ci_u32_e64 v9, null, s19, v9, vcc_lo
	s_wait_alu 0xfffe
	v_add_co_u32 v6, vcc_lo, v6, s28
	s_wait_alu 0xfffd
	v_add_co_ci_u32_e64 v7, null, s29, v7, vcc_lo
	v_add_co_u32 v8, vcc_lo, v8, v4
	s_wait_alu 0xfffd
	v_add_co_ci_u32_e64 v9, null, v9, v5, vcc_lo
	;; [unrolled: 3-line block ×3, first 2 shown]
	s_and_saveexec_b32 s21, s1
	s_cbranch_execz .LBB256_36
; %bb.35:                               ;   in Loop: Header=BB256_4 Depth=1
	flat_load_b64 v[10:11], v[8:9]
	v_mul_f32_e32 v12, s15, v28
	s_wait_loadcnt_dscnt 0x0
	v_dual_mul_f32 v13, s14, v28 :: v_dual_mul_f32 v28, s45, v11
	v_mul_f32_e32 v11, s44, v11
	s_delay_alu instid0(VALU_DEP_3) | instskip(NEXT) | instid1(VALU_DEP_3)
	v_fma_f32 v12, v27, s14, -v12
	v_fmac_f32_e32 v13, s15, v27
	s_delay_alu instid0(VALU_DEP_4) | instskip(NEXT) | instid1(VALU_DEP_1)
	v_fma_f32 v27, v10, s44, -v28
	v_dual_fmac_f32 v11, s45, v10 :: v_dual_add_f32 v10, v12, v27
	s_delay_alu instid0(VALU_DEP_1)
	v_add_f32_e32 v11, v13, v11
	flat_store_b64 v[6:7], v[10:11]
.LBB256_36:                             ;   in Loop: Header=BB256_4 Depth=1
	s_wait_alu 0xfffe
	s_or_b32 exec_lo, exec_lo, s21
	s_delay_alu instid0(SALU_CYCLE_1)
	s_and_b32 exec_lo, exec_lo, s2
	s_cbranch_execz .LBB256_2
; %bb.37:                               ;   in Loop: Header=BB256_4 Depth=1
	flat_load_b64 v[8:9], v[8:9] offset:128
	s_wait_loadcnt_dscnt 0x0
	v_mul_f32_e32 v12, s45, v9
	v_mul_f32_e32 v9, s44, v9
	s_delay_alu instid0(VALU_DEP_1) | instskip(NEXT) | instid1(VALU_DEP_3)
	v_fmac_f32_e32 v9, s45, v8
	v_fma_f32 v12, v8, s44, -v12
	v_mul_f32_e32 v11, s14, v25
	s_delay_alu instid0(VALU_DEP_1) | instskip(NEXT) | instid1(VALU_DEP_1)
	v_dual_mul_f32 v10, s15, v25 :: v_dual_fmac_f32 v11, s15, v26
	v_fma_f32 v10, v26, s14, -v10
	s_delay_alu instid0(VALU_DEP_1)
	v_dual_add_f32 v9, v11, v9 :: v_dual_add_f32 v8, v10, v12
	flat_store_b64 v[6:7], v[8:9] offset:128
	s_branch .LBB256_2
.LBB256_38:
	s_endpgm
	.section	.rodata,"a",@progbits
	.p2align	6, 0x0
	.amdhsa_kernel _ZN12_GLOBAL__N_135rocblas_gemm_batched_general_kernelI19rocblas_complex_numIfELi16ELi16ELi32ELi32ELi8ELi32ELi8ELi8ELi32ELc67ELc67EKPKS2_S5_KPS2_EEvlllT_PT11_llSA_llS8_PT12_llPT13_lli
		.amdhsa_group_segment_fixed_size 4096
		.amdhsa_private_segment_fixed_size 0
		.amdhsa_kernarg_size 140
		.amdhsa_user_sgpr_count 2
		.amdhsa_user_sgpr_dispatch_ptr 0
		.amdhsa_user_sgpr_queue_ptr 0
		.amdhsa_user_sgpr_kernarg_segment_ptr 1
		.amdhsa_user_sgpr_dispatch_id 0
		.amdhsa_user_sgpr_private_segment_size 0
		.amdhsa_wavefront_size32 1
		.amdhsa_uses_dynamic_stack 0
		.amdhsa_enable_private_segment 0
		.amdhsa_system_sgpr_workgroup_id_x 1
		.amdhsa_system_sgpr_workgroup_id_y 1
		.amdhsa_system_sgpr_workgroup_id_z 1
		.amdhsa_system_sgpr_workgroup_info 0
		.amdhsa_system_vgpr_workitem_id 1
		.amdhsa_next_free_vgpr 71
		.amdhsa_next_free_sgpr 47
		.amdhsa_reserve_vcc 1
		.amdhsa_float_round_mode_32 0
		.amdhsa_float_round_mode_16_64 0
		.amdhsa_float_denorm_mode_32 3
		.amdhsa_float_denorm_mode_16_64 3
		.amdhsa_fp16_overflow 0
		.amdhsa_workgroup_processor_mode 1
		.amdhsa_memory_ordered 1
		.amdhsa_forward_progress 1
		.amdhsa_inst_pref_size 29
		.amdhsa_round_robin_scheduling 0
		.amdhsa_exception_fp_ieee_invalid_op 0
		.amdhsa_exception_fp_denorm_src 0
		.amdhsa_exception_fp_ieee_div_zero 0
		.amdhsa_exception_fp_ieee_overflow 0
		.amdhsa_exception_fp_ieee_underflow 0
		.amdhsa_exception_fp_ieee_inexact 0
		.amdhsa_exception_int_div_zero 0
	.end_amdhsa_kernel
	.section	.text._ZN12_GLOBAL__N_135rocblas_gemm_batched_general_kernelI19rocblas_complex_numIfELi16ELi16ELi32ELi32ELi8ELi32ELi8ELi8ELi32ELc67ELc67EKPKS2_S5_KPS2_EEvlllT_PT11_llSA_llS8_PT12_llPT13_lli,"axG",@progbits,_ZN12_GLOBAL__N_135rocblas_gemm_batched_general_kernelI19rocblas_complex_numIfELi16ELi16ELi32ELi32ELi8ELi32ELi8ELi8ELi32ELc67ELc67EKPKS2_S5_KPS2_EEvlllT_PT11_llSA_llS8_PT12_llPT13_lli,comdat
.Lfunc_end256:
	.size	_ZN12_GLOBAL__N_135rocblas_gemm_batched_general_kernelI19rocblas_complex_numIfELi16ELi16ELi32ELi32ELi8ELi32ELi8ELi8ELi32ELc67ELc67EKPKS2_S5_KPS2_EEvlllT_PT11_llSA_llS8_PT12_llPT13_lli, .Lfunc_end256-_ZN12_GLOBAL__N_135rocblas_gemm_batched_general_kernelI19rocblas_complex_numIfELi16ELi16ELi32ELi32ELi8ELi32ELi8ELi8ELi32ELc67ELc67EKPKS2_S5_KPS2_EEvlllT_PT11_llSA_llS8_PT12_llPT13_lli
                                        ; -- End function
	.set _ZN12_GLOBAL__N_135rocblas_gemm_batched_general_kernelI19rocblas_complex_numIfELi16ELi16ELi32ELi32ELi8ELi32ELi8ELi8ELi32ELc67ELc67EKPKS2_S5_KPS2_EEvlllT_PT11_llSA_llS8_PT12_llPT13_lli.num_vgpr, 71
	.set _ZN12_GLOBAL__N_135rocblas_gemm_batched_general_kernelI19rocblas_complex_numIfELi16ELi16ELi32ELi32ELi8ELi32ELi8ELi8ELi32ELc67ELc67EKPKS2_S5_KPS2_EEvlllT_PT11_llSA_llS8_PT12_llPT13_lli.num_agpr, 0
	.set _ZN12_GLOBAL__N_135rocblas_gemm_batched_general_kernelI19rocblas_complex_numIfELi16ELi16ELi32ELi32ELi8ELi32ELi8ELi8ELi32ELc67ELc67EKPKS2_S5_KPS2_EEvlllT_PT11_llSA_llS8_PT12_llPT13_lli.numbered_sgpr, 47
	.set _ZN12_GLOBAL__N_135rocblas_gemm_batched_general_kernelI19rocblas_complex_numIfELi16ELi16ELi32ELi32ELi8ELi32ELi8ELi8ELi32ELc67ELc67EKPKS2_S5_KPS2_EEvlllT_PT11_llSA_llS8_PT12_llPT13_lli.num_named_barrier, 0
	.set _ZN12_GLOBAL__N_135rocblas_gemm_batched_general_kernelI19rocblas_complex_numIfELi16ELi16ELi32ELi32ELi8ELi32ELi8ELi8ELi32ELc67ELc67EKPKS2_S5_KPS2_EEvlllT_PT11_llSA_llS8_PT12_llPT13_lli.private_seg_size, 0
	.set _ZN12_GLOBAL__N_135rocblas_gemm_batched_general_kernelI19rocblas_complex_numIfELi16ELi16ELi32ELi32ELi8ELi32ELi8ELi8ELi32ELc67ELc67EKPKS2_S5_KPS2_EEvlllT_PT11_llSA_llS8_PT12_llPT13_lli.uses_vcc, 1
	.set _ZN12_GLOBAL__N_135rocblas_gemm_batched_general_kernelI19rocblas_complex_numIfELi16ELi16ELi32ELi32ELi8ELi32ELi8ELi8ELi32ELc67ELc67EKPKS2_S5_KPS2_EEvlllT_PT11_llSA_llS8_PT12_llPT13_lli.uses_flat_scratch, 0
	.set _ZN12_GLOBAL__N_135rocblas_gemm_batched_general_kernelI19rocblas_complex_numIfELi16ELi16ELi32ELi32ELi8ELi32ELi8ELi8ELi32ELc67ELc67EKPKS2_S5_KPS2_EEvlllT_PT11_llSA_llS8_PT12_llPT13_lli.has_dyn_sized_stack, 0
	.set _ZN12_GLOBAL__N_135rocblas_gemm_batched_general_kernelI19rocblas_complex_numIfELi16ELi16ELi32ELi32ELi8ELi32ELi8ELi8ELi32ELc67ELc67EKPKS2_S5_KPS2_EEvlllT_PT11_llSA_llS8_PT12_llPT13_lli.has_recursion, 0
	.set _ZN12_GLOBAL__N_135rocblas_gemm_batched_general_kernelI19rocblas_complex_numIfELi16ELi16ELi32ELi32ELi8ELi32ELi8ELi8ELi32ELc67ELc67EKPKS2_S5_KPS2_EEvlllT_PT11_llSA_llS8_PT12_llPT13_lli.has_indirect_call, 0
	.section	.AMDGPU.csdata,"",@progbits
; Kernel info:
; codeLenInByte = 3616
; TotalNumSgprs: 49
; NumVgprs: 71
; ScratchSize: 0
; MemoryBound: 0
; FloatMode: 240
; IeeeMode: 1
; LDSByteSize: 4096 bytes/workgroup (compile time only)
; SGPRBlocks: 0
; VGPRBlocks: 8
; NumSGPRsForWavesPerEU: 49
; NumVGPRsForWavesPerEU: 71
; Occupancy: 16
; WaveLimiterHint : 1
; COMPUTE_PGM_RSRC2:SCRATCH_EN: 0
; COMPUTE_PGM_RSRC2:USER_SGPR: 2
; COMPUTE_PGM_RSRC2:TRAP_HANDLER: 0
; COMPUTE_PGM_RSRC2:TGID_X_EN: 1
; COMPUTE_PGM_RSRC2:TGID_Y_EN: 1
; COMPUTE_PGM_RSRC2:TGID_Z_EN: 1
; COMPUTE_PGM_RSRC2:TIDIG_COMP_CNT: 1
	.section	.text._ZN12_GLOBAL__N_135rocblas_gemm_batched_general_kernelI19rocblas_complex_numIfELi16ELi16ELi32ELi32ELi8ELi32ELi8ELi8ELi32ELc67ELc78EKPKS2_S5_KPS2_EEvlllT_PT11_llSA_llS8_PT12_llPT13_lli,"axG",@progbits,_ZN12_GLOBAL__N_135rocblas_gemm_batched_general_kernelI19rocblas_complex_numIfELi16ELi16ELi32ELi32ELi8ELi32ELi8ELi8ELi32ELc67ELc78EKPKS2_S5_KPS2_EEvlllT_PT11_llSA_llS8_PT12_llPT13_lli,comdat
	.globl	_ZN12_GLOBAL__N_135rocblas_gemm_batched_general_kernelI19rocblas_complex_numIfELi16ELi16ELi32ELi32ELi8ELi32ELi8ELi8ELi32ELc67ELc78EKPKS2_S5_KPS2_EEvlllT_PT11_llSA_llS8_PT12_llPT13_lli ; -- Begin function _ZN12_GLOBAL__N_135rocblas_gemm_batched_general_kernelI19rocblas_complex_numIfELi16ELi16ELi32ELi32ELi8ELi32ELi8ELi8ELi32ELc67ELc78EKPKS2_S5_KPS2_EEvlllT_PT11_llSA_llS8_PT12_llPT13_lli
	.p2align	8
	.type	_ZN12_GLOBAL__N_135rocblas_gemm_batched_general_kernelI19rocblas_complex_numIfELi16ELi16ELi32ELi32ELi8ELi32ELi8ELi8ELi32ELc67ELc78EKPKS2_S5_KPS2_EEvlllT_PT11_llSA_llS8_PT12_llPT13_lli,@function
_ZN12_GLOBAL__N_135rocblas_gemm_batched_general_kernelI19rocblas_complex_numIfELi16ELi16ELi32ELi32ELi8ELi32ELi8ELi8ELi32ELc67ELc78EKPKS2_S5_KPS2_EEvlllT_PT11_llSA_llS8_PT12_llPT13_lli: ; @_ZN12_GLOBAL__N_135rocblas_gemm_batched_general_kernelI19rocblas_complex_numIfELi16ELi16ELi32ELi32ELi8ELi32ELi8ELi8ELi32ELc67ELc78EKPKS2_S5_KPS2_EEvlllT_PT11_llSA_llS8_PT12_llPT13_lli
; %bb.0:
	s_load_b32 s33, s[0:1], 0x88
	s_lshr_b32 s34, ttmp7, 16
	s_wait_kmcnt 0x0
	s_cmp_ge_i32 s34, s33
	s_cbranch_scc1 .LBB257_38
; %bb.1:
	v_bfe_u32 v5, v0, 10, 10
	v_and_b32_e32 v6, 0x3ff, v0
	s_clause 0x3
	s_load_b256 s[8:15], s[0:1], 0x0
	s_load_b256 s[16:23], s[0:1], 0x20
	s_load_b128 s[36:39], s[0:1], 0x78
	s_load_b256 s[24:31], s[0:1], 0x58
	s_mov_b32 s2, ttmp9
	s_ashr_i32 s3, ttmp9, 31
	v_lshl_add_u32 v1, v5, 4, v6
	v_and_b32_e32 v17, 7, v0
	s_lshl_b64 s[2:3], s[2:3], 5
	s_clause 0x1
	s_load_b128 s[40:43], s[0:1], 0x40
	s_load_b64 s[44:45], s[0:1], 0x50
	s_and_b32 s0, ttmp7, 0xffff
	v_dual_mov_b32 v2, s3 :: v_dual_and_b32 v3, 31, v1
	v_lshrrev_b32_e32 v0, 3, v1
	s_lshl_b32 s0, s0, 5
	v_lshrrev_b32_e32 v16, 5, v1
	s_delay_alu instid0(VALU_DEP_3)
	v_or_b32_e32 v1, s2, v3
	v_lshlrev_b32_e32 v7, 3, v3
	v_add_co_u32 v3, s1, v0, s0
	s_wait_alu 0xf1ff
	v_add_co_ci_u32_e64 v4, null, 0, 0, s1
	s_wait_kmcnt 0x0
	v_cmp_gt_i64_e32 vcc_lo, s[8:9], v[1:2]
	v_lshl_add_u32 v21, v5, 6, 0x800
	v_mad_co_u64_u32 v[25:26], null, s18, v1, 0
	v_cmp_gt_i64_e64 s4, s[10:11], v[3:4]
	v_add_co_u32 v4, s0, s0, v5
	s_wait_alu 0xf1ff
	v_add_co_ci_u32_e64 v5, null, 0, 0, s0
	v_mad_co_u64_u32 v[14:15], null, s40, v3, 0
	s_delay_alu instid0(VALU_DEP_3)
	v_mad_co_u64_u32 v[12:13], null, v4, s26, 0
	v_lshlrev_b32_e32 v29, 3, v17
	s_or_b32 s1, s44, s45
	s_mov_b32 s35, 0
	s_wait_alu 0xfffe
	s_bitset0_b32 s1, 31
	v_lshl_or_b32 v8, v0, 6, v29
	s_wait_alu 0xfffe
	s_cmp_eq_u32 s1, 0
	v_mov_b32_e32 v0, 0
	s_cselect_b32 s46, -1, 0
	s_lshl_b64 s[6:7], s[42:43], 3
	v_add_nc_u32_e32 v19, 0x800, v8
	v_mad_co_u64_u32 v[8:9], null, v4, s36, 0
	s_delay_alu instid0(VALU_DEP_1) | instskip(SKIP_1) | instid1(VALU_DEP_2)
	v_mov_b32_e32 v2, v9
	v_lshl_or_b32 v18, v16, 8, v7
	v_mad_co_u64_u32 v[22:23], null, v4, s37, v[2:3]
	v_lshlrev_b32_e32 v20, 3, v6
	v_add_co_u32 v6, s0, s2, v6
	s_wait_alu 0xf1ff
	v_add_co_ci_u32_e64 v7, null, s3, 0, s0
	v_cmp_gt_i64_e64 s0, s[10:11], v[4:5]
	s_delay_alu instid0(VALU_DEP_3) | instskip(SKIP_1) | instid1(VALU_DEP_3)
	v_add_co_u32 v10, s2, v6, 16
	s_wait_alu 0xf1ff
	v_add_co_ci_u32_e64 v11, null, 0, v7, s2
	v_add_co_u32 v23, s2, v4, 16
	s_wait_alu 0xf1ff
	v_add_co_ci_u32_e64 v24, null, 0, v5, s2
	v_dual_mov_b32 v5, v15 :: v_dual_mov_b32 v2, v13
	v_mul_lo_u32 v13, s19, v1
	s_mul_i32 s3, s18, s3
	s_lshl_b64 s[18:19], s[20:21], 3
	s_delay_alu instid0(VALU_DEP_2) | instskip(SKIP_3) | instid1(VALU_DEP_4)
	v_mad_co_u64_u32 v[27:28], null, s41, v3, v[5:6]
	v_mad_co_u64_u32 v[1:2], null, v4, s27, v[2:3]
	v_lshlrev_b32_e32 v5, 3, v16
	s_wait_alu 0xfffe
	v_add3_u32 v26, v26, s3, v13
	v_mov_b32_e32 v9, v22
	v_cmp_gt_i64_e64 s1, s[8:9], v[6:7]
	v_mov_b32_e32 v15, v27
	v_cmp_gt_i64_e64 s2, s[8:9], v[10:11]
	v_mov_b32_e32 v13, v1
	v_lshlrev_b64_e32 v[1:2], 3, v[25:26]
	v_cmp_gt_i64_e64 s3, s[10:11], v[23:24]
	v_lshlrev_b64_e32 v[3:4], 3, v[14:15]
	v_cmp_gt_i64_e64 s20, s[12:13], 0
	v_lshlrev_b64_e32 v[6:7], 3, v[6:7]
	s_lshl_b64 s[10:11], s[26:27], 4
	v_add_co_u32 v1, s5, v1, s18
	v_add_co_u32 v3, s6, v3, s6
	s_wait_alu 0xf1ff
	v_add_co_ci_u32_e64 v4, null, s7, v4, s6
	v_add_co_ci_u32_e64 v2, null, s19, v2, s5
	v_add_co_u32 v1, s5, v1, v5
	v_add_co_u32 v22, s6, v3, v29
	s_wait_alu 0xf1ff
	v_add_co_ci_u32_e64 v23, null, 0, v4, s6
	v_add_co_ci_u32_e64 v24, null, 0, v2, s5
	v_lshlrev_b64_e32 v[2:3], 3, v[12:13]
	v_lshlrev_b64_e32 v[4:5], 3, v[8:9]
	v_or_b32_e32 v25, 4, v1
	s_lshl_b64 s[8:9], s[36:37], 4
	s_xor_b32 s21, vcc_lo, -1
	s_xor_b32 s26, s4, -1
	s_lshl_b64 s[4:5], s[38:39], 3
	s_lshl_b64 s[6:7], s[28:29], 3
	s_wait_alu 0xfffe
	s_lshl_b64 s[10:11], s[10:11], 3
	s_branch .LBB257_4
.LBB257_2:                              ;   in Loop: Header=BB257_4 Depth=1
	s_wait_alu 0xfffe
	s_or_b32 exec_lo, exec_lo, s18
.LBB257_3:                              ;   in Loop: Header=BB257_4 Depth=1
	s_add_co_i32 s34, s34, 0x10000
	s_delay_alu instid0(SALU_CYCLE_1)
	s_cmp_lt_i32 s34, s33
	s_cbranch_scc0 .LBB257_38
.LBB257_4:                              ; =>This Loop Header: Depth=1
                                        ;     Child Loop BB257_7 Depth 2
	s_lshl_b64 s[18:19], s[34:35], 3
	v_dual_mov_b32 v32, v0 :: v_dual_mov_b32 v33, v0
	s_wait_alu 0xfffe
	s_add_nc_u64 s[28:29], s[24:25], s[18:19]
	s_add_nc_u64 s[36:37], s[30:31], s[18:19]
	s_clause 0x1
	global_load_b64 v[8:9], v0, s[28:29]
	global_load_b64 v[10:11], v0, s[36:37]
	v_dual_mov_b32 v30, v0 :: v_dual_mov_b32 v31, v0
	v_dual_mov_b32 v28, v0 :: v_dual_mov_b32 v29, v0
	;; [unrolled: 1-line block ×3, first 2 shown]
	s_and_not1_b32 vcc_lo, exec_lo, s20
	s_wait_alu 0xfffe
	s_cbranch_vccnz .LBB257_15
; %bb.5:                                ;   in Loop: Header=BB257_4 Depth=1
	s_add_nc_u64 s[28:29], s[22:23], s[18:19]
	s_add_nc_u64 s[18:19], s[16:17], s[18:19]
	s_clause 0x1
	global_load_b64 v[12:13], v0, s[28:29]
	global_load_b64 v[14:15], v0, s[18:19]
	v_dual_mov_b32 v26, 0 :: v_dual_mov_b32 v27, 0
	v_dual_mov_b32 v29, 0 :: v_dual_mov_b32 v28, 0
	;; [unrolled: 1-line block ×4, first 2 shown]
	s_mov_b64 s[18:19], 0
	s_wait_loadcnt 0x1
	v_add_co_u32 v12, vcc_lo, v12, v22
	s_wait_alu 0xfffd
	v_add_co_ci_u32_e64 v13, null, v13, v23, vcc_lo
	s_wait_loadcnt 0x0
	v_add_co_u32 v14, vcc_lo, v14, v25
	s_wait_alu 0xfffd
	v_add_co_ci_u32_e64 v15, null, v15, v24, vcc_lo
	s_branch .LBB257_7
.LBB257_6:                              ;   in Loop: Header=BB257_7 Depth=2
	s_wait_alu 0xfffe
	s_or_b32 exec_lo, exec_lo, s27
	s_wait_dscnt 0x0
	s_barrier_signal -1
	s_barrier_wait -1
	global_inv scope:SCOPE_SE
	ds_load_b128 v[34:37], v21
	ds_load_2addr_b64 v[38:41], v20 offset1:16
	ds_load_b128 v[42:45], v21 offset:1024
	ds_load_b128 v[46:49], v21 offset:16
	ds_load_b128 v[50:53], v21 offset:32
	ds_load_b128 v[54:57], v21 offset:48
	ds_load_2addr_b64 v[58:61], v20 offset0:32 offset1:48
	ds_load_b128 v[62:65], v21 offset:1040
	s_add_nc_u64 s[18:19], s[18:19], 8
	v_add_co_u32 v12, vcc_lo, v12, 64
	s_wait_alu 0xfffe
	v_cmp_lt_i64_e64 s27, s[18:19], s[12:13]
	s_wait_alu 0xfffd
	v_add_co_ci_u32_e64 v13, null, 0, v13, vcc_lo
	v_add_co_u32 v14, vcc_lo, v14, 64
	s_wait_alu 0xfffd
	v_add_co_ci_u32_e64 v15, null, 0, v15, vcc_lo
	s_and_b32 vcc_lo, exec_lo, s27
	s_wait_dscnt 0x6
	v_dual_mul_f32 v1, v35, v39 :: v_dual_mul_f32 v68, v34, v41
	v_dual_mul_f32 v66, v34, v39 :: v_dual_mul_f32 v67, v35, v41
	s_wait_dscnt 0x5
	v_mul_f32_e32 v70, v43, v41
	s_delay_alu instid0(VALU_DEP_3) | instskip(SKIP_3) | instid1(VALU_DEP_4)
	v_fma_f32 v1, v34, v38, -v1
	v_dual_mul_f32 v41, v42, v41 :: v_dual_fmac_f32 v68, v35, v40
	v_fmac_f32_e32 v66, v35, v38
	v_fma_f32 v34, v34, v40, -v67
	v_add_f32_e32 v1, v32, v1
	v_mul_f32_e32 v69, v43, v39
	s_delay_alu instid0(VALU_DEP_4) | instskip(NEXT) | instid1(VALU_DEP_4)
	v_dual_mul_f32 v39, v42, v39 :: v_dual_add_f32 v32, v33, v66
	v_add_f32_e32 v33, v30, v34
	v_fmac_f32_e32 v41, v43, v40
	s_delay_alu instid0(VALU_DEP_4) | instskip(NEXT) | instid1(VALU_DEP_4)
	v_fma_f32 v35, v42, v38, -v69
	v_fmac_f32_e32 v39, v43, v38
	v_fma_f32 v38, v42, v40, -v70
	s_wait_dscnt 0x1
	v_dual_mul_f32 v40, v36, v59 :: v_dual_add_f32 v31, v31, v68
	v_mul_f32_e32 v42, v37, v61
	v_add_f32_e32 v34, v28, v35
	v_dual_add_f32 v35, v29, v39 :: v_dual_add_f32 v38, v27, v38
	ds_load_2addr_b64 v[27:30], v20 offset0:64 offset1:80
	v_fmac_f32_e32 v40, v37, v58
	v_dual_mul_f32 v39, v37, v59 :: v_dual_add_f32 v26, v26, v41
	v_mul_f32_e32 v41, v36, v61
	s_delay_alu instid0(VALU_DEP_3) | instskip(NEXT) | instid1(VALU_DEP_3)
	v_add_f32_e32 v40, v32, v40
	v_fma_f32 v39, v36, v58, -v39
	v_fma_f32 v36, v36, v60, -v42
	v_mul_f32_e32 v32, v44, v59
	s_delay_alu instid0(VALU_DEP_3) | instskip(SKIP_1) | instid1(VALU_DEP_4)
	v_add_f32_e32 v1, v1, v39
	v_mul_f32_e32 v39, v45, v59
	v_add_f32_e32 v36, v33, v36
	v_fmac_f32_e32 v41, v37, v60
	v_mul_f32_e32 v37, v45, v61
	v_fmac_f32_e32 v32, v45, v58
	v_fma_f32 v33, v44, v58, -v39
	s_delay_alu instid0(VALU_DEP_4) | instskip(SKIP_4) | instid1(VALU_DEP_3)
	v_add_f32_e32 v39, v31, v41
	v_mul_f32_e32 v41, v44, v61
	v_fma_f32 v31, v44, v60, -v37
	s_wait_dscnt 0x0
	v_dual_add_f32 v42, v34, v33 :: v_dual_mul_f32 v33, v47, v28
	v_dual_mul_f32 v44, v47, v30 :: v_dual_fmac_f32 v41, v45, v60
	v_mul_f32_e32 v37, v46, v28
	v_add_f32_e32 v38, v38, v31
	s_delay_alu instid0(VALU_DEP_3) | instskip(SKIP_3) | instid1(VALU_DEP_2)
	v_add_f32_e32 v41, v26, v41
	v_mul_f32_e32 v26, v46, v30
	v_fma_f32 v43, v46, v27, -v33
	v_fmac_f32_e32 v37, v47, v27
	v_dual_fmac_f32 v26, v47, v29 :: v_dual_add_f32 v1, v1, v43
	v_fma_f32 v43, v46, v29, -v44
	v_add_f32_e32 v35, v35, v32
	ds_load_2addr_b64 v[31:34], v20 offset0:96 offset1:112
	v_dual_add_f32 v37, v40, v37 :: v_dual_mul_f32 v40, v63, v28
	v_mul_f32_e32 v28, v62, v28
	v_dual_add_f32 v36, v36, v43 :: v_dual_mul_f32 v43, v63, v30
	v_mul_f32_e32 v30, v62, v30
	s_delay_alu instid0(VALU_DEP_4) | instskip(NEXT) | instid1(VALU_DEP_4)
	v_fma_f32 v40, v62, v27, -v40
	v_fmac_f32_e32 v28, v63, v27
	v_add_f32_e32 v39, v39, v26
	v_fma_f32 v26, v62, v29, -v43
	v_fmac_f32_e32 v30, v63, v29
	v_add_f32_e32 v40, v42, v40
	s_delay_alu instid0(VALU_DEP_3)
	v_dual_add_f32 v42, v35, v28 :: v_dual_add_f32 v43, v38, v26
	ds_load_2addr_b64 v[26:29], v20 offset0:128 offset1:144
	s_wait_dscnt 0x1
	v_mul_f32_e32 v35, v49, v32
	v_mul_f32_e32 v38, v48, v32
	;; [unrolled: 1-line block ×4, first 2 shown]
	s_delay_alu instid0(VALU_DEP_4) | instskip(NEXT) | instid1(VALU_DEP_4)
	v_fma_f32 v35, v48, v31, -v35
	v_fmac_f32_e32 v38, v49, v31
	s_delay_alu instid0(VALU_DEP_2) | instskip(SKIP_1) | instid1(VALU_DEP_3)
	v_add_f32_e32 v1, v1, v35
	v_mul_f32_e32 v35, v65, v32
	v_dual_mul_f32 v32, v64, v32 :: v_dual_add_f32 v45, v37, v38
	s_delay_alu instid0(VALU_DEP_2) | instskip(NEXT) | instid1(VALU_DEP_2)
	v_fma_f32 v46, v64, v31, -v35
	v_fmac_f32_e32 v32, v65, v31
	s_wait_dscnt 0x0
	v_mul_f32_e32 v31, v51, v27
	v_fma_f32 v44, v48, v33, -v44
	v_add_f32_e32 v41, v41, v30
	v_mul_f32_e32 v30, v48, v34
	v_mul_f32_e32 v58, v50, v29
	s_delay_alu instid0(VALU_DEP_4) | instskip(SKIP_2) | instid1(VALU_DEP_1)
	v_add_f32_e32 v44, v36, v44
	ds_load_b128 v[35:38], v21 offset:1056
	v_dual_fmac_f32 v30, v49, v33 :: v_dual_mul_f32 v49, v50, v27
	v_add_f32_e32 v48, v39, v30
	v_fma_f32 v30, v64, v33, -v47
	v_fma_f32 v39, v50, v26, -v31
	v_mul_f32_e32 v34, v64, v34
	v_fmac_f32_e32 v49, v51, v26
	v_add_f32_e32 v46, v40, v46
	v_add_f32_e32 v43, v43, v30
	;; [unrolled: 1-line block ×4, first 2 shown]
	v_fmac_f32_e32 v34, v65, v33
	ds_load_2addr_b64 v[30:33], v20 offset0:160 offset1:176
	v_mul_f32_e32 v40, v51, v29
	v_add_f32_e32 v45, v45, v49
	v_add_f32_e32 v34, v41, v34
	s_delay_alu instid0(VALU_DEP_3)
	v_fma_f32 v50, v50, v28, -v40
	ds_load_b128 v[39:42], v21 offset:1072
	s_wait_dscnt 0x2
	v_mul_f32_e32 v59, v36, v27
	v_dual_mul_f32 v27, v35, v27 :: v_dual_add_f32 v44, v44, v50
	v_fmac_f32_e32 v58, v51, v28
	v_mul_f32_e32 v50, v36, v29
	s_delay_alu instid0(VALU_DEP_4) | instskip(NEXT) | instid1(VALU_DEP_4)
	v_fma_f32 v49, v35, v26, -v59
	v_fmac_f32_e32 v27, v36, v26
	s_delay_alu instid0(VALU_DEP_4) | instskip(SKIP_1) | instid1(VALU_DEP_3)
	v_dual_mul_f32 v51, v35, v29 :: v_dual_add_f32 v48, v48, v58
	s_wait_dscnt 0x1
	v_dual_add_f32 v46, v46, v49 :: v_dual_mul_f32 v29, v53, v31
	v_fma_f32 v26, v35, v28, -v50
	v_add_f32_e32 v35, v47, v27
	v_fmac_f32_e32 v51, v36, v28
	v_mul_f32_e32 v36, v52, v31
	v_fma_f32 v47, v52, v30, -v29
	v_add_f32_e32 v43, v43, v26
	ds_load_2addr_b64 v[26:29], v20 offset0:192 offset1:208
	v_fmac_f32_e32 v36, v53, v30
	v_dual_mul_f32 v49, v53, v33 :: v_dual_add_f32 v50, v34, v51
	v_dual_add_f32 v1, v1, v47 :: v_dual_mul_f32 v34, v52, v33
	s_delay_alu instid0(VALU_DEP_3) | instskip(NEXT) | instid1(VALU_DEP_3)
	v_dual_add_f32 v45, v45, v36 :: v_dual_mul_f32 v36, v38, v31
	v_fma_f32 v47, v52, v32, -v49
	s_delay_alu instid0(VALU_DEP_3) | instskip(NEXT) | instid1(VALU_DEP_3)
	v_fmac_f32_e32 v34, v53, v32
	v_fma_f32 v36, v37, v30, -v36
	s_delay_alu instid0(VALU_DEP_3) | instskip(SKIP_1) | instid1(VALU_DEP_3)
	v_dual_add_f32 v44, v44, v47 :: v_dual_mul_f32 v47, v38, v33
	v_mul_f32_e32 v31, v37, v31
	v_dual_mul_f32 v33, v37, v33 :: v_dual_add_f32 v46, v46, v36
	s_delay_alu instid0(VALU_DEP_2) | instskip(SKIP_2) | instid1(VALU_DEP_4)
	v_fmac_f32_e32 v31, v38, v30
	v_add_f32_e32 v30, v48, v34
	v_fma_f32 v34, v37, v32, -v47
	v_fmac_f32_e32 v33, v38, v32
	s_wait_dscnt 0x0
	v_mul_f32_e32 v38, v54, v27
	v_dual_add_f32 v31, v35, v31 :: v_dual_mul_f32 v48, v54, v29
	v_add_f32_e32 v32, v43, v34
	ds_load_2addr_b64 v[34:37], v20 offset0:224 offset1:240
	v_dual_add_f32 v33, v50, v33 :: v_dual_fmac_f32 v38, v55, v26
	v_mul_f32_e32 v47, v55, v27
	v_fmac_f32_e32 v48, v55, v28
	s_wait_loadcnt_dscnt 0x0
	s_barrier_signal -1
	v_add_f32_e32 v38, v45, v38
	v_fma_f32 v43, v54, v26, -v47
	v_mul_f32_e32 v47, v55, v29
	v_mul_f32_e32 v45, v40, v29
	;; [unrolled: 1-line block ×3, first 2 shown]
	s_barrier_wait -1
	v_add_f32_e32 v1, v1, v43
	v_fma_f32 v47, v54, v28, -v47
	v_mul_f32_e32 v43, v40, v27
	v_fmac_f32_e32 v29, v40, v28
	global_inv scope:SCOPE_SE
	v_dual_add_f32 v44, v44, v47 :: v_dual_add_f32 v47, v30, v48
	v_fma_f32 v30, v39, v28, -v45
	v_mul_f32_e32 v27, v39, v27
	s_delay_alu instid0(VALU_DEP_1) | instskip(NEXT) | instid1(VALU_DEP_3)
	v_fmac_f32_e32 v27, v40, v26
	v_add_f32_e32 v40, v32, v30
	v_mul_f32_e32 v30, v57, v37
	v_fma_f32 v43, v39, v26, -v43
	v_mul_f32_e32 v39, v57, v35
	s_delay_alu instid0(VALU_DEP_2) | instskip(NEXT) | instid1(VALU_DEP_2)
	v_add_f32_e32 v26, v46, v43
	v_fma_f32 v28, v56, v34, -v39
	v_add_f32_e32 v39, v33, v29
	v_mul_f32_e32 v29, v41, v35
	s_delay_alu instid0(VALU_DEP_3) | instskip(SKIP_4) | instid1(VALU_DEP_4)
	v_add_f32_e32 v32, v1, v28
	v_fma_f32 v1, v56, v36, -v30
	v_mul_f32_e32 v28, v42, v35
	v_add_f32_e32 v27, v31, v27
	v_mul_f32_e32 v31, v56, v37
	v_dual_fmac_f32 v29, v42, v34 :: v_dual_add_f32 v30, v44, v1
	s_delay_alu instid0(VALU_DEP_4) | instskip(SKIP_3) | instid1(VALU_DEP_4)
	v_fma_f32 v1, v41, v34, -v28
	v_mul_f32_e32 v43, v56, v35
	v_mul_f32_e32 v35, v42, v37
	v_mul_f32_e32 v37, v41, v37
	v_dual_fmac_f32 v31, v57, v36 :: v_dual_add_f32 v28, v26, v1
	s_delay_alu instid0(VALU_DEP_4) | instskip(NEXT) | instid1(VALU_DEP_4)
	v_fmac_f32_e32 v43, v57, v34
	v_fma_f32 v34, v41, v36, -v35
	s_delay_alu instid0(VALU_DEP_4) | instskip(NEXT) | instid1(VALU_DEP_4)
	v_fmac_f32_e32 v37, v42, v36
	v_add_f32_e32 v31, v47, v31
	v_add_f32_e32 v29, v27, v29
	;; [unrolled: 1-line block ×3, first 2 shown]
	s_delay_alu instid0(VALU_DEP_4)
	v_dual_add_f32 v27, v40, v34 :: v_dual_add_f32 v26, v39, v37
	s_wait_alu 0xfffe
	s_cbranch_vccz .LBB257_15
.LBB257_7:                              ;   Parent Loop BB257_4 Depth=1
                                        ; =>  This Inner Loop Header: Depth=2
	s_wait_alu 0xfffe
	v_add_co_u32 v34, s27, v16, s18
	s_wait_alu 0xf1ff
	v_add_co_ci_u32_e64 v35, null, 0, s19, s27
	s_delay_alu instid0(VALU_DEP_1)
	v_cmp_le_i64_e32 vcc_lo, s[12:13], v[34:35]
	s_or_b32 s27, s21, vcc_lo
	s_wait_alu 0xfffe
	s_and_saveexec_b32 s28, s27
	s_wait_alu 0xfffe
	s_xor_b32 s27, exec_lo, s28
; %bb.8:                                ;   in Loop: Header=BB257_7 Depth=2
	ds_store_b32 v18, v0
; %bb.9:                                ;   in Loop: Header=BB257_7 Depth=2
	s_wait_alu 0xfffe
	s_or_saveexec_b32 s27, s27
	v_mov_b32_e32 v1, 0
	s_wait_alu 0xfffe
	s_xor_b32 exec_lo, exec_lo, s27
	s_cbranch_execz .LBB257_11
; %bb.10:                               ;   in Loop: Header=BB257_7 Depth=2
	flat_load_b64 v[34:35], v[14:15] offset:-4
	s_wait_loadcnt_dscnt 0x0
	v_xor_b32_e32 v1, 0x80000000, v35
	ds_store_b32 v18, v34
.LBB257_11:                             ;   in Loop: Header=BB257_7 Depth=2
	s_or_b32 exec_lo, exec_lo, s27
	v_add_co_u32 v34, s27, v17, s18
	s_wait_alu 0xf1ff
	v_add_co_ci_u32_e64 v35, null, 0, s19, s27
	ds_store_b32 v18, v1 offset:4
	v_cmp_le_i64_e32 vcc_lo, s[12:13], v[34:35]
	s_or_b32 s27, vcc_lo, s26
	s_wait_alu 0xfffe
	s_and_saveexec_b32 s28, s27
	s_wait_alu 0xfffe
	s_xor_b32 s27, exec_lo, s28
; %bb.12:                               ;   in Loop: Header=BB257_7 Depth=2
	v_mov_b32_e32 v1, v0
	ds_store_b64 v19, v[0:1]
; %bb.13:                               ;   in Loop: Header=BB257_7 Depth=2
	s_wait_alu 0xfffe
	s_and_not1_saveexec_b32 s27, s27
	s_cbranch_execz .LBB257_6
; %bb.14:                               ;   in Loop: Header=BB257_7 Depth=2
	flat_load_b64 v[34:35], v[12:13]
	s_wait_loadcnt_dscnt 0x0
	ds_store_b64 v19, v[34:35]
	s_branch .LBB257_6
.LBB257_15:                             ;   in Loop: Header=BB257_4 Depth=1
	s_wait_loadcnt 0x0
	v_add_co_u32 v1, vcc_lo, v10, s4
	s_wait_alu 0xfffd
	v_add_co_ci_u32_e64 v12, null, s5, v11, vcc_lo
	s_and_not1_b32 vcc_lo, exec_lo, s46
	s_mov_b32 s18, -1
	s_wait_alu 0xfffe
	s_cbranch_vccz .LBB257_17
; %bb.16:                               ;   in Loop: Header=BB257_4 Depth=1
	s_and_not1_b32 vcc_lo, exec_lo, s18
	s_wait_alu 0xfffe
	s_cbranch_vccnz .LBB257_3
	s_branch .LBB257_28
.LBB257_17:                             ;   in Loop: Header=BB257_4 Depth=1
	s_and_saveexec_b32 s18, s0
	s_cbranch_execz .LBB257_27
; %bb.18:                               ;   in Loop: Header=BB257_4 Depth=1
	v_add_co_u32 v10, vcc_lo, v1, v4
	s_wait_alu 0xfffd
	v_add_co_ci_u32_e64 v11, null, v12, v5, vcc_lo
	s_and_saveexec_b32 s19, s1
	s_cbranch_execnz .LBB257_21
; %bb.19:                               ;   in Loop: Header=BB257_4 Depth=1
	s_wait_alu 0xfffe
	s_or_b32 exec_lo, exec_lo, s19
	s_and_saveexec_b32 s19, s2
	s_cbranch_execnz .LBB257_22
.LBB257_20:                             ;   in Loop: Header=BB257_4 Depth=1
	s_wait_alu 0xfffe
	s_or_b32 exec_lo, exec_lo, s19
	s_delay_alu instid0(SALU_CYCLE_1)
	s_and_b32 exec_lo, exec_lo, s3
	s_cbranch_execnz .LBB257_23
	s_branch .LBB257_27
.LBB257_21:                             ;   in Loop: Header=BB257_4 Depth=1
	v_mul_f32_e32 v14, s14, v33
	v_mul_f32_e32 v13, s15, v33
	v_add_co_u32 v34, vcc_lo, v10, v6
	s_wait_alu 0xfffd
	v_add_co_ci_u32_e64 v35, null, v11, v7, vcc_lo
	v_fmac_f32_e32 v14, s15, v32
	v_fma_f32 v13, v32, s14, -v13
	flat_store_b64 v[34:35], v[13:14]
	s_wait_alu 0xfffe
	s_or_b32 exec_lo, exec_lo, s19
	s_and_saveexec_b32 s19, s2
	s_cbranch_execz .LBB257_20
.LBB257_22:                             ;   in Loop: Header=BB257_4 Depth=1
	v_mul_f32_e32 v14, s14, v31
	v_mul_f32_e32 v13, s15, v31
	v_add_co_u32 v34, vcc_lo, v10, v6
	s_wait_alu 0xfffd
	v_add_co_ci_u32_e64 v35, null, v11, v7, vcc_lo
	v_fmac_f32_e32 v14, s15, v30
	v_fma_f32 v13, v30, s14, -v13
	flat_store_b64 v[34:35], v[13:14] offset:128
	s_wait_alu 0xfffe
	s_or_b32 exec_lo, exec_lo, s19
	s_delay_alu instid0(SALU_CYCLE_1)
	s_and_b32 exec_lo, exec_lo, s3
	s_cbranch_execz .LBB257_27
.LBB257_23:                             ;   in Loop: Header=BB257_4 Depth=1
	s_lshl_b64 s[28:29], s[8:9], 3
	s_wait_alu 0xfffe
	v_add_co_u32 v10, vcc_lo, v10, s28
	s_wait_alu 0xfffd
	v_add_co_ci_u32_e64 v11, null, s29, v11, vcc_lo
	s_delay_alu instid0(VALU_DEP_2) | instskip(SKIP_1) | instid1(VALU_DEP_2)
	v_add_co_u32 v10, vcc_lo, v10, v6
	s_wait_alu 0xfffd
	v_add_co_ci_u32_e64 v11, null, v11, v7, vcc_lo
	s_and_saveexec_b32 s19, s1
	s_cbranch_execz .LBB257_25
; %bb.24:                               ;   in Loop: Header=BB257_4 Depth=1
	v_mul_f32_e32 v14, s14, v29
	s_delay_alu instid0(VALU_DEP_1) | instskip(NEXT) | instid1(VALU_DEP_1)
	v_dual_mul_f32 v13, s15, v29 :: v_dual_fmac_f32 v14, s15, v28
	v_fma_f32 v13, v28, s14, -v13
	flat_store_b64 v[10:11], v[13:14]
.LBB257_25:                             ;   in Loop: Header=BB257_4 Depth=1
	s_wait_alu 0xfffe
	s_or_b32 exec_lo, exec_lo, s19
	s_delay_alu instid0(SALU_CYCLE_1)
	s_and_b32 exec_lo, exec_lo, s2
	s_cbranch_execz .LBB257_27
; %bb.26:                               ;   in Loop: Header=BB257_4 Depth=1
	v_mul_f32_e32 v14, s14, v26
	s_delay_alu instid0(VALU_DEP_1) | instskip(NEXT) | instid1(VALU_DEP_1)
	v_dual_mul_f32 v13, s15, v26 :: v_dual_fmac_f32 v14, s15, v27
	v_fma_f32 v13, v27, s14, -v13
	flat_store_b64 v[10:11], v[13:14] offset:128
.LBB257_27:                             ;   in Loop: Header=BB257_4 Depth=1
	s_wait_alu 0xfffe
	s_or_b32 exec_lo, exec_lo, s18
	s_cbranch_execnz .LBB257_3
.LBB257_28:                             ;   in Loop: Header=BB257_4 Depth=1
	s_and_saveexec_b32 s18, s0
	s_cbranch_execz .LBB257_2
; %bb.29:                               ;   in Loop: Header=BB257_4 Depth=1
	v_add_co_u32 v8, vcc_lo, v8, s6
	s_wait_alu 0xfffd
	v_add_co_ci_u32_e64 v10, null, s7, v9, vcc_lo
	s_delay_alu instid0(VALU_DEP_2) | instskip(SKIP_1) | instid1(VALU_DEP_2)
	v_add_co_u32 v9, vcc_lo, v8, v2
	s_wait_alu 0xfffd
	v_add_co_ci_u32_e64 v10, null, v10, v3, vcc_lo
	v_add_co_u32 v1, vcc_lo, v1, v4
	s_wait_alu 0xfffd
	v_add_co_ci_u32_e64 v8, null, v12, v5, vcc_lo
	s_and_saveexec_b32 s19, s1
	s_cbranch_execnz .LBB257_32
; %bb.30:                               ;   in Loop: Header=BB257_4 Depth=1
	s_wait_alu 0xfffe
	s_or_b32 exec_lo, exec_lo, s19
	s_and_saveexec_b32 s19, s2
	s_cbranch_execnz .LBB257_33
.LBB257_31:                             ;   in Loop: Header=BB257_4 Depth=1
	s_wait_alu 0xfffe
	s_or_b32 exec_lo, exec_lo, s19
	s_delay_alu instid0(SALU_CYCLE_1)
	s_and_b32 exec_lo, exec_lo, s3
	s_cbranch_execz .LBB257_2
	s_branch .LBB257_34
.LBB257_32:                             ;   in Loop: Header=BB257_4 Depth=1
	v_add_co_u32 v11, vcc_lo, v9, v6
	s_wait_alu 0xfffd
	v_add_co_ci_u32_e64 v12, null, v10, v7, vcc_lo
	flat_load_b64 v[11:12], v[11:12]
	v_mul_f32_e32 v13, s15, v33
	s_wait_loadcnt_dscnt 0x0
	v_dual_mul_f32 v14, s14, v33 :: v_dual_mul_f32 v15, s45, v12
	v_mul_f32_e32 v12, s44, v12
	s_delay_alu instid0(VALU_DEP_3) | instskip(NEXT) | instid1(VALU_DEP_3)
	v_fma_f32 v13, v32, s14, -v13
	v_fma_f32 v15, v11, s44, -v15
	s_delay_alu instid0(VALU_DEP_4) | instskip(NEXT) | instid1(VALU_DEP_4)
	v_fmac_f32_e32 v14, s15, v32
	v_fmac_f32_e32 v12, s45, v11
	s_delay_alu instid0(VALU_DEP_3) | instskip(SKIP_1) | instid1(VALU_DEP_3)
	v_add_f32_e32 v11, v13, v15
	v_add_co_u32 v13, vcc_lo, v1, v6
	v_add_f32_e32 v12, v14, v12
	s_wait_alu 0xfffd
	v_add_co_ci_u32_e64 v14, null, v8, v7, vcc_lo
	flat_store_b64 v[13:14], v[11:12]
	s_wait_alu 0xfffe
	s_or_b32 exec_lo, exec_lo, s19
	s_and_saveexec_b32 s19, s2
	s_cbranch_execz .LBB257_31
.LBB257_33:                             ;   in Loop: Header=BB257_4 Depth=1
	v_add_co_u32 v11, vcc_lo, v9, v6
	s_wait_alu 0xfffd
	v_add_co_ci_u32_e64 v12, null, v10, v7, vcc_lo
	flat_load_b64 v[11:12], v[11:12] offset:128
	v_mul_f32_e32 v13, s15, v31
	s_wait_loadcnt_dscnt 0x0
	v_dual_mul_f32 v14, s14, v31 :: v_dual_mul_f32 v15, s45, v12
	v_mul_f32_e32 v12, s44, v12
	s_delay_alu instid0(VALU_DEP_3) | instskip(NEXT) | instid1(VALU_DEP_3)
	v_fma_f32 v13, v30, s14, -v13
	v_fma_f32 v15, v11, s44, -v15
	s_delay_alu instid0(VALU_DEP_4) | instskip(NEXT) | instid1(VALU_DEP_4)
	v_fmac_f32_e32 v14, s15, v30
	v_fmac_f32_e32 v12, s45, v11
	s_delay_alu instid0(VALU_DEP_3) | instskip(SKIP_1) | instid1(VALU_DEP_3)
	v_add_f32_e32 v11, v13, v15
	v_add_co_u32 v13, vcc_lo, v1, v6
	v_add_f32_e32 v12, v14, v12
	s_wait_alu 0xfffd
	v_add_co_ci_u32_e64 v14, null, v8, v7, vcc_lo
	flat_store_b64 v[13:14], v[11:12] offset:128
	s_wait_alu 0xfffe
	s_or_b32 exec_lo, exec_lo, s19
	s_delay_alu instid0(SALU_CYCLE_1)
	s_and_b32 exec_lo, exec_lo, s3
	s_cbranch_execz .LBB257_2
.LBB257_34:                             ;   in Loop: Header=BB257_4 Depth=1
	v_add_co_u32 v9, vcc_lo, v9, s10
	s_lshl_b64 s[28:29], s[8:9], 3
	s_wait_alu 0xfffd
	v_add_co_ci_u32_e64 v11, null, s11, v10, vcc_lo
	s_wait_alu 0xfffe
	v_add_co_u32 v1, vcc_lo, v1, s28
	s_wait_alu 0xfffd
	v_add_co_ci_u32_e64 v12, null, s29, v8, vcc_lo
	v_add_co_u32 v10, vcc_lo, v9, v6
	s_wait_alu 0xfffd
	v_add_co_ci_u32_e64 v11, null, v11, v7, vcc_lo
	;; [unrolled: 3-line block ×3, first 2 shown]
	s_and_saveexec_b32 s19, s1
	s_cbranch_execz .LBB257_36
; %bb.35:                               ;   in Loop: Header=BB257_4 Depth=1
	flat_load_b64 v[12:13], v[10:11]
	s_wait_loadcnt_dscnt 0x0
	v_mul_f32_e32 v15, s45, v13
	s_delay_alu instid0(VALU_DEP_1) | instskip(SKIP_1) | instid1(VALU_DEP_1)
	v_fma_f32 v15, v12, s44, -v15
	v_mul_f32_e32 v13, s44, v13
	v_dual_mul_f32 v14, s14, v29 :: v_dual_fmac_f32 v13, s45, v12
	s_delay_alu instid0(VALU_DEP_1) | instskip(NEXT) | instid1(VALU_DEP_1)
	v_dual_mul_f32 v1, s15, v29 :: v_dual_fmac_f32 v14, s15, v28
	v_fma_f32 v1, v28, s14, -v1
	s_delay_alu instid0(VALU_DEP_1)
	v_dual_add_f32 v13, v14, v13 :: v_dual_add_f32 v12, v1, v15
	flat_store_b64 v[8:9], v[12:13]
.LBB257_36:                             ;   in Loop: Header=BB257_4 Depth=1
	s_wait_alu 0xfffe
	s_or_b32 exec_lo, exec_lo, s19
	s_delay_alu instid0(SALU_CYCLE_1)
	s_and_b32 exec_lo, exec_lo, s2
	s_cbranch_execz .LBB257_2
; %bb.37:                               ;   in Loop: Header=BB257_4 Depth=1
	flat_load_b64 v[10:11], v[10:11] offset:128
	s_wait_loadcnt_dscnt 0x0
	v_dual_mul_f32 v12, s14, v26 :: v_dual_mul_f32 v13, s45, v11
	s_delay_alu instid0(VALU_DEP_1) | instskip(NEXT) | instid1(VALU_DEP_2)
	v_dual_mul_f32 v1, s15, v26 :: v_dual_fmac_f32 v12, s15, v27
	v_fma_f32 v13, v10, s44, -v13
	s_delay_alu instid0(VALU_DEP_2) | instskip(SKIP_1) | instid1(VALU_DEP_1)
	v_fma_f32 v1, v27, s14, -v1
	v_mul_f32_e32 v11, s44, v11
	v_dual_fmac_f32 v11, s45, v10 :: v_dual_add_f32 v10, v1, v13
	s_delay_alu instid0(VALU_DEP_1)
	v_add_f32_e32 v11, v12, v11
	flat_store_b64 v[8:9], v[10:11] offset:128
	s_branch .LBB257_2
.LBB257_38:
	s_endpgm
	.section	.rodata,"a",@progbits
	.p2align	6, 0x0
	.amdhsa_kernel _ZN12_GLOBAL__N_135rocblas_gemm_batched_general_kernelI19rocblas_complex_numIfELi16ELi16ELi32ELi32ELi8ELi32ELi8ELi8ELi32ELc67ELc78EKPKS2_S5_KPS2_EEvlllT_PT11_llSA_llS8_PT12_llPT13_lli
		.amdhsa_group_segment_fixed_size 4096
		.amdhsa_private_segment_fixed_size 0
		.amdhsa_kernarg_size 140
		.amdhsa_user_sgpr_count 2
		.amdhsa_user_sgpr_dispatch_ptr 0
		.amdhsa_user_sgpr_queue_ptr 0
		.amdhsa_user_sgpr_kernarg_segment_ptr 1
		.amdhsa_user_sgpr_dispatch_id 0
		.amdhsa_user_sgpr_private_segment_size 0
		.amdhsa_wavefront_size32 1
		.amdhsa_uses_dynamic_stack 0
		.amdhsa_enable_private_segment 0
		.amdhsa_system_sgpr_workgroup_id_x 1
		.amdhsa_system_sgpr_workgroup_id_y 1
		.amdhsa_system_sgpr_workgroup_id_z 1
		.amdhsa_system_sgpr_workgroup_info 0
		.amdhsa_system_vgpr_workitem_id 1
		.amdhsa_next_free_vgpr 71
		.amdhsa_next_free_sgpr 47
		.amdhsa_reserve_vcc 1
		.amdhsa_float_round_mode_32 0
		.amdhsa_float_round_mode_16_64 0
		.amdhsa_float_denorm_mode_32 3
		.amdhsa_float_denorm_mode_16_64 3
		.amdhsa_fp16_overflow 0
		.amdhsa_workgroup_processor_mode 1
		.amdhsa_memory_ordered 1
		.amdhsa_forward_progress 1
		.amdhsa_inst_pref_size 28
		.amdhsa_round_robin_scheduling 0
		.amdhsa_exception_fp_ieee_invalid_op 0
		.amdhsa_exception_fp_denorm_src 0
		.amdhsa_exception_fp_ieee_div_zero 0
		.amdhsa_exception_fp_ieee_overflow 0
		.amdhsa_exception_fp_ieee_underflow 0
		.amdhsa_exception_fp_ieee_inexact 0
		.amdhsa_exception_int_div_zero 0
	.end_amdhsa_kernel
	.section	.text._ZN12_GLOBAL__N_135rocblas_gemm_batched_general_kernelI19rocblas_complex_numIfELi16ELi16ELi32ELi32ELi8ELi32ELi8ELi8ELi32ELc67ELc78EKPKS2_S5_KPS2_EEvlllT_PT11_llSA_llS8_PT12_llPT13_lli,"axG",@progbits,_ZN12_GLOBAL__N_135rocblas_gemm_batched_general_kernelI19rocblas_complex_numIfELi16ELi16ELi32ELi32ELi8ELi32ELi8ELi8ELi32ELc67ELc78EKPKS2_S5_KPS2_EEvlllT_PT11_llSA_llS8_PT12_llPT13_lli,comdat
.Lfunc_end257:
	.size	_ZN12_GLOBAL__N_135rocblas_gemm_batched_general_kernelI19rocblas_complex_numIfELi16ELi16ELi32ELi32ELi8ELi32ELi8ELi8ELi32ELc67ELc78EKPKS2_S5_KPS2_EEvlllT_PT11_llSA_llS8_PT12_llPT13_lli, .Lfunc_end257-_ZN12_GLOBAL__N_135rocblas_gemm_batched_general_kernelI19rocblas_complex_numIfELi16ELi16ELi32ELi32ELi8ELi32ELi8ELi8ELi32ELc67ELc78EKPKS2_S5_KPS2_EEvlllT_PT11_llSA_llS8_PT12_llPT13_lli
                                        ; -- End function
	.set _ZN12_GLOBAL__N_135rocblas_gemm_batched_general_kernelI19rocblas_complex_numIfELi16ELi16ELi32ELi32ELi8ELi32ELi8ELi8ELi32ELc67ELc78EKPKS2_S5_KPS2_EEvlllT_PT11_llSA_llS8_PT12_llPT13_lli.num_vgpr, 71
	.set _ZN12_GLOBAL__N_135rocblas_gemm_batched_general_kernelI19rocblas_complex_numIfELi16ELi16ELi32ELi32ELi8ELi32ELi8ELi8ELi32ELc67ELc78EKPKS2_S5_KPS2_EEvlllT_PT11_llSA_llS8_PT12_llPT13_lli.num_agpr, 0
	.set _ZN12_GLOBAL__N_135rocblas_gemm_batched_general_kernelI19rocblas_complex_numIfELi16ELi16ELi32ELi32ELi8ELi32ELi8ELi8ELi32ELc67ELc78EKPKS2_S5_KPS2_EEvlllT_PT11_llSA_llS8_PT12_llPT13_lli.numbered_sgpr, 47
	.set _ZN12_GLOBAL__N_135rocblas_gemm_batched_general_kernelI19rocblas_complex_numIfELi16ELi16ELi32ELi32ELi8ELi32ELi8ELi8ELi32ELc67ELc78EKPKS2_S5_KPS2_EEvlllT_PT11_llSA_llS8_PT12_llPT13_lli.num_named_barrier, 0
	.set _ZN12_GLOBAL__N_135rocblas_gemm_batched_general_kernelI19rocblas_complex_numIfELi16ELi16ELi32ELi32ELi8ELi32ELi8ELi8ELi32ELc67ELc78EKPKS2_S5_KPS2_EEvlllT_PT11_llSA_llS8_PT12_llPT13_lli.private_seg_size, 0
	.set _ZN12_GLOBAL__N_135rocblas_gemm_batched_general_kernelI19rocblas_complex_numIfELi16ELi16ELi32ELi32ELi8ELi32ELi8ELi8ELi32ELc67ELc78EKPKS2_S5_KPS2_EEvlllT_PT11_llSA_llS8_PT12_llPT13_lli.uses_vcc, 1
	.set _ZN12_GLOBAL__N_135rocblas_gemm_batched_general_kernelI19rocblas_complex_numIfELi16ELi16ELi32ELi32ELi8ELi32ELi8ELi8ELi32ELc67ELc78EKPKS2_S5_KPS2_EEvlllT_PT11_llSA_llS8_PT12_llPT13_lli.uses_flat_scratch, 0
	.set _ZN12_GLOBAL__N_135rocblas_gemm_batched_general_kernelI19rocblas_complex_numIfELi16ELi16ELi32ELi32ELi8ELi32ELi8ELi8ELi32ELc67ELc78EKPKS2_S5_KPS2_EEvlllT_PT11_llSA_llS8_PT12_llPT13_lli.has_dyn_sized_stack, 0
	.set _ZN12_GLOBAL__N_135rocblas_gemm_batched_general_kernelI19rocblas_complex_numIfELi16ELi16ELi32ELi32ELi8ELi32ELi8ELi8ELi32ELc67ELc78EKPKS2_S5_KPS2_EEvlllT_PT11_llSA_llS8_PT12_llPT13_lli.has_recursion, 0
	.set _ZN12_GLOBAL__N_135rocblas_gemm_batched_general_kernelI19rocblas_complex_numIfELi16ELi16ELi32ELi32ELi8ELi32ELi8ELi8ELi32ELc67ELc78EKPKS2_S5_KPS2_EEvlllT_PT11_llSA_llS8_PT12_llPT13_lli.has_indirect_call, 0
	.section	.AMDGPU.csdata,"",@progbits
; Kernel info:
; codeLenInByte = 3560
; TotalNumSgprs: 49
; NumVgprs: 71
; ScratchSize: 0
; MemoryBound: 1
; FloatMode: 240
; IeeeMode: 1
; LDSByteSize: 4096 bytes/workgroup (compile time only)
; SGPRBlocks: 0
; VGPRBlocks: 8
; NumSGPRsForWavesPerEU: 49
; NumVGPRsForWavesPerEU: 71
; Occupancy: 16
; WaveLimiterHint : 1
; COMPUTE_PGM_RSRC2:SCRATCH_EN: 0
; COMPUTE_PGM_RSRC2:USER_SGPR: 2
; COMPUTE_PGM_RSRC2:TRAP_HANDLER: 0
; COMPUTE_PGM_RSRC2:TGID_X_EN: 1
; COMPUTE_PGM_RSRC2:TGID_Y_EN: 1
; COMPUTE_PGM_RSRC2:TGID_Z_EN: 1
; COMPUTE_PGM_RSRC2:TIDIG_COMP_CNT: 1
	.section	.text._ZN12_GLOBAL__N_135rocblas_gemm_batched_general_kernelI19rocblas_complex_numIfELi16ELi16ELi32ELi32ELi8ELi32ELi8ELi8ELi32ELc67ELc84EKPKS2_S5_KPS2_EEvlllT_PT11_llSA_llS8_PT12_llPT13_lli,"axG",@progbits,_ZN12_GLOBAL__N_135rocblas_gemm_batched_general_kernelI19rocblas_complex_numIfELi16ELi16ELi32ELi32ELi8ELi32ELi8ELi8ELi32ELc67ELc84EKPKS2_S5_KPS2_EEvlllT_PT11_llSA_llS8_PT12_llPT13_lli,comdat
	.globl	_ZN12_GLOBAL__N_135rocblas_gemm_batched_general_kernelI19rocblas_complex_numIfELi16ELi16ELi32ELi32ELi8ELi32ELi8ELi8ELi32ELc67ELc84EKPKS2_S5_KPS2_EEvlllT_PT11_llSA_llS8_PT12_llPT13_lli ; -- Begin function _ZN12_GLOBAL__N_135rocblas_gemm_batched_general_kernelI19rocblas_complex_numIfELi16ELi16ELi32ELi32ELi8ELi32ELi8ELi8ELi32ELc67ELc84EKPKS2_S5_KPS2_EEvlllT_PT11_llSA_llS8_PT12_llPT13_lli
	.p2align	8
	.type	_ZN12_GLOBAL__N_135rocblas_gemm_batched_general_kernelI19rocblas_complex_numIfELi16ELi16ELi32ELi32ELi8ELi32ELi8ELi8ELi32ELc67ELc84EKPKS2_S5_KPS2_EEvlllT_PT11_llSA_llS8_PT12_llPT13_lli,@function
_ZN12_GLOBAL__N_135rocblas_gemm_batched_general_kernelI19rocblas_complex_numIfELi16ELi16ELi32ELi32ELi8ELi32ELi8ELi8ELi32ELc67ELc84EKPKS2_S5_KPS2_EEvlllT_PT11_llSA_llS8_PT12_llPT13_lli: ; @_ZN12_GLOBAL__N_135rocblas_gemm_batched_general_kernelI19rocblas_complex_numIfELi16ELi16ELi32ELi32ELi8ELi32ELi8ELi8ELi32ELc67ELc84EKPKS2_S5_KPS2_EEvlllT_PT11_llSA_llS8_PT12_llPT13_lli
; %bb.0:
	s_load_b32 s33, s[0:1], 0x88
	s_lshr_b32 s34, ttmp7, 16
	s_wait_kmcnt 0x0
	s_cmp_ge_i32 s34, s33
	s_cbranch_scc1 .LBB258_38
; %bb.1:
	s_clause 0x4
	s_load_b256 s[8:15], s[0:1], 0x0
	s_load_b256 s[16:23], s[0:1], 0x20
	s_load_b128 s[36:39], s[0:1], 0x78
	s_load_b128 s[40:43], s[0:1], 0x40
	s_load_b64 s[44:45], s[0:1], 0x50
	v_bfe_u32 v5, v0, 10, 10
	v_and_b32_e32 v6, 0x3ff, v0
	s_mov_b32 s2, ttmp9
	s_ashr_i32 s3, ttmp9, 31
	v_and_b32_e32 v17, 7, v0
	s_lshl_b64 s[6:7], s[2:3], 5
	v_lshl_add_u32 v24, v5, 4, v6
	s_and_b32 s5, ttmp7, 0xffff
	s_load_b256 s[24:31], s[0:1], 0x58
	s_lshl_b32 s0, s5, 5
	s_delay_alu instid0(VALU_DEP_1)
	v_dual_mov_b32 v2, s7 :: v_dual_and_b32 v3, 31, v24
	v_lshrrev_b32_e32 v0, 3, v24
	v_lshrrev_b32_e32 v16, 5, v24
	v_lshlrev_b32_e32 v20, 3, v6
	v_lshlrev_b32_e32 v8, 3, v17
	v_or_b32_e32 v1, s6, v3
	v_lshlrev_b32_e32 v7, 3, v3
	v_add_co_u32 v3, s1, v0, s0
	s_wait_alu 0xf1ff
	v_add_co_ci_u32_e64 v4, null, 0, 0, s1
	s_wait_kmcnt 0x0
	s_or_b32 s1, s44, s45
	v_cmp_gt_i64_e32 vcc_lo, s[8:9], v[1:2]
	s_wait_alu 0xfffe
	s_bitset0_b32 s1, 31
	v_add_co_u32 v2, s0, s0, v5
	s_wait_alu 0xfffe
	s_cmp_eq_u32 s1, 0
	v_add_co_u32 v6, s1, s6, v6
	v_lshl_or_b32 v18, v16, 8, v7
	s_wait_alu 0xf1ff
	v_add_co_ci_u32_e64 v7, null, s7, 0, s1
	v_cmp_gt_i64_e64 s4, s[10:11], v[3:4]
	v_lshl_add_u32 v21, v5, 6, 0x800
	v_mad_co_u64_u32 v[4:5], null, v2, s36, 0
	v_add_co_u32 v10, s1, v6, 16
	v_lshl_or_b32 v8, v0, 6, v8
	s_wait_alu 0xf1ff
	v_add_co_ci_u32_e64 v11, null, 0, v7, s1
	v_mov_b32_e32 v0, 0
	v_mad_co_u64_u32 v[12:13], null, v2, s26, 0
	v_add_nc_u32_e32 v19, 0x800, v8
	v_mad_co_u64_u32 v[8:9], null, s40, v17, 0
	v_cmp_gt_i64_e64 s2, s[8:9], v[10:11]
	v_mad_co_u64_u32 v[10:11], null, v2, s37, v[5:6]
	v_add_co_ci_u32_e64 v3, null, 0, 0, s0
	v_mov_b32_e32 v5, v13
	v_add_co_u32 v22, s3, v2, 16
	s_delay_alu instid0(VALU_DEP_3)
	v_cmp_gt_i64_e64 s0, s[10:11], v[2:3]
	v_mad_co_u64_u32 v[14:15], null, s41, v17, v[9:10]
	v_add_co_ci_u32_e64 v23, null, 0, v3, s3
	v_mad_co_u64_u32 v[2:3], null, v2, s27, v[5:6]
	v_mul_lo_u32 v3, s19, v1
	s_mul_i32 s7, s18, s7
	s_delay_alu instid0(VALU_DEP_4)
	v_mov_b32_e32 v9, v14
	v_mad_co_u64_u32 v[14:15], null, s18, v1, 0
	s_mov_b32 s35, 0
	v_mov_b32_e32 v13, v2
	v_lshlrev_b64_e32 v[1:2], 3, v[8:9]
	s_cselect_b32 s46, -1, 0
	v_cmp_gt_i64_e64 s3, s[10:11], v[22:23]
	s_lshl_b32 s6, s5, 8
	s_wait_alu 0xfffe
	v_add3_u32 v15, v15, s7, v3
	s_mov_b32 s7, s35
	s_lshl_b64 s[10:11], s[42:43], 3
	v_mov_b32_e32 v5, v10
	s_wait_alu 0xfffe
	s_add_nc_u64 s[6:7], s[10:11], s[6:7]
	v_lshlrev_b64_e32 v[8:9], 3, v[14:15]
	s_wait_alu 0xfffe
	v_add_co_u32 v1, s5, s6, v1
	s_delay_alu instid0(VALU_DEP_1)
	v_add_co_ci_u32_e64 v2, null, s7, v2, s5
	s_lshl_b64 s[6:7], s[20:21], 3
	v_and_b32_e32 v10, 0x1ff8, v24
	s_wait_alu 0xfffe
	v_add_co_u32 v3, s5, v8, s6
	v_lshlrev_b32_e32 v8, 3, v16
	s_wait_alu 0xf1ff
	v_add_co_ci_u32_e64 v9, null, s7, v9, s5
	v_add_co_u32 v22, s6, v1, v10
	s_delay_alu instid0(VALU_DEP_3)
	v_add_co_u32 v3, s5, v3, v8
	v_cmp_gt_i64_e64 s1, s[8:9], v[6:7]
	s_lshl_b64 s[18:19], s[26:27], 4
	v_add_co_ci_u32_e64 v23, null, 0, v2, s6
	v_or_b32_e32 v25, 4, v3
	v_cmp_gt_i64_e64 s26, s[12:13], 0
	v_lshlrev_b64_e32 v[2:3], 3, v[12:13]
	v_lshlrev_b64_e32 v[4:5], 3, v[4:5]
	;; [unrolled: 1-line block ×3, first 2 shown]
	v_add_co_ci_u32_e64 v24, null, 0, v9, s5
	s_lshl_b64 s[8:9], s[36:37], 4
	s_lshl_b64 s[6:7], s[40:41], 6
	s_xor_b32 s27, vcc_lo, -1
	s_xor_b32 s36, s4, -1
	s_lshl_b64 s[4:5], s[38:39], 3
	s_lshl_b64 s[10:11], s[28:29], 3
	s_wait_alu 0xfffe
	s_lshl_b64 s[18:19], s[18:19], 3
	s_branch .LBB258_4
.LBB258_2:                              ;   in Loop: Header=BB258_4 Depth=1
	s_wait_alu 0xfffe
	s_or_b32 exec_lo, exec_lo, s20
.LBB258_3:                              ;   in Loop: Header=BB258_4 Depth=1
	s_add_co_i32 s34, s34, 0x10000
	s_delay_alu instid0(SALU_CYCLE_1)
	s_cmp_lt_i32 s34, s33
	s_cbranch_scc0 .LBB258_38
.LBB258_4:                              ; =>This Loop Header: Depth=1
                                        ;     Child Loop BB258_7 Depth 2
	s_lshl_b64 s[20:21], s[34:35], 3
	v_dual_mov_b32 v32, v0 :: v_dual_mov_b32 v33, v0
	s_wait_alu 0xfffe
	s_add_nc_u64 s[28:29], s[24:25], s[20:21]
	s_add_nc_u64 s[38:39], s[30:31], s[20:21]
	s_clause 0x1
	global_load_b64 v[8:9], v0, s[28:29]
	global_load_b64 v[10:11], v0, s[38:39]
	v_dual_mov_b32 v30, v0 :: v_dual_mov_b32 v31, v0
	v_dual_mov_b32 v28, v0 :: v_dual_mov_b32 v29, v0
	v_dual_mov_b32 v27, v0 :: v_dual_mov_b32 v26, v0
	s_and_not1_b32 vcc_lo, exec_lo, s26
	s_wait_alu 0xfffe
	s_cbranch_vccnz .LBB258_15
; %bb.5:                                ;   in Loop: Header=BB258_4 Depth=1
	s_add_nc_u64 s[28:29], s[22:23], s[20:21]
	s_add_nc_u64 s[20:21], s[16:17], s[20:21]
	s_clause 0x1
	global_load_b64 v[12:13], v0, s[28:29]
	global_load_b64 v[14:15], v0, s[20:21]
	v_dual_mov_b32 v26, 0 :: v_dual_mov_b32 v27, 0
	v_dual_mov_b32 v29, 0 :: v_dual_mov_b32 v28, 0
	;; [unrolled: 1-line block ×4, first 2 shown]
	s_mov_b64 s[20:21], 0
	s_wait_loadcnt 0x1
	v_add_co_u32 v12, vcc_lo, v12, v22
	s_wait_alu 0xfffd
	v_add_co_ci_u32_e64 v13, null, v13, v23, vcc_lo
	s_wait_loadcnt 0x0
	v_add_co_u32 v14, vcc_lo, v14, v25
	s_wait_alu 0xfffd
	v_add_co_ci_u32_e64 v15, null, v15, v24, vcc_lo
	s_branch .LBB258_7
.LBB258_6:                              ;   in Loop: Header=BB258_7 Depth=2
	s_wait_alu 0xfffe
	s_or_b32 exec_lo, exec_lo, s28
	s_wait_dscnt 0x0
	s_barrier_signal -1
	s_barrier_wait -1
	global_inv scope:SCOPE_SE
	ds_load_b128 v[34:37], v21
	ds_load_2addr_b64 v[38:41], v20 offset1:16
	ds_load_b128 v[42:45], v21 offset:1024
	ds_load_b128 v[46:49], v21 offset:16
	;; [unrolled: 1-line block ×4, first 2 shown]
	ds_load_2addr_b64 v[58:61], v20 offset0:32 offset1:48
	ds_load_b128 v[62:65], v21 offset:1040
	s_add_nc_u64 s[20:21], s[20:21], 8
	v_add_co_u32 v12, vcc_lo, v12, s6
	s_wait_alu 0xfffe
	v_cmp_lt_i64_e64 s28, s[20:21], s[12:13]
	s_wait_alu 0xfffd
	v_add_co_ci_u32_e64 v13, null, s7, v13, vcc_lo
	v_add_co_u32 v14, vcc_lo, v14, 64
	s_wait_alu 0xfffd
	v_add_co_ci_u32_e64 v15, null, 0, v15, vcc_lo
	s_and_b32 vcc_lo, exec_lo, s28
	s_wait_dscnt 0x6
	v_dual_mul_f32 v1, v35, v39 :: v_dual_mul_f32 v68, v34, v41
	v_dual_mul_f32 v66, v34, v39 :: v_dual_mul_f32 v67, v35, v41
	s_wait_dscnt 0x5
	v_mul_f32_e32 v70, v43, v41
	s_delay_alu instid0(VALU_DEP_3) | instskip(SKIP_3) | instid1(VALU_DEP_4)
	v_fma_f32 v1, v34, v38, -v1
	v_dual_mul_f32 v41, v42, v41 :: v_dual_fmac_f32 v68, v35, v40
	v_fmac_f32_e32 v66, v35, v38
	v_fma_f32 v34, v34, v40, -v67
	v_add_f32_e32 v1, v32, v1
	v_mul_f32_e32 v69, v43, v39
	s_delay_alu instid0(VALU_DEP_4) | instskip(NEXT) | instid1(VALU_DEP_4)
	v_dual_mul_f32 v39, v42, v39 :: v_dual_add_f32 v32, v33, v66
	v_add_f32_e32 v33, v30, v34
	v_fmac_f32_e32 v41, v43, v40
	s_delay_alu instid0(VALU_DEP_4) | instskip(NEXT) | instid1(VALU_DEP_4)
	v_fma_f32 v35, v42, v38, -v69
	v_fmac_f32_e32 v39, v43, v38
	v_fma_f32 v38, v42, v40, -v70
	s_wait_dscnt 0x1
	v_dual_mul_f32 v40, v36, v59 :: v_dual_add_f32 v31, v31, v68
	v_mul_f32_e32 v42, v37, v61
	v_add_f32_e32 v34, v28, v35
	v_dual_add_f32 v35, v29, v39 :: v_dual_add_f32 v38, v27, v38
	ds_load_2addr_b64 v[27:30], v20 offset0:64 offset1:80
	v_fmac_f32_e32 v40, v37, v58
	v_dual_mul_f32 v39, v37, v59 :: v_dual_add_f32 v26, v26, v41
	v_mul_f32_e32 v41, v36, v61
	s_delay_alu instid0(VALU_DEP_3) | instskip(NEXT) | instid1(VALU_DEP_3)
	v_add_f32_e32 v40, v32, v40
	v_fma_f32 v39, v36, v58, -v39
	v_fma_f32 v36, v36, v60, -v42
	v_mul_f32_e32 v32, v44, v59
	s_delay_alu instid0(VALU_DEP_3) | instskip(SKIP_1) | instid1(VALU_DEP_4)
	v_add_f32_e32 v1, v1, v39
	v_mul_f32_e32 v39, v45, v59
	v_add_f32_e32 v36, v33, v36
	v_fmac_f32_e32 v41, v37, v60
	v_mul_f32_e32 v37, v45, v61
	v_fmac_f32_e32 v32, v45, v58
	v_fma_f32 v33, v44, v58, -v39
	s_delay_alu instid0(VALU_DEP_4) | instskip(SKIP_4) | instid1(VALU_DEP_3)
	v_add_f32_e32 v39, v31, v41
	v_mul_f32_e32 v41, v44, v61
	v_fma_f32 v31, v44, v60, -v37
	s_wait_dscnt 0x0
	v_dual_add_f32 v42, v34, v33 :: v_dual_mul_f32 v33, v47, v28
	v_dual_mul_f32 v44, v47, v30 :: v_dual_fmac_f32 v41, v45, v60
	v_mul_f32_e32 v37, v46, v28
	v_add_f32_e32 v38, v38, v31
	s_delay_alu instid0(VALU_DEP_3) | instskip(SKIP_3) | instid1(VALU_DEP_2)
	v_add_f32_e32 v41, v26, v41
	v_mul_f32_e32 v26, v46, v30
	v_fma_f32 v43, v46, v27, -v33
	v_fmac_f32_e32 v37, v47, v27
	v_dual_fmac_f32 v26, v47, v29 :: v_dual_add_f32 v1, v1, v43
	v_fma_f32 v43, v46, v29, -v44
	v_add_f32_e32 v35, v35, v32
	ds_load_2addr_b64 v[31:34], v20 offset0:96 offset1:112
	v_dual_add_f32 v37, v40, v37 :: v_dual_mul_f32 v40, v63, v28
	v_mul_f32_e32 v28, v62, v28
	v_dual_add_f32 v36, v36, v43 :: v_dual_mul_f32 v43, v63, v30
	v_mul_f32_e32 v30, v62, v30
	s_delay_alu instid0(VALU_DEP_4) | instskip(NEXT) | instid1(VALU_DEP_4)
	v_fma_f32 v40, v62, v27, -v40
	v_fmac_f32_e32 v28, v63, v27
	v_add_f32_e32 v39, v39, v26
	v_fma_f32 v26, v62, v29, -v43
	v_fmac_f32_e32 v30, v63, v29
	v_add_f32_e32 v40, v42, v40
	s_delay_alu instid0(VALU_DEP_3)
	v_dual_add_f32 v42, v35, v28 :: v_dual_add_f32 v43, v38, v26
	ds_load_2addr_b64 v[26:29], v20 offset0:128 offset1:144
	s_wait_dscnt 0x1
	v_mul_f32_e32 v35, v49, v32
	v_mul_f32_e32 v38, v48, v32
	;; [unrolled: 1-line block ×4, first 2 shown]
	s_delay_alu instid0(VALU_DEP_4) | instskip(NEXT) | instid1(VALU_DEP_4)
	v_fma_f32 v35, v48, v31, -v35
	v_fmac_f32_e32 v38, v49, v31
	s_delay_alu instid0(VALU_DEP_2) | instskip(SKIP_1) | instid1(VALU_DEP_3)
	v_add_f32_e32 v1, v1, v35
	v_mul_f32_e32 v35, v65, v32
	v_dual_mul_f32 v32, v64, v32 :: v_dual_add_f32 v45, v37, v38
	s_delay_alu instid0(VALU_DEP_2) | instskip(NEXT) | instid1(VALU_DEP_2)
	v_fma_f32 v46, v64, v31, -v35
	v_fmac_f32_e32 v32, v65, v31
	s_wait_dscnt 0x0
	v_mul_f32_e32 v31, v51, v27
	v_fma_f32 v44, v48, v33, -v44
	v_add_f32_e32 v41, v41, v30
	v_mul_f32_e32 v30, v48, v34
	v_mul_f32_e32 v58, v50, v29
	s_delay_alu instid0(VALU_DEP_4) | instskip(SKIP_2) | instid1(VALU_DEP_1)
	v_add_f32_e32 v44, v36, v44
	ds_load_b128 v[35:38], v21 offset:1056
	v_dual_fmac_f32 v30, v49, v33 :: v_dual_mul_f32 v49, v50, v27
	v_add_f32_e32 v48, v39, v30
	v_fma_f32 v30, v64, v33, -v47
	v_fma_f32 v39, v50, v26, -v31
	v_mul_f32_e32 v34, v64, v34
	v_fmac_f32_e32 v49, v51, v26
	v_add_f32_e32 v46, v40, v46
	v_add_f32_e32 v43, v43, v30
	;; [unrolled: 1-line block ×4, first 2 shown]
	v_fmac_f32_e32 v34, v65, v33
	ds_load_2addr_b64 v[30:33], v20 offset0:160 offset1:176
	v_mul_f32_e32 v40, v51, v29
	v_add_f32_e32 v45, v45, v49
	v_add_f32_e32 v34, v41, v34
	s_delay_alu instid0(VALU_DEP_3)
	v_fma_f32 v50, v50, v28, -v40
	ds_load_b128 v[39:42], v21 offset:1072
	s_wait_dscnt 0x2
	v_mul_f32_e32 v59, v36, v27
	v_dual_mul_f32 v27, v35, v27 :: v_dual_add_f32 v44, v44, v50
	v_fmac_f32_e32 v58, v51, v28
	v_mul_f32_e32 v50, v36, v29
	s_delay_alu instid0(VALU_DEP_4) | instskip(NEXT) | instid1(VALU_DEP_4)
	v_fma_f32 v49, v35, v26, -v59
	v_fmac_f32_e32 v27, v36, v26
	s_delay_alu instid0(VALU_DEP_4) | instskip(SKIP_1) | instid1(VALU_DEP_3)
	v_dual_mul_f32 v51, v35, v29 :: v_dual_add_f32 v48, v48, v58
	s_wait_dscnt 0x1
	v_dual_add_f32 v46, v46, v49 :: v_dual_mul_f32 v29, v53, v31
	v_fma_f32 v26, v35, v28, -v50
	v_add_f32_e32 v35, v47, v27
	v_fmac_f32_e32 v51, v36, v28
	v_mul_f32_e32 v36, v52, v31
	v_fma_f32 v47, v52, v30, -v29
	v_add_f32_e32 v43, v43, v26
	ds_load_2addr_b64 v[26:29], v20 offset0:192 offset1:208
	v_fmac_f32_e32 v36, v53, v30
	v_dual_mul_f32 v49, v53, v33 :: v_dual_add_f32 v50, v34, v51
	v_dual_add_f32 v1, v1, v47 :: v_dual_mul_f32 v34, v52, v33
	s_delay_alu instid0(VALU_DEP_3) | instskip(NEXT) | instid1(VALU_DEP_3)
	v_dual_add_f32 v45, v45, v36 :: v_dual_mul_f32 v36, v38, v31
	v_fma_f32 v47, v52, v32, -v49
	s_delay_alu instid0(VALU_DEP_3) | instskip(NEXT) | instid1(VALU_DEP_3)
	v_fmac_f32_e32 v34, v53, v32
	v_fma_f32 v36, v37, v30, -v36
	s_delay_alu instid0(VALU_DEP_3) | instskip(SKIP_1) | instid1(VALU_DEP_3)
	v_dual_add_f32 v44, v44, v47 :: v_dual_mul_f32 v47, v38, v33
	v_mul_f32_e32 v31, v37, v31
	v_dual_mul_f32 v33, v37, v33 :: v_dual_add_f32 v46, v46, v36
	s_delay_alu instid0(VALU_DEP_2) | instskip(SKIP_2) | instid1(VALU_DEP_4)
	v_fmac_f32_e32 v31, v38, v30
	v_add_f32_e32 v30, v48, v34
	v_fma_f32 v34, v37, v32, -v47
	v_fmac_f32_e32 v33, v38, v32
	s_wait_dscnt 0x0
	v_mul_f32_e32 v38, v54, v27
	v_dual_add_f32 v31, v35, v31 :: v_dual_mul_f32 v48, v54, v29
	v_add_f32_e32 v32, v43, v34
	ds_load_2addr_b64 v[34:37], v20 offset0:224 offset1:240
	v_dual_add_f32 v33, v50, v33 :: v_dual_fmac_f32 v38, v55, v26
	v_mul_f32_e32 v47, v55, v27
	v_fmac_f32_e32 v48, v55, v28
	s_wait_loadcnt_dscnt 0x0
	s_barrier_signal -1
	v_add_f32_e32 v38, v45, v38
	v_fma_f32 v43, v54, v26, -v47
	v_mul_f32_e32 v47, v55, v29
	v_mul_f32_e32 v45, v40, v29
	;; [unrolled: 1-line block ×3, first 2 shown]
	s_barrier_wait -1
	v_add_f32_e32 v1, v1, v43
	v_fma_f32 v47, v54, v28, -v47
	v_mul_f32_e32 v43, v40, v27
	v_fmac_f32_e32 v29, v40, v28
	global_inv scope:SCOPE_SE
	v_dual_add_f32 v44, v44, v47 :: v_dual_add_f32 v47, v30, v48
	v_fma_f32 v30, v39, v28, -v45
	v_mul_f32_e32 v27, v39, v27
	s_delay_alu instid0(VALU_DEP_1) | instskip(NEXT) | instid1(VALU_DEP_3)
	v_fmac_f32_e32 v27, v40, v26
	v_add_f32_e32 v40, v32, v30
	v_mul_f32_e32 v30, v57, v37
	v_fma_f32 v43, v39, v26, -v43
	v_mul_f32_e32 v39, v57, v35
	s_delay_alu instid0(VALU_DEP_2) | instskip(NEXT) | instid1(VALU_DEP_2)
	v_add_f32_e32 v26, v46, v43
	v_fma_f32 v28, v56, v34, -v39
	v_add_f32_e32 v39, v33, v29
	v_mul_f32_e32 v29, v41, v35
	s_delay_alu instid0(VALU_DEP_3) | instskip(SKIP_4) | instid1(VALU_DEP_4)
	v_add_f32_e32 v32, v1, v28
	v_fma_f32 v1, v56, v36, -v30
	v_mul_f32_e32 v28, v42, v35
	v_add_f32_e32 v27, v31, v27
	v_mul_f32_e32 v31, v56, v37
	v_dual_fmac_f32 v29, v42, v34 :: v_dual_add_f32 v30, v44, v1
	s_delay_alu instid0(VALU_DEP_4) | instskip(SKIP_3) | instid1(VALU_DEP_4)
	v_fma_f32 v1, v41, v34, -v28
	v_mul_f32_e32 v43, v56, v35
	v_mul_f32_e32 v35, v42, v37
	;; [unrolled: 1-line block ×3, first 2 shown]
	v_dual_fmac_f32 v31, v57, v36 :: v_dual_add_f32 v28, v26, v1
	s_delay_alu instid0(VALU_DEP_4) | instskip(NEXT) | instid1(VALU_DEP_4)
	v_fmac_f32_e32 v43, v57, v34
	v_fma_f32 v34, v41, v36, -v35
	s_delay_alu instid0(VALU_DEP_4) | instskip(NEXT) | instid1(VALU_DEP_4)
	v_fmac_f32_e32 v37, v42, v36
	v_add_f32_e32 v31, v47, v31
	v_add_f32_e32 v29, v27, v29
	;; [unrolled: 1-line block ×3, first 2 shown]
	s_delay_alu instid0(VALU_DEP_4)
	v_dual_add_f32 v27, v40, v34 :: v_dual_add_f32 v26, v39, v37
	s_wait_alu 0xfffe
	s_cbranch_vccz .LBB258_15
.LBB258_7:                              ;   Parent Loop BB258_4 Depth=1
                                        ; =>  This Inner Loop Header: Depth=2
	s_wait_alu 0xfffe
	v_add_co_u32 v34, s28, v16, s20
	s_wait_alu 0xf1ff
	v_add_co_ci_u32_e64 v35, null, 0, s21, s28
	s_delay_alu instid0(VALU_DEP_1)
	v_cmp_le_i64_e32 vcc_lo, s[12:13], v[34:35]
	s_or_b32 s28, s27, vcc_lo
	s_wait_alu 0xfffe
	s_and_saveexec_b32 s29, s28
	s_wait_alu 0xfffe
	s_xor_b32 s28, exec_lo, s29
; %bb.8:                                ;   in Loop: Header=BB258_7 Depth=2
	ds_store_b32 v18, v0
; %bb.9:                                ;   in Loop: Header=BB258_7 Depth=2
	s_wait_alu 0xfffe
	s_or_saveexec_b32 s28, s28
	v_mov_b32_e32 v1, 0
	s_wait_alu 0xfffe
	s_xor_b32 exec_lo, exec_lo, s28
	s_cbranch_execz .LBB258_11
; %bb.10:                               ;   in Loop: Header=BB258_7 Depth=2
	flat_load_b64 v[34:35], v[14:15] offset:-4
	s_wait_loadcnt_dscnt 0x0
	v_xor_b32_e32 v1, 0x80000000, v35
	ds_store_b32 v18, v34
.LBB258_11:                             ;   in Loop: Header=BB258_7 Depth=2
	s_or_b32 exec_lo, exec_lo, s28
	v_add_co_u32 v34, s28, v17, s20
	s_wait_alu 0xf1ff
	v_add_co_ci_u32_e64 v35, null, 0, s21, s28
	ds_store_b32 v18, v1 offset:4
	v_cmp_le_i64_e32 vcc_lo, s[12:13], v[34:35]
	s_or_b32 s28, vcc_lo, s36
	s_wait_alu 0xfffe
	s_and_saveexec_b32 s29, s28
	s_wait_alu 0xfffe
	s_xor_b32 s28, exec_lo, s29
; %bb.12:                               ;   in Loop: Header=BB258_7 Depth=2
	v_mov_b32_e32 v1, v0
	ds_store_b64 v19, v[0:1]
; %bb.13:                               ;   in Loop: Header=BB258_7 Depth=2
	s_wait_alu 0xfffe
	s_and_not1_saveexec_b32 s28, s28
	s_cbranch_execz .LBB258_6
; %bb.14:                               ;   in Loop: Header=BB258_7 Depth=2
	flat_load_b64 v[34:35], v[12:13]
	s_wait_loadcnt_dscnt 0x0
	ds_store_b64 v19, v[34:35]
	s_branch .LBB258_6
.LBB258_15:                             ;   in Loop: Header=BB258_4 Depth=1
	s_wait_loadcnt 0x0
	v_add_co_u32 v1, vcc_lo, v10, s4
	s_wait_alu 0xfffd
	v_add_co_ci_u32_e64 v12, null, s5, v11, vcc_lo
	s_and_not1_b32 vcc_lo, exec_lo, s46
	s_mov_b32 s20, -1
	s_wait_alu 0xfffe
	s_cbranch_vccz .LBB258_17
; %bb.16:                               ;   in Loop: Header=BB258_4 Depth=1
	s_and_not1_b32 vcc_lo, exec_lo, s20
	s_wait_alu 0xfffe
	s_cbranch_vccnz .LBB258_3
	s_branch .LBB258_28
.LBB258_17:                             ;   in Loop: Header=BB258_4 Depth=1
	s_and_saveexec_b32 s20, s0
	s_cbranch_execz .LBB258_27
; %bb.18:                               ;   in Loop: Header=BB258_4 Depth=1
	v_add_co_u32 v10, vcc_lo, v1, v4
	s_wait_alu 0xfffd
	v_add_co_ci_u32_e64 v11, null, v12, v5, vcc_lo
	s_and_saveexec_b32 s21, s1
	s_cbranch_execnz .LBB258_21
; %bb.19:                               ;   in Loop: Header=BB258_4 Depth=1
	s_wait_alu 0xfffe
	s_or_b32 exec_lo, exec_lo, s21
	s_and_saveexec_b32 s21, s2
	s_cbranch_execnz .LBB258_22
.LBB258_20:                             ;   in Loop: Header=BB258_4 Depth=1
	s_wait_alu 0xfffe
	s_or_b32 exec_lo, exec_lo, s21
	s_delay_alu instid0(SALU_CYCLE_1)
	s_and_b32 exec_lo, exec_lo, s3
	s_cbranch_execnz .LBB258_23
	s_branch .LBB258_27
.LBB258_21:                             ;   in Loop: Header=BB258_4 Depth=1
	v_mul_f32_e32 v14, s14, v33
	v_mul_f32_e32 v13, s15, v33
	v_add_co_u32 v34, vcc_lo, v10, v6
	s_wait_alu 0xfffd
	v_add_co_ci_u32_e64 v35, null, v11, v7, vcc_lo
	v_fmac_f32_e32 v14, s15, v32
	v_fma_f32 v13, v32, s14, -v13
	flat_store_b64 v[34:35], v[13:14]
	s_wait_alu 0xfffe
	s_or_b32 exec_lo, exec_lo, s21
	s_and_saveexec_b32 s21, s2
	s_cbranch_execz .LBB258_20
.LBB258_22:                             ;   in Loop: Header=BB258_4 Depth=1
	v_mul_f32_e32 v14, s14, v31
	v_mul_f32_e32 v13, s15, v31
	v_add_co_u32 v34, vcc_lo, v10, v6
	s_wait_alu 0xfffd
	v_add_co_ci_u32_e64 v35, null, v11, v7, vcc_lo
	v_fmac_f32_e32 v14, s15, v30
	v_fma_f32 v13, v30, s14, -v13
	flat_store_b64 v[34:35], v[13:14] offset:128
	s_wait_alu 0xfffe
	s_or_b32 exec_lo, exec_lo, s21
	s_delay_alu instid0(SALU_CYCLE_1)
	s_and_b32 exec_lo, exec_lo, s3
	s_cbranch_execz .LBB258_27
.LBB258_23:                             ;   in Loop: Header=BB258_4 Depth=1
	s_lshl_b64 s[28:29], s[8:9], 3
	s_wait_alu 0xfffe
	v_add_co_u32 v10, vcc_lo, v10, s28
	s_wait_alu 0xfffd
	v_add_co_ci_u32_e64 v11, null, s29, v11, vcc_lo
	s_delay_alu instid0(VALU_DEP_2) | instskip(SKIP_1) | instid1(VALU_DEP_2)
	v_add_co_u32 v10, vcc_lo, v10, v6
	s_wait_alu 0xfffd
	v_add_co_ci_u32_e64 v11, null, v11, v7, vcc_lo
	s_and_saveexec_b32 s21, s1
	s_cbranch_execz .LBB258_25
; %bb.24:                               ;   in Loop: Header=BB258_4 Depth=1
	v_mul_f32_e32 v14, s14, v29
	s_delay_alu instid0(VALU_DEP_1) | instskip(NEXT) | instid1(VALU_DEP_1)
	v_dual_mul_f32 v13, s15, v29 :: v_dual_fmac_f32 v14, s15, v28
	v_fma_f32 v13, v28, s14, -v13
	flat_store_b64 v[10:11], v[13:14]
.LBB258_25:                             ;   in Loop: Header=BB258_4 Depth=1
	s_wait_alu 0xfffe
	s_or_b32 exec_lo, exec_lo, s21
	s_delay_alu instid0(SALU_CYCLE_1)
	s_and_b32 exec_lo, exec_lo, s2
	s_cbranch_execz .LBB258_27
; %bb.26:                               ;   in Loop: Header=BB258_4 Depth=1
	v_mul_f32_e32 v14, s14, v26
	s_delay_alu instid0(VALU_DEP_1) | instskip(NEXT) | instid1(VALU_DEP_1)
	v_dual_mul_f32 v13, s15, v26 :: v_dual_fmac_f32 v14, s15, v27
	v_fma_f32 v13, v27, s14, -v13
	flat_store_b64 v[10:11], v[13:14] offset:128
.LBB258_27:                             ;   in Loop: Header=BB258_4 Depth=1
	s_wait_alu 0xfffe
	s_or_b32 exec_lo, exec_lo, s20
	s_cbranch_execnz .LBB258_3
.LBB258_28:                             ;   in Loop: Header=BB258_4 Depth=1
	s_and_saveexec_b32 s20, s0
	s_cbranch_execz .LBB258_2
; %bb.29:                               ;   in Loop: Header=BB258_4 Depth=1
	v_add_co_u32 v8, vcc_lo, v8, s10
	s_wait_alu 0xfffd
	v_add_co_ci_u32_e64 v10, null, s11, v9, vcc_lo
	s_delay_alu instid0(VALU_DEP_2) | instskip(SKIP_1) | instid1(VALU_DEP_2)
	v_add_co_u32 v9, vcc_lo, v8, v2
	s_wait_alu 0xfffd
	v_add_co_ci_u32_e64 v10, null, v10, v3, vcc_lo
	v_add_co_u32 v1, vcc_lo, v1, v4
	s_wait_alu 0xfffd
	v_add_co_ci_u32_e64 v8, null, v12, v5, vcc_lo
	s_and_saveexec_b32 s21, s1
	s_cbranch_execnz .LBB258_32
; %bb.30:                               ;   in Loop: Header=BB258_4 Depth=1
	s_wait_alu 0xfffe
	s_or_b32 exec_lo, exec_lo, s21
	s_and_saveexec_b32 s21, s2
	s_cbranch_execnz .LBB258_33
.LBB258_31:                             ;   in Loop: Header=BB258_4 Depth=1
	s_wait_alu 0xfffe
	s_or_b32 exec_lo, exec_lo, s21
	s_delay_alu instid0(SALU_CYCLE_1)
	s_and_b32 exec_lo, exec_lo, s3
	s_cbranch_execz .LBB258_2
	s_branch .LBB258_34
.LBB258_32:                             ;   in Loop: Header=BB258_4 Depth=1
	v_add_co_u32 v11, vcc_lo, v9, v6
	s_wait_alu 0xfffd
	v_add_co_ci_u32_e64 v12, null, v10, v7, vcc_lo
	flat_load_b64 v[11:12], v[11:12]
	v_mul_f32_e32 v13, s15, v33
	s_wait_loadcnt_dscnt 0x0
	v_dual_mul_f32 v14, s14, v33 :: v_dual_mul_f32 v15, s45, v12
	v_mul_f32_e32 v12, s44, v12
	s_delay_alu instid0(VALU_DEP_3) | instskip(NEXT) | instid1(VALU_DEP_3)
	v_fma_f32 v13, v32, s14, -v13
	v_fma_f32 v15, v11, s44, -v15
	s_delay_alu instid0(VALU_DEP_4) | instskip(NEXT) | instid1(VALU_DEP_4)
	v_fmac_f32_e32 v14, s15, v32
	v_fmac_f32_e32 v12, s45, v11
	s_delay_alu instid0(VALU_DEP_3) | instskip(SKIP_1) | instid1(VALU_DEP_3)
	v_add_f32_e32 v11, v13, v15
	v_add_co_u32 v13, vcc_lo, v1, v6
	v_add_f32_e32 v12, v14, v12
	s_wait_alu 0xfffd
	v_add_co_ci_u32_e64 v14, null, v8, v7, vcc_lo
	flat_store_b64 v[13:14], v[11:12]
	s_wait_alu 0xfffe
	s_or_b32 exec_lo, exec_lo, s21
	s_and_saveexec_b32 s21, s2
	s_cbranch_execz .LBB258_31
.LBB258_33:                             ;   in Loop: Header=BB258_4 Depth=1
	v_add_co_u32 v11, vcc_lo, v9, v6
	s_wait_alu 0xfffd
	v_add_co_ci_u32_e64 v12, null, v10, v7, vcc_lo
	flat_load_b64 v[11:12], v[11:12] offset:128
	v_mul_f32_e32 v13, s15, v31
	s_wait_loadcnt_dscnt 0x0
	v_dual_mul_f32 v14, s14, v31 :: v_dual_mul_f32 v15, s45, v12
	v_mul_f32_e32 v12, s44, v12
	s_delay_alu instid0(VALU_DEP_3) | instskip(NEXT) | instid1(VALU_DEP_3)
	v_fma_f32 v13, v30, s14, -v13
	v_fma_f32 v15, v11, s44, -v15
	s_delay_alu instid0(VALU_DEP_4) | instskip(NEXT) | instid1(VALU_DEP_4)
	v_fmac_f32_e32 v14, s15, v30
	v_fmac_f32_e32 v12, s45, v11
	s_delay_alu instid0(VALU_DEP_3) | instskip(SKIP_1) | instid1(VALU_DEP_3)
	v_add_f32_e32 v11, v13, v15
	v_add_co_u32 v13, vcc_lo, v1, v6
	v_add_f32_e32 v12, v14, v12
	s_wait_alu 0xfffd
	v_add_co_ci_u32_e64 v14, null, v8, v7, vcc_lo
	flat_store_b64 v[13:14], v[11:12] offset:128
	s_wait_alu 0xfffe
	s_or_b32 exec_lo, exec_lo, s21
	s_delay_alu instid0(SALU_CYCLE_1)
	s_and_b32 exec_lo, exec_lo, s3
	s_cbranch_execz .LBB258_2
.LBB258_34:                             ;   in Loop: Header=BB258_4 Depth=1
	v_add_co_u32 v9, vcc_lo, v9, s18
	s_lshl_b64 s[28:29], s[8:9], 3
	s_wait_alu 0xfffd
	v_add_co_ci_u32_e64 v11, null, s19, v10, vcc_lo
	s_wait_alu 0xfffe
	v_add_co_u32 v1, vcc_lo, v1, s28
	s_wait_alu 0xfffd
	v_add_co_ci_u32_e64 v12, null, s29, v8, vcc_lo
	v_add_co_u32 v10, vcc_lo, v9, v6
	s_wait_alu 0xfffd
	v_add_co_ci_u32_e64 v11, null, v11, v7, vcc_lo
	v_add_co_u32 v8, vcc_lo, v1, v6
	s_wait_alu 0xfffd
	v_add_co_ci_u32_e64 v9, null, v12, v7, vcc_lo
	s_and_saveexec_b32 s21, s1
	s_cbranch_execz .LBB258_36
; %bb.35:                               ;   in Loop: Header=BB258_4 Depth=1
	flat_load_b64 v[12:13], v[10:11]
	s_wait_loadcnt_dscnt 0x0
	v_mul_f32_e32 v15, s45, v13
	s_delay_alu instid0(VALU_DEP_1) | instskip(SKIP_1) | instid1(VALU_DEP_1)
	v_fma_f32 v15, v12, s44, -v15
	v_mul_f32_e32 v13, s44, v13
	v_dual_mul_f32 v14, s14, v29 :: v_dual_fmac_f32 v13, s45, v12
	s_delay_alu instid0(VALU_DEP_1) | instskip(NEXT) | instid1(VALU_DEP_1)
	v_dual_mul_f32 v1, s15, v29 :: v_dual_fmac_f32 v14, s15, v28
	v_fma_f32 v1, v28, s14, -v1
	s_delay_alu instid0(VALU_DEP_1)
	v_dual_add_f32 v13, v14, v13 :: v_dual_add_f32 v12, v1, v15
	flat_store_b64 v[8:9], v[12:13]
.LBB258_36:                             ;   in Loop: Header=BB258_4 Depth=1
	s_wait_alu 0xfffe
	s_or_b32 exec_lo, exec_lo, s21
	s_delay_alu instid0(SALU_CYCLE_1)
	s_and_b32 exec_lo, exec_lo, s2
	s_cbranch_execz .LBB258_2
; %bb.37:                               ;   in Loop: Header=BB258_4 Depth=1
	flat_load_b64 v[10:11], v[10:11] offset:128
	s_wait_loadcnt_dscnt 0x0
	v_dual_mul_f32 v12, s14, v26 :: v_dual_mul_f32 v13, s45, v11
	s_delay_alu instid0(VALU_DEP_1) | instskip(NEXT) | instid1(VALU_DEP_2)
	v_dual_mul_f32 v1, s15, v26 :: v_dual_fmac_f32 v12, s15, v27
	v_fma_f32 v13, v10, s44, -v13
	s_delay_alu instid0(VALU_DEP_2) | instskip(SKIP_1) | instid1(VALU_DEP_1)
	v_fma_f32 v1, v27, s14, -v1
	v_mul_f32_e32 v11, s44, v11
	v_dual_fmac_f32 v11, s45, v10 :: v_dual_add_f32 v10, v1, v13
	s_delay_alu instid0(VALU_DEP_1)
	v_add_f32_e32 v11, v12, v11
	flat_store_b64 v[8:9], v[10:11] offset:128
	s_branch .LBB258_2
.LBB258_38:
	s_endpgm
	.section	.rodata,"a",@progbits
	.p2align	6, 0x0
	.amdhsa_kernel _ZN12_GLOBAL__N_135rocblas_gemm_batched_general_kernelI19rocblas_complex_numIfELi16ELi16ELi32ELi32ELi8ELi32ELi8ELi8ELi32ELc67ELc84EKPKS2_S5_KPS2_EEvlllT_PT11_llSA_llS8_PT12_llPT13_lli
		.amdhsa_group_segment_fixed_size 4096
		.amdhsa_private_segment_fixed_size 0
		.amdhsa_kernarg_size 140
		.amdhsa_user_sgpr_count 2
		.amdhsa_user_sgpr_dispatch_ptr 0
		.amdhsa_user_sgpr_queue_ptr 0
		.amdhsa_user_sgpr_kernarg_segment_ptr 1
		.amdhsa_user_sgpr_dispatch_id 0
		.amdhsa_user_sgpr_private_segment_size 0
		.amdhsa_wavefront_size32 1
		.amdhsa_uses_dynamic_stack 0
		.amdhsa_enable_private_segment 0
		.amdhsa_system_sgpr_workgroup_id_x 1
		.amdhsa_system_sgpr_workgroup_id_y 1
		.amdhsa_system_sgpr_workgroup_id_z 1
		.amdhsa_system_sgpr_workgroup_info 0
		.amdhsa_system_vgpr_workitem_id 1
		.amdhsa_next_free_vgpr 71
		.amdhsa_next_free_sgpr 47
		.amdhsa_reserve_vcc 1
		.amdhsa_float_round_mode_32 0
		.amdhsa_float_round_mode_16_64 0
		.amdhsa_float_denorm_mode_32 3
		.amdhsa_float_denorm_mode_16_64 3
		.amdhsa_fp16_overflow 0
		.amdhsa_workgroup_processor_mode 1
		.amdhsa_memory_ordered 1
		.amdhsa_forward_progress 1
		.amdhsa_inst_pref_size 28
		.amdhsa_round_robin_scheduling 0
		.amdhsa_exception_fp_ieee_invalid_op 0
		.amdhsa_exception_fp_denorm_src 0
		.amdhsa_exception_fp_ieee_div_zero 0
		.amdhsa_exception_fp_ieee_overflow 0
		.amdhsa_exception_fp_ieee_underflow 0
		.amdhsa_exception_fp_ieee_inexact 0
		.amdhsa_exception_int_div_zero 0
	.end_amdhsa_kernel
	.section	.text._ZN12_GLOBAL__N_135rocblas_gemm_batched_general_kernelI19rocblas_complex_numIfELi16ELi16ELi32ELi32ELi8ELi32ELi8ELi8ELi32ELc67ELc84EKPKS2_S5_KPS2_EEvlllT_PT11_llSA_llS8_PT12_llPT13_lli,"axG",@progbits,_ZN12_GLOBAL__N_135rocblas_gemm_batched_general_kernelI19rocblas_complex_numIfELi16ELi16ELi32ELi32ELi8ELi32ELi8ELi8ELi32ELc67ELc84EKPKS2_S5_KPS2_EEvlllT_PT11_llSA_llS8_PT12_llPT13_lli,comdat
.Lfunc_end258:
	.size	_ZN12_GLOBAL__N_135rocblas_gemm_batched_general_kernelI19rocblas_complex_numIfELi16ELi16ELi32ELi32ELi8ELi32ELi8ELi8ELi32ELc67ELc84EKPKS2_S5_KPS2_EEvlllT_PT11_llSA_llS8_PT12_llPT13_lli, .Lfunc_end258-_ZN12_GLOBAL__N_135rocblas_gemm_batched_general_kernelI19rocblas_complex_numIfELi16ELi16ELi32ELi32ELi8ELi32ELi8ELi8ELi32ELc67ELc84EKPKS2_S5_KPS2_EEvlllT_PT11_llSA_llS8_PT12_llPT13_lli
                                        ; -- End function
	.set _ZN12_GLOBAL__N_135rocblas_gemm_batched_general_kernelI19rocblas_complex_numIfELi16ELi16ELi32ELi32ELi8ELi32ELi8ELi8ELi32ELc67ELc84EKPKS2_S5_KPS2_EEvlllT_PT11_llSA_llS8_PT12_llPT13_lli.num_vgpr, 71
	.set _ZN12_GLOBAL__N_135rocblas_gemm_batched_general_kernelI19rocblas_complex_numIfELi16ELi16ELi32ELi32ELi8ELi32ELi8ELi8ELi32ELc67ELc84EKPKS2_S5_KPS2_EEvlllT_PT11_llSA_llS8_PT12_llPT13_lli.num_agpr, 0
	.set _ZN12_GLOBAL__N_135rocblas_gemm_batched_general_kernelI19rocblas_complex_numIfELi16ELi16ELi32ELi32ELi8ELi32ELi8ELi8ELi32ELc67ELc84EKPKS2_S5_KPS2_EEvlllT_PT11_llSA_llS8_PT12_llPT13_lli.numbered_sgpr, 47
	.set _ZN12_GLOBAL__N_135rocblas_gemm_batched_general_kernelI19rocblas_complex_numIfELi16ELi16ELi32ELi32ELi8ELi32ELi8ELi8ELi32ELc67ELc84EKPKS2_S5_KPS2_EEvlllT_PT11_llSA_llS8_PT12_llPT13_lli.num_named_barrier, 0
	.set _ZN12_GLOBAL__N_135rocblas_gemm_batched_general_kernelI19rocblas_complex_numIfELi16ELi16ELi32ELi32ELi8ELi32ELi8ELi8ELi32ELc67ELc84EKPKS2_S5_KPS2_EEvlllT_PT11_llSA_llS8_PT12_llPT13_lli.private_seg_size, 0
	.set _ZN12_GLOBAL__N_135rocblas_gemm_batched_general_kernelI19rocblas_complex_numIfELi16ELi16ELi32ELi32ELi8ELi32ELi8ELi8ELi32ELc67ELc84EKPKS2_S5_KPS2_EEvlllT_PT11_llSA_llS8_PT12_llPT13_lli.uses_vcc, 1
	.set _ZN12_GLOBAL__N_135rocblas_gemm_batched_general_kernelI19rocblas_complex_numIfELi16ELi16ELi32ELi32ELi8ELi32ELi8ELi8ELi32ELc67ELc84EKPKS2_S5_KPS2_EEvlllT_PT11_llSA_llS8_PT12_llPT13_lli.uses_flat_scratch, 0
	.set _ZN12_GLOBAL__N_135rocblas_gemm_batched_general_kernelI19rocblas_complex_numIfELi16ELi16ELi32ELi32ELi8ELi32ELi8ELi8ELi32ELc67ELc84EKPKS2_S5_KPS2_EEvlllT_PT11_llSA_llS8_PT12_llPT13_lli.has_dyn_sized_stack, 0
	.set _ZN12_GLOBAL__N_135rocblas_gemm_batched_general_kernelI19rocblas_complex_numIfELi16ELi16ELi32ELi32ELi8ELi32ELi8ELi8ELi32ELc67ELc84EKPKS2_S5_KPS2_EEvlllT_PT11_llSA_llS8_PT12_llPT13_lli.has_recursion, 0
	.set _ZN12_GLOBAL__N_135rocblas_gemm_batched_general_kernelI19rocblas_complex_numIfELi16ELi16ELi32ELi32ELi8ELi32ELi8ELi8ELi32ELc67ELc84EKPKS2_S5_KPS2_EEvlllT_PT11_llSA_llS8_PT12_llPT13_lli.has_indirect_call, 0
	.section	.AMDGPU.csdata,"",@progbits
; Kernel info:
; codeLenInByte = 3572
; TotalNumSgprs: 49
; NumVgprs: 71
; ScratchSize: 0
; MemoryBound: 1
; FloatMode: 240
; IeeeMode: 1
; LDSByteSize: 4096 bytes/workgroup (compile time only)
; SGPRBlocks: 0
; VGPRBlocks: 8
; NumSGPRsForWavesPerEU: 49
; NumVGPRsForWavesPerEU: 71
; Occupancy: 16
; WaveLimiterHint : 1
; COMPUTE_PGM_RSRC2:SCRATCH_EN: 0
; COMPUTE_PGM_RSRC2:USER_SGPR: 2
; COMPUTE_PGM_RSRC2:TRAP_HANDLER: 0
; COMPUTE_PGM_RSRC2:TGID_X_EN: 1
; COMPUTE_PGM_RSRC2:TGID_Y_EN: 1
; COMPUTE_PGM_RSRC2:TGID_Z_EN: 1
; COMPUTE_PGM_RSRC2:TIDIG_COMP_CNT: 1
	.section	.text._ZN12_GLOBAL__N_135rocblas_gemm_batched_general_kernelI19rocblas_complex_numIfELi16ELi16ELi32ELi32ELi8ELi32ELi8ELi8ELi32ELc78ELc67EKPKS2_S5_KPS2_EEvlllT_PT11_llSA_llS8_PT12_llPT13_lli,"axG",@progbits,_ZN12_GLOBAL__N_135rocblas_gemm_batched_general_kernelI19rocblas_complex_numIfELi16ELi16ELi32ELi32ELi8ELi32ELi8ELi8ELi32ELc78ELc67EKPKS2_S5_KPS2_EEvlllT_PT11_llSA_llS8_PT12_llPT13_lli,comdat
	.globl	_ZN12_GLOBAL__N_135rocblas_gemm_batched_general_kernelI19rocblas_complex_numIfELi16ELi16ELi32ELi32ELi8ELi32ELi8ELi8ELi32ELc78ELc67EKPKS2_S5_KPS2_EEvlllT_PT11_llSA_llS8_PT12_llPT13_lli ; -- Begin function _ZN12_GLOBAL__N_135rocblas_gemm_batched_general_kernelI19rocblas_complex_numIfELi16ELi16ELi32ELi32ELi8ELi32ELi8ELi8ELi32ELc78ELc67EKPKS2_S5_KPS2_EEvlllT_PT11_llSA_llS8_PT12_llPT13_lli
	.p2align	8
	.type	_ZN12_GLOBAL__N_135rocblas_gemm_batched_general_kernelI19rocblas_complex_numIfELi16ELi16ELi32ELi32ELi8ELi32ELi8ELi8ELi32ELc78ELc67EKPKS2_S5_KPS2_EEvlllT_PT11_llSA_llS8_PT12_llPT13_lli,@function
_ZN12_GLOBAL__N_135rocblas_gemm_batched_general_kernelI19rocblas_complex_numIfELi16ELi16ELi32ELi32ELi8ELi32ELi8ELi8ELi32ELc78ELc67EKPKS2_S5_KPS2_EEvlllT_PT11_llSA_llS8_PT12_llPT13_lli: ; @_ZN12_GLOBAL__N_135rocblas_gemm_batched_general_kernelI19rocblas_complex_numIfELi16ELi16ELi32ELi32ELi8ELi32ELi8ELi8ELi32ELc78ELc67EKPKS2_S5_KPS2_EEvlllT_PT11_llSA_llS8_PT12_llPT13_lli
; %bb.0:
	s_load_b32 s33, s[0:1], 0x88
	s_lshr_b32 s6, ttmp7, 16
	s_wait_kmcnt 0x0
	s_cmp_ge_i32 s6, s33
	s_cbranch_scc1 .LBB259_38
; %bb.1:
	s_mov_b32 s44, ttmp9
	s_ashr_i32 s45, ttmp9, 31
	v_bfe_u32 v8, v0, 10, 10
	s_clause 0x5
	s_load_b256 s[8:15], s[0:1], 0x0
	s_load_b256 s[16:23], s[0:1], 0x20
	s_load_b128 s[36:39], s[0:1], 0x78
	s_load_b256 s[24:31], s[0:1], 0x58
	s_load_b128 s[40:43], s[0:1], 0x40
	s_load_b64 s[34:35], s[0:1], 0x50
	s_lshl_b64 s[0:1], s[44:45], 5
	s_delay_alu instid0(SALU_CYCLE_1) | instskip(SKIP_3) | instid1(VALU_DEP_3)
	v_dual_mov_b32 v2, s1 :: v_dual_and_b32 v5, 0x3ff, v0
	v_and_b32_e32 v17, 7, v0
	s_and_b32 s5, ttmp7, 0xffff
	v_lshl_add_u32 v21, v8, 6, 0x800
	v_lshl_add_u32 v25, v8, 4, v5
	s_lshl_b32 s2, s5, 5
	s_mov_b32 s7, 0
	s_delay_alu instid0(VALU_DEP_1) | instskip(SKIP_2) | instid1(VALU_DEP_3)
	v_and_b32_e32 v3, 31, v25
	v_lshrrev_b32_e32 v0, 3, v25
	v_lshrrev_b32_e32 v16, 5, v25
	v_or_b32_e32 v1, s0, v3
	v_lshlrev_b32_e32 v26, 3, v3
	s_delay_alu instid0(VALU_DEP_4)
	v_add_co_u32 v3, s3, v0, s2
	s_wait_alu 0xf1ff
	v_add_co_ci_u32_e64 v4, null, 0, 0, s3
	s_wait_kmcnt 0x0
	v_cmp_gt_i64_e32 vcc_lo, s[8:9], v[1:2]
	v_add_co_u32 v1, s2, s2, v8
	v_mad_co_u64_u32 v[8:9], null, s40, v17, 0
	v_lshlrev_b32_e32 v6, 3, v17
	v_cmp_gt_i64_e64 s4, s[10:11], v[3:4]
	s_delay_alu instid0(VALU_DEP_4) | instskip(SKIP_1) | instid1(VALU_DEP_4)
	v_mad_co_u64_u32 v[10:11], null, v1, s26, 0
	v_lshlrev_b32_e32 v20, 3, v5
	v_lshl_or_b32 v6, v0, 6, v6
	s_wait_alu 0xf1ff
	v_add_co_ci_u32_e64 v2, null, 0, 0, s2
	s_or_b32 s3, s34, s35
	v_dual_mov_b32 v0, 0 :: v_dual_add_nc_u32 v19, 0x800, v6
	v_add_co_u32 v6, s0, s0, v5
	v_mad_co_u64_u32 v[4:5], null, v1, s36, 0
	s_wait_alu 0xf1ff
	v_add_co_ci_u32_e64 v7, null, s1, 0, s0
	s_delay_alu instid0(VALU_DEP_3) | instskip(SKIP_2) | instid1(VALU_DEP_3)
	v_add_co_u32 v12, s2, v6, 16
	v_cmp_gt_i64_e64 s0, s[10:11], v[1:2]
	s_wait_alu 0xf1ff
	v_add_co_ci_u32_e64 v13, null, 0, v7, s2
	v_mov_b32_e32 v3, v5
	v_mov_b32_e32 v5, v9
	s_wait_alu 0xfffe
	s_bitset0_b32 s3, 31
	v_cmp_gt_i64_e64 s1, s[8:9], v[6:7]
	s_wait_alu 0xfffe
	s_cmp_eq_u32 s3, 0
	v_mad_co_u64_u32 v[14:15], null, v1, s37, v[3:4]
	v_mov_b32_e32 v3, v11
	v_mad_co_u64_u32 v[22:23], null, s41, v17, v[5:6]
	v_add_co_u32 v23, s2, v1, 16
	s_wait_alu 0xf1ff
	v_add_co_ci_u32_e64 v24, null, 0, v2, s2
	v_mad_co_u64_u32 v[1:2], null, v1, s27, v[3:4]
	v_mad_co_u64_u32 v[2:3], null, s18, v16, 0
	v_mov_b32_e32 v9, v22
	v_cmp_gt_i64_e64 s2, s[8:9], v[12:13]
	s_cselect_b32 s46, -1, 0
	v_cmp_gt_i64_e64 s3, s[10:11], v[23:24]
	v_mov_b32_e32 v11, v1
	v_lshlrev_b64_e32 v[8:9], 3, v[8:9]
	v_mov_b32_e32 v1, v3
	s_lshl_b64 s[8:9], s[36:37], 4
	s_lshl_b32 s10, s5, 8
	s_mov_b32 s11, s7
	s_lshl_b64 s[36:37], s[42:43], 3
	v_mad_co_u64_u32 v[12:13], null, s19, v16, v[1:2]
	s_wait_alu 0xfffe
	s_add_nc_u64 s[10:11], s[36:37], s[10:11]
	v_and_b32_e32 v1, 0x1ff8, v25
	s_wait_alu 0xfffe
	v_add_co_u32 v8, s5, s10, v8
	s_delay_alu instid0(VALU_DEP_1) | instskip(NEXT) | instid1(VALU_DEP_4)
	v_add_co_ci_u32_e64 v9, null, s11, v9, s5
	v_mov_b32_e32 v3, v12
	s_delay_alu instid0(VALU_DEP_3)
	v_add_co_u32 v8, s5, v8, v1
	s_lshl_b64 s[10:11], s[44:45], 8
	s_lshl_b64 s[20:21], s[20:21], 3
	v_lshlrev_b64_e32 v[1:2], 3, v[2:3]
	s_wait_alu 0xfffe
	s_add_nc_u64 s[10:11], s[20:21], s[10:11]
	v_add_co_ci_u32_e64 v22, null, 0, v9, s5
	v_mov_b32_e32 v5, v14
	v_cmp_gt_i64_e64 s36, s[12:13], 0
	s_wait_alu 0xfffe
	v_add_co_u32 v1, s5, s10, v1
	s_wait_alu 0xf1ff
	v_add_co_ci_u32_e64 v2, null, s11, v2, s5
	v_lshlrev_b64_e32 v[4:5], 3, v[4:5]
	s_delay_alu instid0(VALU_DEP_3) | instskip(SKIP_1) | instid1(VALU_DEP_3)
	v_add_co_u32 v24, s5, v1, v26
	s_wait_alu 0xf1ff
	v_add_co_ci_u32_e64 v25, null, 0, v2, s5
	v_lshlrev_b64_e32 v[2:3], 3, v[10:11]
	v_lshlrev_b64_e32 v[6:7], 3, v[6:7]
	v_lshl_or_b32 v18, v16, 8, v26
	v_or_b32_e32 v23, 4, v8
	s_lshl_b64 s[26:27], s[26:27], 4
	s_lshl_b64 s[10:11], s[40:41], 6
	s_lshl_b64 s[18:19], s[18:19], 6
	s_xor_b32 s37, vcc_lo, -1
	s_xor_b32 s40, s4, -1
	s_lshl_b64 s[4:5], s[38:39], 3
	s_lshl_b64 s[20:21], s[28:29], 3
	s_wait_alu 0xfffe
	s_lshl_b64 s[26:27], s[26:27], 3
	s_branch .LBB259_4
.LBB259_2:                              ;   in Loop: Header=BB259_4 Depth=1
	s_wait_alu 0xfffe
	s_or_b32 exec_lo, exec_lo, s28
.LBB259_3:                              ;   in Loop: Header=BB259_4 Depth=1
	s_add_co_i32 s6, s6, 0x10000
	s_delay_alu instid0(SALU_CYCLE_1)
	s_cmp_lt_i32 s6, s33
	s_cbranch_scc0 .LBB259_38
.LBB259_4:                              ; =>This Loop Header: Depth=1
                                        ;     Child Loop BB259_7 Depth 2
	s_lshl_b64 s[28:29], s[6:7], 3
	v_dual_mov_b32 v32, v0 :: v_dual_mov_b32 v33, v0
	s_wait_alu 0xfffe
	s_add_nc_u64 s[38:39], s[24:25], s[28:29]
	s_add_nc_u64 s[42:43], s[30:31], s[28:29]
	s_clause 0x1
	global_load_b64 v[8:9], v0, s[38:39]
	global_load_b64 v[10:11], v0, s[42:43]
	v_dual_mov_b32 v30, v0 :: v_dual_mov_b32 v31, v0
	v_dual_mov_b32 v28, v0 :: v_dual_mov_b32 v29, v0
	;; [unrolled: 1-line block ×3, first 2 shown]
	s_and_not1_b32 vcc_lo, exec_lo, s36
	s_wait_alu 0xfffe
	s_cbranch_vccnz .LBB259_15
; %bb.5:                                ;   in Loop: Header=BB259_4 Depth=1
	s_add_nc_u64 s[38:39], s[22:23], s[28:29]
	s_add_nc_u64 s[28:29], s[16:17], s[28:29]
	s_clause 0x1
	global_load_b64 v[12:13], v0, s[38:39]
	global_load_b64 v[14:15], v0, s[28:29]
	v_dual_mov_b32 v26, 0 :: v_dual_mov_b32 v27, 0
	v_dual_mov_b32 v29, 0 :: v_dual_mov_b32 v28, 0
	;; [unrolled: 1-line block ×4, first 2 shown]
	s_mov_b64 s[28:29], 0
	s_wait_loadcnt 0x1
	v_add_co_u32 v12, vcc_lo, v12, v23
	s_wait_alu 0xfffd
	v_add_co_ci_u32_e64 v13, null, v13, v22, vcc_lo
	s_wait_loadcnt 0x0
	v_add_co_u32 v14, vcc_lo, v14, v24
	s_wait_alu 0xfffd
	v_add_co_ci_u32_e64 v15, null, v15, v25, vcc_lo
	s_branch .LBB259_7
.LBB259_6:                              ;   in Loop: Header=BB259_7 Depth=2
	s_or_b32 exec_lo, exec_lo, s38
	ds_store_b32 v19, v1 offset:4
	s_wait_dscnt 0x0
	s_barrier_signal -1
	s_barrier_wait -1
	global_inv scope:SCOPE_SE
	ds_load_b128 v[34:37], v21
	ds_load_2addr_b64 v[38:41], v20 offset1:16
	ds_load_b128 v[42:45], v21 offset:1024
	ds_load_b128 v[46:49], v21 offset:16
	;; [unrolled: 1-line block ×4, first 2 shown]
	ds_load_2addr_b64 v[58:61], v20 offset0:32 offset1:48
	ds_load_b128 v[62:65], v21 offset:1040
	s_add_nc_u64 s[28:29], s[28:29], 8
	v_add_co_u32 v12, vcc_lo, v12, s10
	s_wait_alu 0xfffe
	v_cmp_lt_i64_e64 s38, s[28:29], s[12:13]
	s_wait_alu 0xfffd
	v_add_co_ci_u32_e64 v13, null, s11, v13, vcc_lo
	v_add_co_u32 v14, vcc_lo, v14, s18
	s_wait_alu 0xfffd
	v_add_co_ci_u32_e64 v15, null, s19, v15, vcc_lo
	s_and_b32 vcc_lo, exec_lo, s38
	s_wait_dscnt 0x6
	v_dual_mul_f32 v1, v35, v39 :: v_dual_mul_f32 v68, v34, v41
	v_dual_mul_f32 v66, v34, v39 :: v_dual_mul_f32 v67, v35, v41
	s_wait_dscnt 0x5
	v_mul_f32_e32 v70, v43, v41
	s_delay_alu instid0(VALU_DEP_3) | instskip(SKIP_3) | instid1(VALU_DEP_4)
	v_fma_f32 v1, v34, v38, -v1
	v_dual_mul_f32 v41, v42, v41 :: v_dual_fmac_f32 v68, v35, v40
	v_fmac_f32_e32 v66, v35, v38
	v_fma_f32 v34, v34, v40, -v67
	v_add_f32_e32 v1, v32, v1
	v_mul_f32_e32 v69, v43, v39
	s_delay_alu instid0(VALU_DEP_4) | instskip(NEXT) | instid1(VALU_DEP_4)
	v_dual_mul_f32 v39, v42, v39 :: v_dual_add_f32 v32, v33, v66
	v_add_f32_e32 v33, v30, v34
	v_fma_f32 v30, v42, v40, -v70
	s_delay_alu instid0(VALU_DEP_4) | instskip(NEXT) | instid1(VALU_DEP_4)
	v_fma_f32 v35, v42, v38, -v69
	v_fmac_f32_e32 v39, v43, v38
	s_wait_dscnt 0x1
	v_dual_add_f32 v31, v31, v68 :: v_dual_mul_f32 v38, v37, v59
	v_dual_fmac_f32 v41, v43, v40 :: v_dual_mul_f32 v42, v37, v61
	v_add_f32_e32 v34, v28, v35
	v_add_f32_e32 v35, v29, v39
	v_dual_add_f32 v39, v27, v30 :: v_dual_mul_f32 v40, v36, v59
	ds_load_2addr_b64 v[27:30], v20 offset0:64 offset1:80
	v_fma_f32 v38, v36, v58, -v38
	v_add_f32_e32 v26, v26, v41
	v_dual_mul_f32 v41, v36, v61 :: v_dual_fmac_f32 v40, v37, v58
	v_fma_f32 v36, v36, v60, -v42
	s_delay_alu instid0(VALU_DEP_4) | instskip(SKIP_1) | instid1(VALU_DEP_4)
	v_add_f32_e32 v1, v1, v38
	v_mul_f32_e32 v38, v45, v59
	v_fmac_f32_e32 v41, v37, v60
	v_add_f32_e32 v40, v32, v40
	v_mul_f32_e32 v32, v44, v59
	v_add_f32_e32 v36, v33, v36
	v_fma_f32 v33, v44, v58, -v38
	v_mul_f32_e32 v37, v45, v61
	v_add_f32_e32 v38, v31, v41
	v_dual_mul_f32 v41, v44, v61 :: v_dual_fmac_f32 v32, v45, v58
	s_delay_alu instid0(VALU_DEP_4) | instskip(NEXT) | instid1(VALU_DEP_4)
	v_add_f32_e32 v42, v34, v33
	v_fma_f32 v31, v44, v60, -v37
	s_wait_dscnt 0x0
	v_mul_f32_e32 v33, v47, v28
	v_fmac_f32_e32 v41, v45, v60
	v_add_f32_e32 v35, v35, v32
	v_add_f32_e32 v39, v39, v31
	v_mul_f32_e32 v44, v47, v30
	v_fma_f32 v43, v46, v27, -v33
	ds_load_2addr_b64 v[31:34], v20 offset0:96 offset1:112
	v_add_f32_e32 v41, v26, v41
	v_mul_f32_e32 v26, v46, v30
	v_mul_f32_e32 v37, v46, v28
	v_add_f32_e32 v1, v1, v43
	v_fma_f32 v43, v46, v29, -v44
	s_delay_alu instid0(VALU_DEP_4) | instskip(NEXT) | instid1(VALU_DEP_4)
	v_fmac_f32_e32 v26, v47, v29
	v_fmac_f32_e32 v37, v47, v27
	s_delay_alu instid0(VALU_DEP_3) | instskip(NEXT) | instid1(VALU_DEP_2)
	v_dual_add_f32 v36, v36, v43 :: v_dual_mul_f32 v43, v63, v30
	v_dual_mul_f32 v30, v62, v30 :: v_dual_add_f32 v37, v40, v37
	v_mul_f32_e32 v40, v63, v28
	v_mul_f32_e32 v28, v62, v28
	v_add_f32_e32 v44, v38, v26
	v_fma_f32 v26, v62, v29, -v43
	s_delay_alu instid0(VALU_DEP_4) | instskip(SKIP_2) | instid1(VALU_DEP_3)
	v_fma_f32 v40, v62, v27, -v40
	s_wait_dscnt 0x0
	v_dual_fmac_f32 v28, v63, v27 :: v_dual_mul_f32 v43, v49, v34
	v_add_f32_e32 v39, v39, v26
	s_delay_alu instid0(VALU_DEP_3) | instskip(NEXT) | instid1(VALU_DEP_3)
	v_dual_mul_f32 v47, v65, v34 :: v_dual_add_f32 v40, v42, v40
	v_add_f32_e32 v42, v35, v28
	v_mul_f32_e32 v35, v49, v32
	v_fma_f32 v43, v48, v33, -v43
	s_delay_alu instid0(VALU_DEP_2)
	v_fma_f32 v35, v48, v31, -v35
	v_fmac_f32_e32 v30, v63, v29
	ds_load_2addr_b64 v[26:29], v20 offset0:128 offset1:144
	v_add_f32_e32 v43, v36, v43
	v_dual_add_f32 v1, v1, v35 :: v_dual_mul_f32 v38, v48, v32
	v_add_f32_e32 v41, v41, v30
	v_dual_mul_f32 v30, v48, v34 :: v_dual_mul_f32 v35, v65, v32
	v_mul_f32_e32 v32, v64, v32
	v_mul_f32_e32 v34, v64, v34
	s_delay_alu instid0(VALU_DEP_3) | instskip(NEXT) | instid1(VALU_DEP_4)
	v_fmac_f32_e32 v30, v49, v33
	v_fma_f32 v46, v64, v31, -v35
	s_delay_alu instid0(VALU_DEP_4) | instskip(SKIP_1) | instid1(VALU_DEP_4)
	v_fmac_f32_e32 v32, v65, v31
	v_fmac_f32_e32 v38, v49, v31
	v_add_f32_e32 v44, v44, v30
	v_fma_f32 v30, v64, v33, -v47
	s_wait_dscnt 0x0
	v_mul_f32_e32 v49, v50, v27
	v_dual_mul_f32 v31, v51, v27 :: v_dual_mul_f32 v58, v50, v29
	s_delay_alu instid0(VALU_DEP_2)
	v_fmac_f32_e32 v49, v51, v26
	v_add_f32_e32 v47, v42, v32
	v_add_f32_e32 v45, v37, v38
	ds_load_b128 v[35:38], v21 offset:1056
	v_fmac_f32_e32 v34, v65, v33
	v_add_f32_e32 v48, v39, v30
	v_fma_f32 v39, v50, v26, -v31
	v_add_f32_e32 v46, v40, v46
	ds_load_2addr_b64 v[30:33], v20 offset0:160 offset1:176
	v_mul_f32_e32 v40, v51, v29
	v_add_f32_e32 v34, v41, v34
	v_add_f32_e32 v1, v1, v39
	v_add_f32_e32 v45, v45, v49
	s_delay_alu instid0(VALU_DEP_4)
	v_fma_f32 v50, v50, v28, -v40
	ds_load_b128 v[39:42], v21 offset:1072
	v_add_f32_e32 v43, v43, v50
	s_wait_dscnt 0x2
	v_mul_f32_e32 v59, v36, v27
	v_mul_f32_e32 v27, v35, v27
	v_fmac_f32_e32 v58, v51, v28
	v_mul_f32_e32 v50, v36, v29
	v_mul_f32_e32 v51, v35, v29
	v_fma_f32 v49, v35, v26, -v59
	v_fmac_f32_e32 v27, v36, v26
	s_wait_dscnt 0x1
	v_dual_add_f32 v44, v44, v58 :: v_dual_mul_f32 v29, v53, v31
	v_fma_f32 v26, v35, v28, -v50
	v_fmac_f32_e32 v51, v36, v28
	v_mul_f32_e32 v36, v52, v31
	v_dual_add_f32 v46, v46, v49 :: v_dual_add_f32 v35, v47, v27
	v_mul_f32_e32 v49, v53, v33
	s_delay_alu instid0(VALU_DEP_3)
	v_fmac_f32_e32 v36, v53, v30
	v_dual_add_f32 v47, v48, v26 :: v_dual_add_f32 v50, v34, v51
	v_fma_f32 v48, v52, v30, -v29
	ds_load_2addr_b64 v[26:29], v20 offset0:192 offset1:208
	v_dual_mul_f32 v34, v52, v33 :: v_dual_add_f32 v45, v45, v36
	v_dual_mul_f32 v36, v38, v31 :: v_dual_add_f32 v1, v1, v48
	v_fma_f32 v48, v52, v32, -v49
	v_mul_f32_e32 v31, v37, v31
	s_delay_alu instid0(VALU_DEP_3) | instskip(NEXT) | instid1(VALU_DEP_3)
	v_fma_f32 v36, v37, v30, -v36
	v_dual_add_f32 v43, v43, v48 :: v_dual_mul_f32 v48, v38, v33
	s_delay_alu instid0(VALU_DEP_3) | instskip(NEXT) | instid1(VALU_DEP_1)
	v_dual_fmac_f32 v34, v53, v32 :: v_dual_fmac_f32 v31, v38, v30
	v_dual_mul_f32 v33, v37, v33 :: v_dual_add_f32 v30, v44, v34
	s_delay_alu instid0(VALU_DEP_3) | instskip(NEXT) | instid1(VALU_DEP_3)
	v_fma_f32 v34, v37, v32, -v48
	v_dual_add_f32 v44, v46, v36 :: v_dual_add_f32 v31, v35, v31
	s_wait_dscnt 0x0
	v_mul_f32_e32 v48, v54, v29
	v_dual_mul_f32 v46, v55, v27 :: v_dual_fmac_f32 v33, v38, v32
	v_add_f32_e32 v32, v47, v34
	ds_load_2addr_b64 v[34:37], v20 offset0:224 offset1:240
	v_dual_mul_f32 v38, v54, v27 :: v_dual_mul_f32 v47, v55, v29
	v_fma_f32 v46, v54, v26, -v46
	v_dual_fmac_f32 v48, v55, v28 :: v_dual_add_f32 v33, v50, v33
	s_delay_alu instid0(VALU_DEP_3) | instskip(NEXT) | instid1(VALU_DEP_4)
	v_fmac_f32_e32 v38, v55, v26
	v_fma_f32 v47, v54, v28, -v47
	s_delay_alu instid0(VALU_DEP_4) | instskip(SKIP_2) | instid1(VALU_DEP_3)
	v_dual_add_f32 v1, v1, v46 :: v_dual_mul_f32 v46, v40, v27
	v_mul_f32_e32 v27, v39, v27
	s_wait_loadcnt_dscnt 0x0
	v_add_f32_e32 v43, v43, v47
	v_dual_add_f32 v47, v30, v48 :: v_dual_add_f32 v38, v45, v38
	v_fma_f32 v45, v39, v26, -v46
	v_mul_f32_e32 v46, v40, v29
	v_fmac_f32_e32 v27, v40, v26
	v_mul_f32_e32 v29, v39, v29
	s_barrier_signal -1
	v_add_f32_e32 v26, v44, v45
	v_fma_f32 v30, v39, v28, -v46
	v_mul_f32_e32 v39, v57, v35
	v_mul_f32_e32 v44, v56, v35
	v_add_f32_e32 v27, v31, v27
	v_fmac_f32_e32 v29, v40, v28
	v_add_f32_e32 v40, v32, v30
	v_fma_f32 v28, v56, v34, -v39
	v_fmac_f32_e32 v44, v57, v34
	v_mul_f32_e32 v30, v57, v37
	v_mul_f32_e32 v31, v56, v37
	v_add_f32_e32 v39, v33, v29
	v_add_f32_e32 v32, v1, v28
	;; [unrolled: 1-line block ×3, first 2 shown]
	v_fma_f32 v1, v56, v36, -v30
	v_dual_mul_f32 v28, v42, v35 :: v_dual_fmac_f32 v31, v57, v36
	s_barrier_wait -1
	global_inv scope:SCOPE_SE
	v_add_f32_e32 v30, v43, v1
	v_fma_f32 v1, v41, v34, -v28
	v_mul_f32_e32 v29, v41, v35
	v_mul_f32_e32 v35, v42, v37
	;; [unrolled: 1-line block ×3, first 2 shown]
	s_delay_alu instid0(VALU_DEP_4) | instskip(NEXT) | instid1(VALU_DEP_2)
	v_dual_add_f32 v31, v47, v31 :: v_dual_add_f32 v28, v26, v1
	v_fmac_f32_e32 v37, v42, v36
	v_fmac_f32_e32 v29, v42, v34
	v_fma_f32 v34, v41, v36, -v35
	s_delay_alu instid0(VALU_DEP_3) | instskip(NEXT) | instid1(VALU_DEP_3)
	v_add_f32_e32 v26, v39, v37
	v_add_f32_e32 v29, v27, v29
	s_delay_alu instid0(VALU_DEP_3)
	v_add_f32_e32 v27, v40, v34
	s_wait_alu 0xfffe
	s_cbranch_vccz .LBB259_15
.LBB259_7:                              ;   Parent Loop BB259_4 Depth=1
                                        ; =>  This Inner Loop Header: Depth=2
	s_wait_alu 0xfffe
	v_add_co_u32 v34, s38, v16, s28
	s_wait_alu 0xf1ff
	v_add_co_ci_u32_e64 v35, null, 0, s29, s38
	s_delay_alu instid0(VALU_DEP_1)
	v_cmp_le_i64_e32 vcc_lo, s[12:13], v[34:35]
	s_or_b32 s38, s37, vcc_lo
	s_wait_alu 0xfffe
	s_and_saveexec_b32 s39, s38
	s_wait_alu 0xfffe
	s_xor_b32 s38, exec_lo, s39
; %bb.8:                                ;   in Loop: Header=BB259_7 Depth=2
	v_mov_b32_e32 v1, v0
	ds_store_b64 v18, v[0:1]
; %bb.9:                                ;   in Loop: Header=BB259_7 Depth=2
	s_wait_alu 0xfffe
	s_and_not1_saveexec_b32 s38, s38
	s_cbranch_execz .LBB259_11
; %bb.10:                               ;   in Loop: Header=BB259_7 Depth=2
	flat_load_b64 v[34:35], v[14:15]
	s_wait_loadcnt_dscnt 0x0
	ds_store_b64 v18, v[34:35]
.LBB259_11:                             ;   in Loop: Header=BB259_7 Depth=2
	s_wait_alu 0xfffe
	s_or_b32 exec_lo, exec_lo, s38
	v_add_co_u32 v34, s38, v17, s28
	s_wait_alu 0xf1ff
	v_add_co_ci_u32_e64 v35, null, 0, s29, s38
	s_delay_alu instid0(VALU_DEP_1)
	v_cmp_le_i64_e32 vcc_lo, s[12:13], v[34:35]
	s_or_b32 s38, vcc_lo, s40
	s_wait_alu 0xfffe
	s_and_saveexec_b32 s39, s38
	s_wait_alu 0xfffe
	s_xor_b32 s38, exec_lo, s39
; %bb.12:                               ;   in Loop: Header=BB259_7 Depth=2
	ds_store_b32 v19, v0
; %bb.13:                               ;   in Loop: Header=BB259_7 Depth=2
	s_wait_alu 0xfffe
	s_or_saveexec_b32 s38, s38
	v_mov_b32_e32 v1, 0
	s_wait_alu 0xfffe
	s_xor_b32 exec_lo, exec_lo, s38
	s_cbranch_execz .LBB259_6
; %bb.14:                               ;   in Loop: Header=BB259_7 Depth=2
	flat_load_b64 v[34:35], v[12:13] offset:-4
	s_wait_loadcnt_dscnt 0x0
	v_xor_b32_e32 v1, 0x80000000, v35
	ds_store_b32 v19, v34
	s_branch .LBB259_6
.LBB259_15:                             ;   in Loop: Header=BB259_4 Depth=1
	s_wait_loadcnt 0x0
	v_add_co_u32 v1, vcc_lo, v10, s4
	s_wait_alu 0xfffd
	v_add_co_ci_u32_e64 v12, null, s5, v11, vcc_lo
	s_and_not1_b32 vcc_lo, exec_lo, s46
	s_mov_b32 s28, -1
	s_wait_alu 0xfffe
	s_cbranch_vccz .LBB259_17
; %bb.16:                               ;   in Loop: Header=BB259_4 Depth=1
	s_and_not1_b32 vcc_lo, exec_lo, s28
	s_wait_alu 0xfffe
	s_cbranch_vccnz .LBB259_3
	s_branch .LBB259_28
.LBB259_17:                             ;   in Loop: Header=BB259_4 Depth=1
	s_and_saveexec_b32 s28, s0
	s_cbranch_execz .LBB259_27
; %bb.18:                               ;   in Loop: Header=BB259_4 Depth=1
	v_add_co_u32 v10, vcc_lo, v1, v4
	s_wait_alu 0xfffd
	v_add_co_ci_u32_e64 v11, null, v12, v5, vcc_lo
	s_and_saveexec_b32 s29, s1
	s_cbranch_execnz .LBB259_21
; %bb.19:                               ;   in Loop: Header=BB259_4 Depth=1
	s_wait_alu 0xfffe
	s_or_b32 exec_lo, exec_lo, s29
	s_and_saveexec_b32 s29, s2
	s_cbranch_execnz .LBB259_22
.LBB259_20:                             ;   in Loop: Header=BB259_4 Depth=1
	s_wait_alu 0xfffe
	s_or_b32 exec_lo, exec_lo, s29
	s_delay_alu instid0(SALU_CYCLE_1)
	s_and_b32 exec_lo, exec_lo, s3
	s_cbranch_execnz .LBB259_23
	s_branch .LBB259_27
.LBB259_21:                             ;   in Loop: Header=BB259_4 Depth=1
	v_mul_f32_e32 v14, s14, v33
	v_mul_f32_e32 v13, s15, v33
	v_add_co_u32 v34, vcc_lo, v10, v6
	s_wait_alu 0xfffd
	v_add_co_ci_u32_e64 v35, null, v11, v7, vcc_lo
	v_fmac_f32_e32 v14, s15, v32
	v_fma_f32 v13, v32, s14, -v13
	flat_store_b64 v[34:35], v[13:14]
	s_wait_alu 0xfffe
	s_or_b32 exec_lo, exec_lo, s29
	s_and_saveexec_b32 s29, s2
	s_cbranch_execz .LBB259_20
.LBB259_22:                             ;   in Loop: Header=BB259_4 Depth=1
	v_mul_f32_e32 v14, s14, v31
	v_mul_f32_e32 v13, s15, v31
	v_add_co_u32 v34, vcc_lo, v10, v6
	s_wait_alu 0xfffd
	v_add_co_ci_u32_e64 v35, null, v11, v7, vcc_lo
	v_fmac_f32_e32 v14, s15, v30
	v_fma_f32 v13, v30, s14, -v13
	flat_store_b64 v[34:35], v[13:14] offset:128
	s_wait_alu 0xfffe
	s_or_b32 exec_lo, exec_lo, s29
	s_delay_alu instid0(SALU_CYCLE_1)
	s_and_b32 exec_lo, exec_lo, s3
	s_cbranch_execz .LBB259_27
.LBB259_23:                             ;   in Loop: Header=BB259_4 Depth=1
	s_lshl_b64 s[38:39], s[8:9], 3
	s_wait_alu 0xfffe
	v_add_co_u32 v10, vcc_lo, v10, s38
	s_wait_alu 0xfffd
	v_add_co_ci_u32_e64 v11, null, s39, v11, vcc_lo
	s_delay_alu instid0(VALU_DEP_2) | instskip(SKIP_1) | instid1(VALU_DEP_2)
	v_add_co_u32 v10, vcc_lo, v10, v6
	s_wait_alu 0xfffd
	v_add_co_ci_u32_e64 v11, null, v11, v7, vcc_lo
	s_and_saveexec_b32 s29, s1
	s_cbranch_execz .LBB259_25
; %bb.24:                               ;   in Loop: Header=BB259_4 Depth=1
	v_mul_f32_e32 v14, s14, v29
	s_delay_alu instid0(VALU_DEP_1) | instskip(NEXT) | instid1(VALU_DEP_1)
	v_dual_mul_f32 v13, s15, v29 :: v_dual_fmac_f32 v14, s15, v28
	v_fma_f32 v13, v28, s14, -v13
	flat_store_b64 v[10:11], v[13:14]
.LBB259_25:                             ;   in Loop: Header=BB259_4 Depth=1
	s_wait_alu 0xfffe
	s_or_b32 exec_lo, exec_lo, s29
	s_delay_alu instid0(SALU_CYCLE_1)
	s_and_b32 exec_lo, exec_lo, s2
	s_cbranch_execz .LBB259_27
; %bb.26:                               ;   in Loop: Header=BB259_4 Depth=1
	v_mul_f32_e32 v14, s14, v26
	s_delay_alu instid0(VALU_DEP_1) | instskip(NEXT) | instid1(VALU_DEP_1)
	v_dual_mul_f32 v13, s15, v26 :: v_dual_fmac_f32 v14, s15, v27
	v_fma_f32 v13, v27, s14, -v13
	flat_store_b64 v[10:11], v[13:14] offset:128
.LBB259_27:                             ;   in Loop: Header=BB259_4 Depth=1
	s_wait_alu 0xfffe
	s_or_b32 exec_lo, exec_lo, s28
	s_cbranch_execnz .LBB259_3
.LBB259_28:                             ;   in Loop: Header=BB259_4 Depth=1
	s_and_saveexec_b32 s28, s0
	s_cbranch_execz .LBB259_2
; %bb.29:                               ;   in Loop: Header=BB259_4 Depth=1
	v_add_co_u32 v8, vcc_lo, v8, s20
	s_wait_alu 0xfffd
	v_add_co_ci_u32_e64 v10, null, s21, v9, vcc_lo
	s_delay_alu instid0(VALU_DEP_2) | instskip(SKIP_1) | instid1(VALU_DEP_2)
	v_add_co_u32 v9, vcc_lo, v8, v2
	s_wait_alu 0xfffd
	v_add_co_ci_u32_e64 v10, null, v10, v3, vcc_lo
	v_add_co_u32 v1, vcc_lo, v1, v4
	s_wait_alu 0xfffd
	v_add_co_ci_u32_e64 v8, null, v12, v5, vcc_lo
	s_and_saveexec_b32 s29, s1
	s_cbranch_execnz .LBB259_32
; %bb.30:                               ;   in Loop: Header=BB259_4 Depth=1
	s_wait_alu 0xfffe
	s_or_b32 exec_lo, exec_lo, s29
	s_and_saveexec_b32 s29, s2
	s_cbranch_execnz .LBB259_33
.LBB259_31:                             ;   in Loop: Header=BB259_4 Depth=1
	s_wait_alu 0xfffe
	s_or_b32 exec_lo, exec_lo, s29
	s_delay_alu instid0(SALU_CYCLE_1)
	s_and_b32 exec_lo, exec_lo, s3
	s_cbranch_execz .LBB259_2
	s_branch .LBB259_34
.LBB259_32:                             ;   in Loop: Header=BB259_4 Depth=1
	v_add_co_u32 v11, vcc_lo, v9, v6
	s_wait_alu 0xfffd
	v_add_co_ci_u32_e64 v12, null, v10, v7, vcc_lo
	flat_load_b64 v[11:12], v[11:12]
	v_mul_f32_e32 v13, s15, v33
	s_wait_loadcnt_dscnt 0x0
	v_dual_mul_f32 v14, s14, v33 :: v_dual_mul_f32 v15, s35, v12
	v_mul_f32_e32 v12, s34, v12
	s_delay_alu instid0(VALU_DEP_3) | instskip(NEXT) | instid1(VALU_DEP_3)
	v_fma_f32 v13, v32, s14, -v13
	v_fma_f32 v15, v11, s34, -v15
	s_delay_alu instid0(VALU_DEP_4) | instskip(NEXT) | instid1(VALU_DEP_4)
	v_fmac_f32_e32 v14, s15, v32
	v_fmac_f32_e32 v12, s35, v11
	s_delay_alu instid0(VALU_DEP_3) | instskip(SKIP_1) | instid1(VALU_DEP_3)
	v_add_f32_e32 v11, v13, v15
	v_add_co_u32 v13, vcc_lo, v1, v6
	v_add_f32_e32 v12, v14, v12
	s_wait_alu 0xfffd
	v_add_co_ci_u32_e64 v14, null, v8, v7, vcc_lo
	flat_store_b64 v[13:14], v[11:12]
	s_wait_alu 0xfffe
	s_or_b32 exec_lo, exec_lo, s29
	s_and_saveexec_b32 s29, s2
	s_cbranch_execz .LBB259_31
.LBB259_33:                             ;   in Loop: Header=BB259_4 Depth=1
	v_add_co_u32 v11, vcc_lo, v9, v6
	s_wait_alu 0xfffd
	v_add_co_ci_u32_e64 v12, null, v10, v7, vcc_lo
	flat_load_b64 v[11:12], v[11:12] offset:128
	v_mul_f32_e32 v13, s15, v31
	s_wait_loadcnt_dscnt 0x0
	v_dual_mul_f32 v14, s14, v31 :: v_dual_mul_f32 v15, s35, v12
	v_mul_f32_e32 v12, s34, v12
	s_delay_alu instid0(VALU_DEP_3) | instskip(NEXT) | instid1(VALU_DEP_3)
	v_fma_f32 v13, v30, s14, -v13
	v_fma_f32 v15, v11, s34, -v15
	s_delay_alu instid0(VALU_DEP_4) | instskip(NEXT) | instid1(VALU_DEP_4)
	v_fmac_f32_e32 v14, s15, v30
	v_fmac_f32_e32 v12, s35, v11
	s_delay_alu instid0(VALU_DEP_3) | instskip(SKIP_1) | instid1(VALU_DEP_3)
	v_add_f32_e32 v11, v13, v15
	v_add_co_u32 v13, vcc_lo, v1, v6
	v_add_f32_e32 v12, v14, v12
	s_wait_alu 0xfffd
	v_add_co_ci_u32_e64 v14, null, v8, v7, vcc_lo
	flat_store_b64 v[13:14], v[11:12] offset:128
	s_wait_alu 0xfffe
	s_or_b32 exec_lo, exec_lo, s29
	s_delay_alu instid0(SALU_CYCLE_1)
	s_and_b32 exec_lo, exec_lo, s3
	s_cbranch_execz .LBB259_2
.LBB259_34:                             ;   in Loop: Header=BB259_4 Depth=1
	v_add_co_u32 v9, vcc_lo, v9, s26
	s_lshl_b64 s[38:39], s[8:9], 3
	s_wait_alu 0xfffd
	v_add_co_ci_u32_e64 v11, null, s27, v10, vcc_lo
	s_wait_alu 0xfffe
	v_add_co_u32 v1, vcc_lo, v1, s38
	s_wait_alu 0xfffd
	v_add_co_ci_u32_e64 v12, null, s39, v8, vcc_lo
	v_add_co_u32 v10, vcc_lo, v9, v6
	s_wait_alu 0xfffd
	v_add_co_ci_u32_e64 v11, null, v11, v7, vcc_lo
	;; [unrolled: 3-line block ×3, first 2 shown]
	s_and_saveexec_b32 s29, s1
	s_cbranch_execz .LBB259_36
; %bb.35:                               ;   in Loop: Header=BB259_4 Depth=1
	flat_load_b64 v[12:13], v[10:11]
	s_wait_loadcnt_dscnt 0x0
	v_mul_f32_e32 v15, s35, v13
	s_delay_alu instid0(VALU_DEP_1) | instskip(SKIP_1) | instid1(VALU_DEP_1)
	v_fma_f32 v15, v12, s34, -v15
	v_mul_f32_e32 v13, s34, v13
	v_dual_mul_f32 v14, s14, v29 :: v_dual_fmac_f32 v13, s35, v12
	s_delay_alu instid0(VALU_DEP_1) | instskip(NEXT) | instid1(VALU_DEP_1)
	v_dual_mul_f32 v1, s15, v29 :: v_dual_fmac_f32 v14, s15, v28
	v_fma_f32 v1, v28, s14, -v1
	s_delay_alu instid0(VALU_DEP_1)
	v_dual_add_f32 v13, v14, v13 :: v_dual_add_f32 v12, v1, v15
	flat_store_b64 v[8:9], v[12:13]
.LBB259_36:                             ;   in Loop: Header=BB259_4 Depth=1
	s_wait_alu 0xfffe
	s_or_b32 exec_lo, exec_lo, s29
	s_delay_alu instid0(SALU_CYCLE_1)
	s_and_b32 exec_lo, exec_lo, s2
	s_cbranch_execz .LBB259_2
; %bb.37:                               ;   in Loop: Header=BB259_4 Depth=1
	flat_load_b64 v[10:11], v[10:11] offset:128
	s_wait_loadcnt_dscnt 0x0
	v_dual_mul_f32 v12, s14, v26 :: v_dual_mul_f32 v13, s35, v11
	s_delay_alu instid0(VALU_DEP_1) | instskip(NEXT) | instid1(VALU_DEP_2)
	v_dual_mul_f32 v1, s15, v26 :: v_dual_fmac_f32 v12, s15, v27
	v_fma_f32 v13, v10, s34, -v13
	s_delay_alu instid0(VALU_DEP_2) | instskip(SKIP_1) | instid1(VALU_DEP_1)
	v_fma_f32 v1, v27, s14, -v1
	v_mul_f32_e32 v11, s34, v11
	v_dual_fmac_f32 v11, s35, v10 :: v_dual_add_f32 v10, v1, v13
	s_delay_alu instid0(VALU_DEP_1)
	v_add_f32_e32 v11, v12, v11
	flat_store_b64 v[8:9], v[10:11] offset:128
	s_branch .LBB259_2
.LBB259_38:
	s_endpgm
	.section	.rodata,"a",@progbits
	.p2align	6, 0x0
	.amdhsa_kernel _ZN12_GLOBAL__N_135rocblas_gemm_batched_general_kernelI19rocblas_complex_numIfELi16ELi16ELi32ELi32ELi8ELi32ELi8ELi8ELi32ELc78ELc67EKPKS2_S5_KPS2_EEvlllT_PT11_llSA_llS8_PT12_llPT13_lli
		.amdhsa_group_segment_fixed_size 4096
		.amdhsa_private_segment_fixed_size 0
		.amdhsa_kernarg_size 140
		.amdhsa_user_sgpr_count 2
		.amdhsa_user_sgpr_dispatch_ptr 0
		.amdhsa_user_sgpr_queue_ptr 0
		.amdhsa_user_sgpr_kernarg_segment_ptr 1
		.amdhsa_user_sgpr_dispatch_id 0
		.amdhsa_user_sgpr_private_segment_size 0
		.amdhsa_wavefront_size32 1
		.amdhsa_uses_dynamic_stack 0
		.amdhsa_enable_private_segment 0
		.amdhsa_system_sgpr_workgroup_id_x 1
		.amdhsa_system_sgpr_workgroup_id_y 1
		.amdhsa_system_sgpr_workgroup_id_z 1
		.amdhsa_system_sgpr_workgroup_info 0
		.amdhsa_system_vgpr_workitem_id 1
		.amdhsa_next_free_vgpr 71
		.amdhsa_next_free_sgpr 47
		.amdhsa_reserve_vcc 1
		.amdhsa_float_round_mode_32 0
		.amdhsa_float_round_mode_16_64 0
		.amdhsa_float_denorm_mode_32 3
		.amdhsa_float_denorm_mode_16_64 3
		.amdhsa_fp16_overflow 0
		.amdhsa_workgroup_processor_mode 1
		.amdhsa_memory_ordered 1
		.amdhsa_forward_progress 1
		.amdhsa_inst_pref_size 29
		.amdhsa_round_robin_scheduling 0
		.amdhsa_exception_fp_ieee_invalid_op 0
		.amdhsa_exception_fp_denorm_src 0
		.amdhsa_exception_fp_ieee_div_zero 0
		.amdhsa_exception_fp_ieee_overflow 0
		.amdhsa_exception_fp_ieee_underflow 0
		.amdhsa_exception_fp_ieee_inexact 0
		.amdhsa_exception_int_div_zero 0
	.end_amdhsa_kernel
	.section	.text._ZN12_GLOBAL__N_135rocblas_gemm_batched_general_kernelI19rocblas_complex_numIfELi16ELi16ELi32ELi32ELi8ELi32ELi8ELi8ELi32ELc78ELc67EKPKS2_S5_KPS2_EEvlllT_PT11_llSA_llS8_PT12_llPT13_lli,"axG",@progbits,_ZN12_GLOBAL__N_135rocblas_gemm_batched_general_kernelI19rocblas_complex_numIfELi16ELi16ELi32ELi32ELi8ELi32ELi8ELi8ELi32ELc78ELc67EKPKS2_S5_KPS2_EEvlllT_PT11_llSA_llS8_PT12_llPT13_lli,comdat
.Lfunc_end259:
	.size	_ZN12_GLOBAL__N_135rocblas_gemm_batched_general_kernelI19rocblas_complex_numIfELi16ELi16ELi32ELi32ELi8ELi32ELi8ELi8ELi32ELc78ELc67EKPKS2_S5_KPS2_EEvlllT_PT11_llSA_llS8_PT12_llPT13_lli, .Lfunc_end259-_ZN12_GLOBAL__N_135rocblas_gemm_batched_general_kernelI19rocblas_complex_numIfELi16ELi16ELi32ELi32ELi8ELi32ELi8ELi8ELi32ELc78ELc67EKPKS2_S5_KPS2_EEvlllT_PT11_llSA_llS8_PT12_llPT13_lli
                                        ; -- End function
	.set _ZN12_GLOBAL__N_135rocblas_gemm_batched_general_kernelI19rocblas_complex_numIfELi16ELi16ELi32ELi32ELi8ELi32ELi8ELi8ELi32ELc78ELc67EKPKS2_S5_KPS2_EEvlllT_PT11_llSA_llS8_PT12_llPT13_lli.num_vgpr, 71
	.set _ZN12_GLOBAL__N_135rocblas_gemm_batched_general_kernelI19rocblas_complex_numIfELi16ELi16ELi32ELi32ELi8ELi32ELi8ELi8ELi32ELc78ELc67EKPKS2_S5_KPS2_EEvlllT_PT11_llSA_llS8_PT12_llPT13_lli.num_agpr, 0
	.set _ZN12_GLOBAL__N_135rocblas_gemm_batched_general_kernelI19rocblas_complex_numIfELi16ELi16ELi32ELi32ELi8ELi32ELi8ELi8ELi32ELc78ELc67EKPKS2_S5_KPS2_EEvlllT_PT11_llSA_llS8_PT12_llPT13_lli.numbered_sgpr, 47
	.set _ZN12_GLOBAL__N_135rocblas_gemm_batched_general_kernelI19rocblas_complex_numIfELi16ELi16ELi32ELi32ELi8ELi32ELi8ELi8ELi32ELc78ELc67EKPKS2_S5_KPS2_EEvlllT_PT11_llSA_llS8_PT12_llPT13_lli.num_named_barrier, 0
	.set _ZN12_GLOBAL__N_135rocblas_gemm_batched_general_kernelI19rocblas_complex_numIfELi16ELi16ELi32ELi32ELi8ELi32ELi8ELi8ELi32ELc78ELc67EKPKS2_S5_KPS2_EEvlllT_PT11_llSA_llS8_PT12_llPT13_lli.private_seg_size, 0
	.set _ZN12_GLOBAL__N_135rocblas_gemm_batched_general_kernelI19rocblas_complex_numIfELi16ELi16ELi32ELi32ELi8ELi32ELi8ELi8ELi32ELc78ELc67EKPKS2_S5_KPS2_EEvlllT_PT11_llSA_llS8_PT12_llPT13_lli.uses_vcc, 1
	.set _ZN12_GLOBAL__N_135rocblas_gemm_batched_general_kernelI19rocblas_complex_numIfELi16ELi16ELi32ELi32ELi8ELi32ELi8ELi8ELi32ELc78ELc67EKPKS2_S5_KPS2_EEvlllT_PT11_llSA_llS8_PT12_llPT13_lli.uses_flat_scratch, 0
	.set _ZN12_GLOBAL__N_135rocblas_gemm_batched_general_kernelI19rocblas_complex_numIfELi16ELi16ELi32ELi32ELi8ELi32ELi8ELi8ELi32ELc78ELc67EKPKS2_S5_KPS2_EEvlllT_PT11_llSA_llS8_PT12_llPT13_lli.has_dyn_sized_stack, 0
	.set _ZN12_GLOBAL__N_135rocblas_gemm_batched_general_kernelI19rocblas_complex_numIfELi16ELi16ELi32ELi32ELi8ELi32ELi8ELi8ELi32ELc78ELc67EKPKS2_S5_KPS2_EEvlllT_PT11_llSA_llS8_PT12_llPT13_lli.has_recursion, 0
	.set _ZN12_GLOBAL__N_135rocblas_gemm_batched_general_kernelI19rocblas_complex_numIfELi16ELi16ELi32ELi32ELi8ELi32ELi8ELi8ELi32ELc78ELc67EKPKS2_S5_KPS2_EEvlllT_PT11_llSA_llS8_PT12_llPT13_lli.has_indirect_call, 0
	.section	.AMDGPU.csdata,"",@progbits
; Kernel info:
; codeLenInByte = 3596
; TotalNumSgprs: 49
; NumVgprs: 71
; ScratchSize: 0
; MemoryBound: 1
; FloatMode: 240
; IeeeMode: 1
; LDSByteSize: 4096 bytes/workgroup (compile time only)
; SGPRBlocks: 0
; VGPRBlocks: 8
; NumSGPRsForWavesPerEU: 49
; NumVGPRsForWavesPerEU: 71
; Occupancy: 16
; WaveLimiterHint : 1
; COMPUTE_PGM_RSRC2:SCRATCH_EN: 0
; COMPUTE_PGM_RSRC2:USER_SGPR: 2
; COMPUTE_PGM_RSRC2:TRAP_HANDLER: 0
; COMPUTE_PGM_RSRC2:TGID_X_EN: 1
; COMPUTE_PGM_RSRC2:TGID_Y_EN: 1
; COMPUTE_PGM_RSRC2:TGID_Z_EN: 1
; COMPUTE_PGM_RSRC2:TIDIG_COMP_CNT: 1
	.section	.text._ZN12_GLOBAL__N_135rocblas_gemm_batched_general_kernelI19rocblas_complex_numIfELi16ELi16ELi32ELi32ELi8ELi32ELi8ELi8ELi32ELc84ELc67EKPKS2_S5_KPS2_EEvlllT_PT11_llSA_llS8_PT12_llPT13_lli,"axG",@progbits,_ZN12_GLOBAL__N_135rocblas_gemm_batched_general_kernelI19rocblas_complex_numIfELi16ELi16ELi32ELi32ELi8ELi32ELi8ELi8ELi32ELc84ELc67EKPKS2_S5_KPS2_EEvlllT_PT11_llSA_llS8_PT12_llPT13_lli,comdat
	.globl	_ZN12_GLOBAL__N_135rocblas_gemm_batched_general_kernelI19rocblas_complex_numIfELi16ELi16ELi32ELi32ELi8ELi32ELi8ELi8ELi32ELc84ELc67EKPKS2_S5_KPS2_EEvlllT_PT11_llSA_llS8_PT12_llPT13_lli ; -- Begin function _ZN12_GLOBAL__N_135rocblas_gemm_batched_general_kernelI19rocblas_complex_numIfELi16ELi16ELi32ELi32ELi8ELi32ELi8ELi8ELi32ELc84ELc67EKPKS2_S5_KPS2_EEvlllT_PT11_llSA_llS8_PT12_llPT13_lli
	.p2align	8
	.type	_ZN12_GLOBAL__N_135rocblas_gemm_batched_general_kernelI19rocblas_complex_numIfELi16ELi16ELi32ELi32ELi8ELi32ELi8ELi8ELi32ELc84ELc67EKPKS2_S5_KPS2_EEvlllT_PT11_llSA_llS8_PT12_llPT13_lli,@function
_ZN12_GLOBAL__N_135rocblas_gemm_batched_general_kernelI19rocblas_complex_numIfELi16ELi16ELi32ELi32ELi8ELi32ELi8ELi8ELi32ELc84ELc67EKPKS2_S5_KPS2_EEvlllT_PT11_llSA_llS8_PT12_llPT13_lli: ; @_ZN12_GLOBAL__N_135rocblas_gemm_batched_general_kernelI19rocblas_complex_numIfELi16ELi16ELi32ELi32ELi8ELi32ELi8ELi8ELi32ELc84ELc67EKPKS2_S5_KPS2_EEvlllT_PT11_llSA_llS8_PT12_llPT13_lli
; %bb.0:
	s_load_b32 s33, s[0:1], 0x88
	s_lshr_b32 s6, ttmp7, 16
	s_wait_kmcnt 0x0
	s_cmp_ge_i32 s6, s33
	s_cbranch_scc1 .LBB260_38
; %bb.1:
	v_bfe_u32 v5, v0, 10, 10
	v_and_b32_e32 v6, 0x3ff, v0
	s_clause 0x2
	s_load_b256 s[8:15], s[0:1], 0x0
	s_load_b256 s[16:23], s[0:1], 0x20
	s_load_b128 s[36:39], s[0:1], 0x78
	s_mov_b32 s2, ttmp9
	s_ashr_i32 s3, ttmp9, 31
	v_and_b32_e32 v17, 7, v0
	v_lshl_add_u32 v15, v5, 4, v6
	s_lshl_b64 s[44:45], s[2:3], 5
	s_load_b256 s[24:31], s[0:1], 0x58
	s_and_b32 s5, ttmp7, 0xffff
	s_delay_alu instid0(VALU_DEP_1)
	v_dual_mov_b32 v2, s45 :: v_dual_and_b32 v3, 31, v15
	v_lshrrev_b32_e32 v0, 3, v15
	s_clause 0x1
	s_load_b128 s[40:43], s[0:1], 0x40
	s_load_b64 s[34:35], s[0:1], 0x50
	s_lshl_b32 s0, s5, 5
	v_lshl_add_u32 v21, v5, 6, 0x800
	v_or_b32_e32 v1, s44, v3
	v_lshlrev_b32_e32 v7, 3, v3
	v_add_co_u32 v3, s1, v0, s0
	s_wait_alu 0xf1ff
	v_add_co_ci_u32_e64 v4, null, 0, 0, s1
	s_wait_kmcnt 0x0
	v_cmp_gt_i64_e32 vcc_lo, s[8:9], v[1:2]
	v_add_co_u32 v2, s0, s0, v5
	s_delay_alu instid0(VALU_DEP_3)
	v_cmp_gt_i64_e64 s4, s[10:11], v[3:4]
	v_lshlrev_b32_e32 v20, 3, v6
	s_wait_alu 0xf1ff
	v_add_co_ci_u32_e64 v3, null, 0, 0, s0
	v_mad_co_u64_u32 v[4:5], null, v2, s36, 0
	v_add_co_u32 v6, s0, s44, v6
	v_lshrrev_b32_e32 v16, 5, v15
	s_or_b32 s1, s34, s35
	s_mov_b32 s7, 0
	s_delay_alu instid0(VALU_DEP_2) | instskip(NEXT) | instid1(VALU_DEP_4)
	v_add_co_u32 v10, s2, v6, 16
	v_mad_co_u64_u32 v[12:13], null, v2, s37, v[5:6]
	v_mad_co_u64_u32 v[13:14], null, v2, s26, 0
	v_lshlrev_b32_e32 v8, 3, v17
	v_lshl_or_b32 v18, v16, 8, v7
	s_wait_alu 0xf1ff
	v_add_co_ci_u32_e64 v7, null, s45, 0, s0
	v_cmp_gt_i64_e64 s0, s[10:11], v[2:3]
	v_lshl_or_b32 v8, v0, 6, v8
	v_mov_b32_e32 v0, 0
	s_delay_alu instid0(VALU_DEP_4)
	v_add_co_ci_u32_e64 v11, null, 0, v7, s2
	s_wait_alu 0xfffe
	s_bitset0_b32 s1, 31
	v_add_nc_u32_e32 v19, 0x800, v8
	v_mad_co_u64_u32 v[8:9], null, s40, v17, 0
	s_wait_alu 0xfffe
	s_cmp_eq_u32 s1, 0
	v_cmp_gt_i64_e64 s1, s[8:9], v[6:7]
	s_cselect_b32 s44, -1, 0
	v_mov_b32_e32 v5, v12
	v_lshlrev_b64_e32 v[6:7], 3, v[6:7]
	v_mad_co_u64_u32 v[22:23], null, s41, v17, v[9:10]
	v_add_co_u32 v23, s2, v2, 16
	s_wait_alu 0xf1ff
	v_add_co_ci_u32_e64 v24, null, 0, v3, s2
	v_mov_b32_e32 v3, v14
	v_cmp_gt_i64_e64 s2, s[8:9], v[10:11]
	v_mov_b32_e32 v9, v22
	v_mad_co_u64_u32 v[10:11], null, s18, v1, 0
	s_delay_alu instid0(VALU_DEP_4) | instskip(NEXT) | instid1(VALU_DEP_3)
	v_mad_co_u64_u32 v[2:3], null, v2, s27, v[3:4]
	v_lshlrev_b64_e32 v[8:9], 3, v[8:9]
	v_mul_lo_u32 v3, s19, v1
	v_cmp_gt_i64_e64 s3, s[10:11], v[23:24]
	s_lshl_b64 s[8:9], s[36:37], 4
	s_lshl_b32 s10, s5, 8
	s_mov_b32 s11, s7
	s_lshl_b64 s[36:37], s[42:43], 3
	v_mov_b32_e32 v14, v2
	s_wait_alu 0xfffe
	s_add_nc_u64 s[10:11], s[36:37], s[10:11]
	v_and_b32_e32 v2, 0x1ff8, v15
	s_wait_alu 0xfffe
	v_add_co_u32 v1, s5, s10, v8
	s_mul_i32 s10, s18, s45
	v_cmp_gt_i64_e64 s36, s[12:13], 0
	s_wait_alu 0xfffe
	v_add3_u32 v11, v11, s10, v3
	v_add_co_ci_u32_e64 v3, null, s11, v9, s5
	v_add_co_u32 v8, s5, v1, v2
	s_delay_alu instid0(VALU_DEP_3)
	v_lshlrev_b64_e32 v[1:2], 3, v[10:11]
	s_lshl_b64 s[10:11], s[20:21], 3
	s_wait_alu 0xf1ff
	v_add_co_ci_u32_e64 v22, null, 0, v3, s5
	v_lshlrev_b32_e32 v3, 3, v16
	v_lshlrev_b64_e32 v[4:5], 3, v[4:5]
	s_wait_alu 0xfffe
	v_add_co_u32 v1, s5, v1, s10
	s_wait_alu 0xf1ff
	v_add_co_ci_u32_e64 v2, null, s11, v2, s5
	v_or_b32_e32 v23, 4, v8
	s_delay_alu instid0(VALU_DEP_3) | instskip(SKIP_1) | instid1(VALU_DEP_3)
	v_add_co_u32 v24, s5, v1, v3
	s_wait_alu 0xf1ff
	v_add_co_ci_u32_e64 v25, null, 0, v2, s5
	v_lshlrev_b64_e32 v[2:3], 3, v[13:14]
	s_lshl_b64 s[26:27], s[26:27], 4
	s_lshl_b64 s[10:11], s[40:41], 6
	s_xor_b32 s37, vcc_lo, -1
	s_xor_b32 s40, s4, -1
	s_lshl_b64 s[4:5], s[38:39], 3
	s_lshl_b64 s[18:19], s[28:29], 3
	s_wait_alu 0xfffe
	s_lshl_b64 s[20:21], s[26:27], 3
	s_branch .LBB260_4
.LBB260_2:                              ;   in Loop: Header=BB260_4 Depth=1
	s_wait_alu 0xfffe
	s_or_b32 exec_lo, exec_lo, s26
.LBB260_3:                              ;   in Loop: Header=BB260_4 Depth=1
	s_add_co_i32 s6, s6, 0x10000
	s_delay_alu instid0(SALU_CYCLE_1)
	s_cmp_lt_i32 s6, s33
	s_cbranch_scc0 .LBB260_38
.LBB260_4:                              ; =>This Loop Header: Depth=1
                                        ;     Child Loop BB260_7 Depth 2
	s_lshl_b64 s[26:27], s[6:7], 3
	v_dual_mov_b32 v32, v0 :: v_dual_mov_b32 v33, v0
	s_wait_alu 0xfffe
	s_add_nc_u64 s[28:29], s[24:25], s[26:27]
	s_add_nc_u64 s[38:39], s[30:31], s[26:27]
	s_clause 0x1
	global_load_b64 v[8:9], v0, s[28:29]
	global_load_b64 v[10:11], v0, s[38:39]
	v_dual_mov_b32 v30, v0 :: v_dual_mov_b32 v31, v0
	v_dual_mov_b32 v28, v0 :: v_dual_mov_b32 v29, v0
	;; [unrolled: 1-line block ×3, first 2 shown]
	s_and_not1_b32 vcc_lo, exec_lo, s36
	s_wait_alu 0xfffe
	s_cbranch_vccnz .LBB260_15
; %bb.5:                                ;   in Loop: Header=BB260_4 Depth=1
	s_add_nc_u64 s[28:29], s[22:23], s[26:27]
	s_add_nc_u64 s[26:27], s[16:17], s[26:27]
	s_clause 0x1
	global_load_b64 v[12:13], v0, s[28:29]
	global_load_b64 v[14:15], v0, s[26:27]
	v_dual_mov_b32 v26, 0 :: v_dual_mov_b32 v27, 0
	v_dual_mov_b32 v29, 0 :: v_dual_mov_b32 v28, 0
	;; [unrolled: 1-line block ×4, first 2 shown]
	s_mov_b64 s[26:27], 0
	s_wait_loadcnt 0x1
	v_add_co_u32 v12, vcc_lo, v12, v23
	s_wait_alu 0xfffd
	v_add_co_ci_u32_e64 v13, null, v13, v22, vcc_lo
	s_wait_loadcnt 0x0
	v_add_co_u32 v14, vcc_lo, v14, v24
	s_wait_alu 0xfffd
	v_add_co_ci_u32_e64 v15, null, v15, v25, vcc_lo
	s_branch .LBB260_7
.LBB260_6:                              ;   in Loop: Header=BB260_7 Depth=2
	s_or_b32 exec_lo, exec_lo, s28
	ds_store_b32 v19, v1 offset:4
	s_wait_dscnt 0x0
	s_barrier_signal -1
	s_barrier_wait -1
	global_inv scope:SCOPE_SE
	ds_load_b128 v[34:37], v21
	ds_load_2addr_b64 v[38:41], v20 offset1:16
	ds_load_b128 v[42:45], v21 offset:1024
	ds_load_b128 v[46:49], v21 offset:16
	;; [unrolled: 1-line block ×4, first 2 shown]
	ds_load_2addr_b64 v[58:61], v20 offset0:32 offset1:48
	ds_load_b128 v[62:65], v21 offset:1040
	s_add_nc_u64 s[26:27], s[26:27], 8
	v_add_co_u32 v12, vcc_lo, v12, s10
	s_wait_alu 0xfffe
	v_cmp_lt_i64_e64 s28, s[26:27], s[12:13]
	s_wait_alu 0xfffd
	v_add_co_ci_u32_e64 v13, null, s11, v13, vcc_lo
	v_add_co_u32 v14, vcc_lo, v14, 64
	s_wait_alu 0xfffd
	v_add_co_ci_u32_e64 v15, null, 0, v15, vcc_lo
	s_and_b32 vcc_lo, exec_lo, s28
	s_wait_dscnt 0x6
	v_dual_mul_f32 v1, v35, v39 :: v_dual_mul_f32 v68, v34, v41
	v_dual_mul_f32 v66, v34, v39 :: v_dual_mul_f32 v67, v35, v41
	s_wait_dscnt 0x5
	v_mul_f32_e32 v70, v43, v41
	s_delay_alu instid0(VALU_DEP_3) | instskip(SKIP_3) | instid1(VALU_DEP_4)
	v_fma_f32 v1, v34, v38, -v1
	v_dual_mul_f32 v41, v42, v41 :: v_dual_fmac_f32 v68, v35, v40
	v_fmac_f32_e32 v66, v35, v38
	v_fma_f32 v34, v34, v40, -v67
	v_add_f32_e32 v1, v32, v1
	v_mul_f32_e32 v69, v43, v39
	s_delay_alu instid0(VALU_DEP_4) | instskip(NEXT) | instid1(VALU_DEP_4)
	v_dual_mul_f32 v39, v42, v39 :: v_dual_add_f32 v32, v33, v66
	v_add_f32_e32 v33, v30, v34
	v_fma_f32 v30, v42, v40, -v70
	s_delay_alu instid0(VALU_DEP_4) | instskip(NEXT) | instid1(VALU_DEP_4)
	v_fma_f32 v35, v42, v38, -v69
	v_fmac_f32_e32 v39, v43, v38
	s_wait_dscnt 0x1
	v_dual_add_f32 v31, v31, v68 :: v_dual_mul_f32 v38, v37, v59
	v_dual_fmac_f32 v41, v43, v40 :: v_dual_mul_f32 v42, v37, v61
	v_add_f32_e32 v34, v28, v35
	v_add_f32_e32 v35, v29, v39
	v_dual_add_f32 v39, v27, v30 :: v_dual_mul_f32 v40, v36, v59
	ds_load_2addr_b64 v[27:30], v20 offset0:64 offset1:80
	v_fma_f32 v38, v36, v58, -v38
	v_add_f32_e32 v26, v26, v41
	v_dual_mul_f32 v41, v36, v61 :: v_dual_fmac_f32 v40, v37, v58
	v_fma_f32 v36, v36, v60, -v42
	s_delay_alu instid0(VALU_DEP_4) | instskip(SKIP_1) | instid1(VALU_DEP_4)
	v_add_f32_e32 v1, v1, v38
	v_mul_f32_e32 v38, v45, v59
	v_fmac_f32_e32 v41, v37, v60
	v_add_f32_e32 v40, v32, v40
	v_mul_f32_e32 v32, v44, v59
	v_add_f32_e32 v36, v33, v36
	v_fma_f32 v33, v44, v58, -v38
	v_mul_f32_e32 v37, v45, v61
	v_add_f32_e32 v38, v31, v41
	v_dual_mul_f32 v41, v44, v61 :: v_dual_fmac_f32 v32, v45, v58
	s_delay_alu instid0(VALU_DEP_4) | instskip(NEXT) | instid1(VALU_DEP_4)
	v_add_f32_e32 v42, v34, v33
	v_fma_f32 v31, v44, v60, -v37
	s_wait_dscnt 0x0
	v_mul_f32_e32 v33, v47, v28
	v_fmac_f32_e32 v41, v45, v60
	v_add_f32_e32 v35, v35, v32
	v_add_f32_e32 v39, v39, v31
	v_mul_f32_e32 v44, v47, v30
	v_fma_f32 v43, v46, v27, -v33
	ds_load_2addr_b64 v[31:34], v20 offset0:96 offset1:112
	v_add_f32_e32 v41, v26, v41
	v_mul_f32_e32 v26, v46, v30
	v_mul_f32_e32 v37, v46, v28
	v_add_f32_e32 v1, v1, v43
	v_fma_f32 v43, v46, v29, -v44
	s_delay_alu instid0(VALU_DEP_4) | instskip(NEXT) | instid1(VALU_DEP_4)
	v_fmac_f32_e32 v26, v47, v29
	v_fmac_f32_e32 v37, v47, v27
	s_delay_alu instid0(VALU_DEP_3) | instskip(NEXT) | instid1(VALU_DEP_2)
	v_dual_add_f32 v36, v36, v43 :: v_dual_mul_f32 v43, v63, v30
	v_dual_mul_f32 v30, v62, v30 :: v_dual_add_f32 v37, v40, v37
	v_mul_f32_e32 v40, v63, v28
	v_mul_f32_e32 v28, v62, v28
	v_add_f32_e32 v44, v38, v26
	v_fma_f32 v26, v62, v29, -v43
	s_delay_alu instid0(VALU_DEP_4) | instskip(SKIP_2) | instid1(VALU_DEP_3)
	v_fma_f32 v40, v62, v27, -v40
	s_wait_dscnt 0x0
	v_dual_fmac_f32 v28, v63, v27 :: v_dual_mul_f32 v43, v49, v34
	v_add_f32_e32 v39, v39, v26
	s_delay_alu instid0(VALU_DEP_3) | instskip(NEXT) | instid1(VALU_DEP_3)
	v_dual_mul_f32 v47, v65, v34 :: v_dual_add_f32 v40, v42, v40
	v_add_f32_e32 v42, v35, v28
	v_mul_f32_e32 v35, v49, v32
	v_fma_f32 v43, v48, v33, -v43
	s_delay_alu instid0(VALU_DEP_2)
	v_fma_f32 v35, v48, v31, -v35
	v_fmac_f32_e32 v30, v63, v29
	ds_load_2addr_b64 v[26:29], v20 offset0:128 offset1:144
	v_add_f32_e32 v43, v36, v43
	v_dual_add_f32 v1, v1, v35 :: v_dual_mul_f32 v38, v48, v32
	v_add_f32_e32 v41, v41, v30
	v_dual_mul_f32 v30, v48, v34 :: v_dual_mul_f32 v35, v65, v32
	v_mul_f32_e32 v32, v64, v32
	v_mul_f32_e32 v34, v64, v34
	s_delay_alu instid0(VALU_DEP_3) | instskip(NEXT) | instid1(VALU_DEP_4)
	v_fmac_f32_e32 v30, v49, v33
	v_fma_f32 v46, v64, v31, -v35
	s_delay_alu instid0(VALU_DEP_4) | instskip(SKIP_1) | instid1(VALU_DEP_4)
	v_fmac_f32_e32 v32, v65, v31
	v_fmac_f32_e32 v38, v49, v31
	v_add_f32_e32 v44, v44, v30
	v_fma_f32 v30, v64, v33, -v47
	s_wait_dscnt 0x0
	v_mul_f32_e32 v49, v50, v27
	v_dual_mul_f32 v31, v51, v27 :: v_dual_mul_f32 v58, v50, v29
	s_delay_alu instid0(VALU_DEP_2)
	v_fmac_f32_e32 v49, v51, v26
	v_add_f32_e32 v47, v42, v32
	v_add_f32_e32 v45, v37, v38
	ds_load_b128 v[35:38], v21 offset:1056
	v_fmac_f32_e32 v34, v65, v33
	v_add_f32_e32 v48, v39, v30
	v_fma_f32 v39, v50, v26, -v31
	v_add_f32_e32 v46, v40, v46
	ds_load_2addr_b64 v[30:33], v20 offset0:160 offset1:176
	v_mul_f32_e32 v40, v51, v29
	v_add_f32_e32 v34, v41, v34
	v_add_f32_e32 v1, v1, v39
	;; [unrolled: 1-line block ×3, first 2 shown]
	s_delay_alu instid0(VALU_DEP_4)
	v_fma_f32 v50, v50, v28, -v40
	ds_load_b128 v[39:42], v21 offset:1072
	v_add_f32_e32 v43, v43, v50
	s_wait_dscnt 0x2
	v_mul_f32_e32 v59, v36, v27
	v_mul_f32_e32 v27, v35, v27
	v_fmac_f32_e32 v58, v51, v28
	v_mul_f32_e32 v50, v36, v29
	v_mul_f32_e32 v51, v35, v29
	v_fma_f32 v49, v35, v26, -v59
	v_fmac_f32_e32 v27, v36, v26
	s_wait_dscnt 0x1
	v_dual_add_f32 v44, v44, v58 :: v_dual_mul_f32 v29, v53, v31
	v_fma_f32 v26, v35, v28, -v50
	v_fmac_f32_e32 v51, v36, v28
	v_mul_f32_e32 v36, v52, v31
	v_dual_add_f32 v46, v46, v49 :: v_dual_add_f32 v35, v47, v27
	v_mul_f32_e32 v49, v53, v33
	s_delay_alu instid0(VALU_DEP_3)
	v_fmac_f32_e32 v36, v53, v30
	v_dual_add_f32 v47, v48, v26 :: v_dual_add_f32 v50, v34, v51
	v_fma_f32 v48, v52, v30, -v29
	ds_load_2addr_b64 v[26:29], v20 offset0:192 offset1:208
	v_dual_mul_f32 v34, v52, v33 :: v_dual_add_f32 v45, v45, v36
	v_dual_mul_f32 v36, v38, v31 :: v_dual_add_f32 v1, v1, v48
	v_fma_f32 v48, v52, v32, -v49
	v_mul_f32_e32 v31, v37, v31
	s_delay_alu instid0(VALU_DEP_3) | instskip(NEXT) | instid1(VALU_DEP_3)
	v_fma_f32 v36, v37, v30, -v36
	v_dual_add_f32 v43, v43, v48 :: v_dual_mul_f32 v48, v38, v33
	s_delay_alu instid0(VALU_DEP_3) | instskip(NEXT) | instid1(VALU_DEP_1)
	v_dual_fmac_f32 v34, v53, v32 :: v_dual_fmac_f32 v31, v38, v30
	v_dual_mul_f32 v33, v37, v33 :: v_dual_add_f32 v30, v44, v34
	s_delay_alu instid0(VALU_DEP_3) | instskip(NEXT) | instid1(VALU_DEP_3)
	v_fma_f32 v34, v37, v32, -v48
	v_dual_add_f32 v44, v46, v36 :: v_dual_add_f32 v31, v35, v31
	s_wait_dscnt 0x0
	v_mul_f32_e32 v48, v54, v29
	v_dual_mul_f32 v46, v55, v27 :: v_dual_fmac_f32 v33, v38, v32
	v_add_f32_e32 v32, v47, v34
	ds_load_2addr_b64 v[34:37], v20 offset0:224 offset1:240
	v_dual_mul_f32 v38, v54, v27 :: v_dual_mul_f32 v47, v55, v29
	v_fma_f32 v46, v54, v26, -v46
	v_dual_fmac_f32 v48, v55, v28 :: v_dual_add_f32 v33, v50, v33
	s_delay_alu instid0(VALU_DEP_3) | instskip(NEXT) | instid1(VALU_DEP_4)
	v_fmac_f32_e32 v38, v55, v26
	v_fma_f32 v47, v54, v28, -v47
	s_delay_alu instid0(VALU_DEP_4) | instskip(SKIP_2) | instid1(VALU_DEP_3)
	v_dual_add_f32 v1, v1, v46 :: v_dual_mul_f32 v46, v40, v27
	v_mul_f32_e32 v27, v39, v27
	s_wait_loadcnt_dscnt 0x0
	v_add_f32_e32 v43, v43, v47
	v_dual_add_f32 v47, v30, v48 :: v_dual_add_f32 v38, v45, v38
	v_fma_f32 v45, v39, v26, -v46
	v_mul_f32_e32 v46, v40, v29
	v_fmac_f32_e32 v27, v40, v26
	v_mul_f32_e32 v29, v39, v29
	s_barrier_signal -1
	v_add_f32_e32 v26, v44, v45
	v_fma_f32 v30, v39, v28, -v46
	v_mul_f32_e32 v39, v57, v35
	v_mul_f32_e32 v44, v56, v35
	v_add_f32_e32 v27, v31, v27
	v_fmac_f32_e32 v29, v40, v28
	v_add_f32_e32 v40, v32, v30
	v_fma_f32 v28, v56, v34, -v39
	v_fmac_f32_e32 v44, v57, v34
	v_mul_f32_e32 v30, v57, v37
	v_mul_f32_e32 v31, v56, v37
	v_add_f32_e32 v39, v33, v29
	v_add_f32_e32 v32, v1, v28
	;; [unrolled: 1-line block ×3, first 2 shown]
	v_fma_f32 v1, v56, v36, -v30
	v_dual_mul_f32 v28, v42, v35 :: v_dual_fmac_f32 v31, v57, v36
	s_barrier_wait -1
	global_inv scope:SCOPE_SE
	v_add_f32_e32 v30, v43, v1
	v_fma_f32 v1, v41, v34, -v28
	v_mul_f32_e32 v29, v41, v35
	v_mul_f32_e32 v35, v42, v37
	;; [unrolled: 1-line block ×3, first 2 shown]
	s_delay_alu instid0(VALU_DEP_4) | instskip(NEXT) | instid1(VALU_DEP_2)
	v_dual_add_f32 v31, v47, v31 :: v_dual_add_f32 v28, v26, v1
	v_fmac_f32_e32 v37, v42, v36
	v_fmac_f32_e32 v29, v42, v34
	v_fma_f32 v34, v41, v36, -v35
	s_delay_alu instid0(VALU_DEP_3) | instskip(NEXT) | instid1(VALU_DEP_3)
	v_add_f32_e32 v26, v39, v37
	v_add_f32_e32 v29, v27, v29
	s_delay_alu instid0(VALU_DEP_3)
	v_add_f32_e32 v27, v40, v34
	s_wait_alu 0xfffe
	s_cbranch_vccz .LBB260_15
.LBB260_7:                              ;   Parent Loop BB260_4 Depth=1
                                        ; =>  This Inner Loop Header: Depth=2
	s_wait_alu 0xfffe
	v_add_co_u32 v34, s28, v16, s26
	s_wait_alu 0xf1ff
	v_add_co_ci_u32_e64 v35, null, 0, s27, s28
	s_delay_alu instid0(VALU_DEP_1)
	v_cmp_le_i64_e32 vcc_lo, s[12:13], v[34:35]
	s_or_b32 s28, s37, vcc_lo
	s_wait_alu 0xfffe
	s_and_saveexec_b32 s29, s28
	s_wait_alu 0xfffe
	s_xor_b32 s28, exec_lo, s29
; %bb.8:                                ;   in Loop: Header=BB260_7 Depth=2
	v_mov_b32_e32 v1, v0
	ds_store_b64 v18, v[0:1]
; %bb.9:                                ;   in Loop: Header=BB260_7 Depth=2
	s_wait_alu 0xfffe
	s_and_not1_saveexec_b32 s28, s28
	s_cbranch_execz .LBB260_11
; %bb.10:                               ;   in Loop: Header=BB260_7 Depth=2
	flat_load_b64 v[34:35], v[14:15]
	s_wait_loadcnt_dscnt 0x0
	ds_store_b64 v18, v[34:35]
.LBB260_11:                             ;   in Loop: Header=BB260_7 Depth=2
	s_wait_alu 0xfffe
	s_or_b32 exec_lo, exec_lo, s28
	v_add_co_u32 v34, s28, v17, s26
	s_wait_alu 0xf1ff
	v_add_co_ci_u32_e64 v35, null, 0, s27, s28
	s_delay_alu instid0(VALU_DEP_1)
	v_cmp_le_i64_e32 vcc_lo, s[12:13], v[34:35]
	s_or_b32 s28, vcc_lo, s40
	s_wait_alu 0xfffe
	s_and_saveexec_b32 s29, s28
	s_wait_alu 0xfffe
	s_xor_b32 s28, exec_lo, s29
; %bb.12:                               ;   in Loop: Header=BB260_7 Depth=2
	ds_store_b32 v19, v0
; %bb.13:                               ;   in Loop: Header=BB260_7 Depth=2
	s_wait_alu 0xfffe
	s_or_saveexec_b32 s28, s28
	v_mov_b32_e32 v1, 0
	s_wait_alu 0xfffe
	s_xor_b32 exec_lo, exec_lo, s28
	s_cbranch_execz .LBB260_6
; %bb.14:                               ;   in Loop: Header=BB260_7 Depth=2
	flat_load_b64 v[34:35], v[12:13] offset:-4
	s_wait_loadcnt_dscnt 0x0
	v_xor_b32_e32 v1, 0x80000000, v35
	ds_store_b32 v19, v34
	s_branch .LBB260_6
.LBB260_15:                             ;   in Loop: Header=BB260_4 Depth=1
	s_wait_loadcnt 0x0
	v_add_co_u32 v1, vcc_lo, v10, s4
	s_wait_alu 0xfffd
	v_add_co_ci_u32_e64 v12, null, s5, v11, vcc_lo
	s_and_not1_b32 vcc_lo, exec_lo, s44
	s_mov_b32 s26, -1
	s_wait_alu 0xfffe
	s_cbranch_vccz .LBB260_17
; %bb.16:                               ;   in Loop: Header=BB260_4 Depth=1
	s_and_not1_b32 vcc_lo, exec_lo, s26
	s_wait_alu 0xfffe
	s_cbranch_vccnz .LBB260_3
	s_branch .LBB260_28
.LBB260_17:                             ;   in Loop: Header=BB260_4 Depth=1
	s_and_saveexec_b32 s26, s0
	s_cbranch_execz .LBB260_27
; %bb.18:                               ;   in Loop: Header=BB260_4 Depth=1
	v_add_co_u32 v10, vcc_lo, v1, v4
	s_wait_alu 0xfffd
	v_add_co_ci_u32_e64 v11, null, v12, v5, vcc_lo
	s_and_saveexec_b32 s27, s1
	s_cbranch_execnz .LBB260_21
; %bb.19:                               ;   in Loop: Header=BB260_4 Depth=1
	s_wait_alu 0xfffe
	s_or_b32 exec_lo, exec_lo, s27
	s_and_saveexec_b32 s27, s2
	s_cbranch_execnz .LBB260_22
.LBB260_20:                             ;   in Loop: Header=BB260_4 Depth=1
	s_wait_alu 0xfffe
	s_or_b32 exec_lo, exec_lo, s27
	s_delay_alu instid0(SALU_CYCLE_1)
	s_and_b32 exec_lo, exec_lo, s3
	s_cbranch_execnz .LBB260_23
	s_branch .LBB260_27
.LBB260_21:                             ;   in Loop: Header=BB260_4 Depth=1
	v_mul_f32_e32 v14, s14, v33
	v_mul_f32_e32 v13, s15, v33
	v_add_co_u32 v34, vcc_lo, v10, v6
	s_wait_alu 0xfffd
	v_add_co_ci_u32_e64 v35, null, v11, v7, vcc_lo
	v_fmac_f32_e32 v14, s15, v32
	v_fma_f32 v13, v32, s14, -v13
	flat_store_b64 v[34:35], v[13:14]
	s_wait_alu 0xfffe
	s_or_b32 exec_lo, exec_lo, s27
	s_and_saveexec_b32 s27, s2
	s_cbranch_execz .LBB260_20
.LBB260_22:                             ;   in Loop: Header=BB260_4 Depth=1
	v_mul_f32_e32 v14, s14, v31
	v_mul_f32_e32 v13, s15, v31
	v_add_co_u32 v34, vcc_lo, v10, v6
	s_wait_alu 0xfffd
	v_add_co_ci_u32_e64 v35, null, v11, v7, vcc_lo
	v_fmac_f32_e32 v14, s15, v30
	v_fma_f32 v13, v30, s14, -v13
	flat_store_b64 v[34:35], v[13:14] offset:128
	s_wait_alu 0xfffe
	s_or_b32 exec_lo, exec_lo, s27
	s_delay_alu instid0(SALU_CYCLE_1)
	s_and_b32 exec_lo, exec_lo, s3
	s_cbranch_execz .LBB260_27
.LBB260_23:                             ;   in Loop: Header=BB260_4 Depth=1
	s_lshl_b64 s[28:29], s[8:9], 3
	s_wait_alu 0xfffe
	v_add_co_u32 v10, vcc_lo, v10, s28
	s_wait_alu 0xfffd
	v_add_co_ci_u32_e64 v11, null, s29, v11, vcc_lo
	s_delay_alu instid0(VALU_DEP_2) | instskip(SKIP_1) | instid1(VALU_DEP_2)
	v_add_co_u32 v10, vcc_lo, v10, v6
	s_wait_alu 0xfffd
	v_add_co_ci_u32_e64 v11, null, v11, v7, vcc_lo
	s_and_saveexec_b32 s27, s1
	s_cbranch_execz .LBB260_25
; %bb.24:                               ;   in Loop: Header=BB260_4 Depth=1
	v_mul_f32_e32 v14, s14, v29
	s_delay_alu instid0(VALU_DEP_1) | instskip(NEXT) | instid1(VALU_DEP_1)
	v_dual_mul_f32 v13, s15, v29 :: v_dual_fmac_f32 v14, s15, v28
	v_fma_f32 v13, v28, s14, -v13
	flat_store_b64 v[10:11], v[13:14]
.LBB260_25:                             ;   in Loop: Header=BB260_4 Depth=1
	s_wait_alu 0xfffe
	s_or_b32 exec_lo, exec_lo, s27
	s_delay_alu instid0(SALU_CYCLE_1)
	s_and_b32 exec_lo, exec_lo, s2
	s_cbranch_execz .LBB260_27
; %bb.26:                               ;   in Loop: Header=BB260_4 Depth=1
	v_mul_f32_e32 v14, s14, v26
	s_delay_alu instid0(VALU_DEP_1) | instskip(NEXT) | instid1(VALU_DEP_1)
	v_dual_mul_f32 v13, s15, v26 :: v_dual_fmac_f32 v14, s15, v27
	v_fma_f32 v13, v27, s14, -v13
	flat_store_b64 v[10:11], v[13:14] offset:128
.LBB260_27:                             ;   in Loop: Header=BB260_4 Depth=1
	s_wait_alu 0xfffe
	s_or_b32 exec_lo, exec_lo, s26
	s_cbranch_execnz .LBB260_3
.LBB260_28:                             ;   in Loop: Header=BB260_4 Depth=1
	s_and_saveexec_b32 s26, s0
	s_cbranch_execz .LBB260_2
; %bb.29:                               ;   in Loop: Header=BB260_4 Depth=1
	v_add_co_u32 v8, vcc_lo, v8, s18
	s_wait_alu 0xfffd
	v_add_co_ci_u32_e64 v10, null, s19, v9, vcc_lo
	s_delay_alu instid0(VALU_DEP_2) | instskip(SKIP_1) | instid1(VALU_DEP_2)
	v_add_co_u32 v9, vcc_lo, v8, v2
	s_wait_alu 0xfffd
	v_add_co_ci_u32_e64 v10, null, v10, v3, vcc_lo
	v_add_co_u32 v1, vcc_lo, v1, v4
	s_wait_alu 0xfffd
	v_add_co_ci_u32_e64 v8, null, v12, v5, vcc_lo
	s_and_saveexec_b32 s27, s1
	s_cbranch_execnz .LBB260_32
; %bb.30:                               ;   in Loop: Header=BB260_4 Depth=1
	s_wait_alu 0xfffe
	s_or_b32 exec_lo, exec_lo, s27
	s_and_saveexec_b32 s27, s2
	s_cbranch_execnz .LBB260_33
.LBB260_31:                             ;   in Loop: Header=BB260_4 Depth=1
	s_wait_alu 0xfffe
	s_or_b32 exec_lo, exec_lo, s27
	s_delay_alu instid0(SALU_CYCLE_1)
	s_and_b32 exec_lo, exec_lo, s3
	s_cbranch_execz .LBB260_2
	s_branch .LBB260_34
.LBB260_32:                             ;   in Loop: Header=BB260_4 Depth=1
	v_add_co_u32 v11, vcc_lo, v9, v6
	s_wait_alu 0xfffd
	v_add_co_ci_u32_e64 v12, null, v10, v7, vcc_lo
	flat_load_b64 v[11:12], v[11:12]
	v_mul_f32_e32 v13, s15, v33
	s_wait_loadcnt_dscnt 0x0
	v_dual_mul_f32 v14, s14, v33 :: v_dual_mul_f32 v15, s35, v12
	v_mul_f32_e32 v12, s34, v12
	s_delay_alu instid0(VALU_DEP_3) | instskip(NEXT) | instid1(VALU_DEP_3)
	v_fma_f32 v13, v32, s14, -v13
	v_fma_f32 v15, v11, s34, -v15
	s_delay_alu instid0(VALU_DEP_4) | instskip(NEXT) | instid1(VALU_DEP_4)
	v_fmac_f32_e32 v14, s15, v32
	v_fmac_f32_e32 v12, s35, v11
	s_delay_alu instid0(VALU_DEP_3) | instskip(SKIP_1) | instid1(VALU_DEP_3)
	v_add_f32_e32 v11, v13, v15
	v_add_co_u32 v13, vcc_lo, v1, v6
	v_add_f32_e32 v12, v14, v12
	s_wait_alu 0xfffd
	v_add_co_ci_u32_e64 v14, null, v8, v7, vcc_lo
	flat_store_b64 v[13:14], v[11:12]
	s_wait_alu 0xfffe
	s_or_b32 exec_lo, exec_lo, s27
	s_and_saveexec_b32 s27, s2
	s_cbranch_execz .LBB260_31
.LBB260_33:                             ;   in Loop: Header=BB260_4 Depth=1
	v_add_co_u32 v11, vcc_lo, v9, v6
	s_wait_alu 0xfffd
	v_add_co_ci_u32_e64 v12, null, v10, v7, vcc_lo
	flat_load_b64 v[11:12], v[11:12] offset:128
	v_mul_f32_e32 v13, s15, v31
	s_wait_loadcnt_dscnt 0x0
	v_dual_mul_f32 v14, s14, v31 :: v_dual_mul_f32 v15, s35, v12
	v_mul_f32_e32 v12, s34, v12
	s_delay_alu instid0(VALU_DEP_3) | instskip(NEXT) | instid1(VALU_DEP_3)
	v_fma_f32 v13, v30, s14, -v13
	v_fma_f32 v15, v11, s34, -v15
	s_delay_alu instid0(VALU_DEP_4) | instskip(NEXT) | instid1(VALU_DEP_4)
	v_fmac_f32_e32 v14, s15, v30
	v_fmac_f32_e32 v12, s35, v11
	s_delay_alu instid0(VALU_DEP_3) | instskip(SKIP_1) | instid1(VALU_DEP_3)
	v_add_f32_e32 v11, v13, v15
	v_add_co_u32 v13, vcc_lo, v1, v6
	v_add_f32_e32 v12, v14, v12
	s_wait_alu 0xfffd
	v_add_co_ci_u32_e64 v14, null, v8, v7, vcc_lo
	flat_store_b64 v[13:14], v[11:12] offset:128
	s_wait_alu 0xfffe
	s_or_b32 exec_lo, exec_lo, s27
	s_delay_alu instid0(SALU_CYCLE_1)
	s_and_b32 exec_lo, exec_lo, s3
	s_cbranch_execz .LBB260_2
.LBB260_34:                             ;   in Loop: Header=BB260_4 Depth=1
	v_add_co_u32 v9, vcc_lo, v9, s20
	s_lshl_b64 s[28:29], s[8:9], 3
	s_wait_alu 0xfffd
	v_add_co_ci_u32_e64 v11, null, s21, v10, vcc_lo
	s_wait_alu 0xfffe
	v_add_co_u32 v1, vcc_lo, v1, s28
	s_wait_alu 0xfffd
	v_add_co_ci_u32_e64 v12, null, s29, v8, vcc_lo
	v_add_co_u32 v10, vcc_lo, v9, v6
	s_wait_alu 0xfffd
	v_add_co_ci_u32_e64 v11, null, v11, v7, vcc_lo
	;; [unrolled: 3-line block ×3, first 2 shown]
	s_and_saveexec_b32 s27, s1
	s_cbranch_execz .LBB260_36
; %bb.35:                               ;   in Loop: Header=BB260_4 Depth=1
	flat_load_b64 v[12:13], v[10:11]
	s_wait_loadcnt_dscnt 0x0
	v_mul_f32_e32 v15, s35, v13
	s_delay_alu instid0(VALU_DEP_1) | instskip(SKIP_1) | instid1(VALU_DEP_1)
	v_fma_f32 v15, v12, s34, -v15
	v_mul_f32_e32 v13, s34, v13
	v_dual_mul_f32 v14, s14, v29 :: v_dual_fmac_f32 v13, s35, v12
	s_delay_alu instid0(VALU_DEP_1) | instskip(NEXT) | instid1(VALU_DEP_1)
	v_dual_mul_f32 v1, s15, v29 :: v_dual_fmac_f32 v14, s15, v28
	v_fma_f32 v1, v28, s14, -v1
	s_delay_alu instid0(VALU_DEP_1)
	v_dual_add_f32 v13, v14, v13 :: v_dual_add_f32 v12, v1, v15
	flat_store_b64 v[8:9], v[12:13]
.LBB260_36:                             ;   in Loop: Header=BB260_4 Depth=1
	s_wait_alu 0xfffe
	s_or_b32 exec_lo, exec_lo, s27
	s_delay_alu instid0(SALU_CYCLE_1)
	s_and_b32 exec_lo, exec_lo, s2
	s_cbranch_execz .LBB260_2
; %bb.37:                               ;   in Loop: Header=BB260_4 Depth=1
	flat_load_b64 v[10:11], v[10:11] offset:128
	s_wait_loadcnt_dscnt 0x0
	v_dual_mul_f32 v12, s14, v26 :: v_dual_mul_f32 v13, s35, v11
	s_delay_alu instid0(VALU_DEP_1) | instskip(NEXT) | instid1(VALU_DEP_2)
	v_dual_mul_f32 v1, s15, v26 :: v_dual_fmac_f32 v12, s15, v27
	v_fma_f32 v13, v10, s34, -v13
	s_delay_alu instid0(VALU_DEP_2) | instskip(SKIP_1) | instid1(VALU_DEP_1)
	v_fma_f32 v1, v27, s14, -v1
	v_mul_f32_e32 v11, s34, v11
	v_dual_fmac_f32 v11, s35, v10 :: v_dual_add_f32 v10, v1, v13
	s_delay_alu instid0(VALU_DEP_1)
	v_add_f32_e32 v11, v12, v11
	flat_store_b64 v[8:9], v[10:11] offset:128
	s_branch .LBB260_2
.LBB260_38:
	s_endpgm
	.section	.rodata,"a",@progbits
	.p2align	6, 0x0
	.amdhsa_kernel _ZN12_GLOBAL__N_135rocblas_gemm_batched_general_kernelI19rocblas_complex_numIfELi16ELi16ELi32ELi32ELi8ELi32ELi8ELi8ELi32ELc84ELc67EKPKS2_S5_KPS2_EEvlllT_PT11_llSA_llS8_PT12_llPT13_lli
		.amdhsa_group_segment_fixed_size 4096
		.amdhsa_private_segment_fixed_size 0
		.amdhsa_kernarg_size 140
		.amdhsa_user_sgpr_count 2
		.amdhsa_user_sgpr_dispatch_ptr 0
		.amdhsa_user_sgpr_queue_ptr 0
		.amdhsa_user_sgpr_kernarg_segment_ptr 1
		.amdhsa_user_sgpr_dispatch_id 0
		.amdhsa_user_sgpr_private_segment_size 0
		.amdhsa_wavefront_size32 1
		.amdhsa_uses_dynamic_stack 0
		.amdhsa_enable_private_segment 0
		.amdhsa_system_sgpr_workgroup_id_x 1
		.amdhsa_system_sgpr_workgroup_id_y 1
		.amdhsa_system_sgpr_workgroup_id_z 1
		.amdhsa_system_sgpr_workgroup_info 0
		.amdhsa_system_vgpr_workitem_id 1
		.amdhsa_next_free_vgpr 71
		.amdhsa_next_free_sgpr 46
		.amdhsa_reserve_vcc 1
		.amdhsa_float_round_mode_32 0
		.amdhsa_float_round_mode_16_64 0
		.amdhsa_float_denorm_mode_32 3
		.amdhsa_float_denorm_mode_16_64 3
		.amdhsa_fp16_overflow 0
		.amdhsa_workgroup_processor_mode 1
		.amdhsa_memory_ordered 1
		.amdhsa_forward_progress 1
		.amdhsa_inst_pref_size 28
		.amdhsa_round_robin_scheduling 0
		.amdhsa_exception_fp_ieee_invalid_op 0
		.amdhsa_exception_fp_denorm_src 0
		.amdhsa_exception_fp_ieee_div_zero 0
		.amdhsa_exception_fp_ieee_overflow 0
		.amdhsa_exception_fp_ieee_underflow 0
		.amdhsa_exception_fp_ieee_inexact 0
		.amdhsa_exception_int_div_zero 0
	.end_amdhsa_kernel
	.section	.text._ZN12_GLOBAL__N_135rocblas_gemm_batched_general_kernelI19rocblas_complex_numIfELi16ELi16ELi32ELi32ELi8ELi32ELi8ELi8ELi32ELc84ELc67EKPKS2_S5_KPS2_EEvlllT_PT11_llSA_llS8_PT12_llPT13_lli,"axG",@progbits,_ZN12_GLOBAL__N_135rocblas_gemm_batched_general_kernelI19rocblas_complex_numIfELi16ELi16ELi32ELi32ELi8ELi32ELi8ELi8ELi32ELc84ELc67EKPKS2_S5_KPS2_EEvlllT_PT11_llSA_llS8_PT12_llPT13_lli,comdat
.Lfunc_end260:
	.size	_ZN12_GLOBAL__N_135rocblas_gemm_batched_general_kernelI19rocblas_complex_numIfELi16ELi16ELi32ELi32ELi8ELi32ELi8ELi8ELi32ELc84ELc67EKPKS2_S5_KPS2_EEvlllT_PT11_llSA_llS8_PT12_llPT13_lli, .Lfunc_end260-_ZN12_GLOBAL__N_135rocblas_gemm_batched_general_kernelI19rocblas_complex_numIfELi16ELi16ELi32ELi32ELi8ELi32ELi8ELi8ELi32ELc84ELc67EKPKS2_S5_KPS2_EEvlllT_PT11_llSA_llS8_PT12_llPT13_lli
                                        ; -- End function
	.set _ZN12_GLOBAL__N_135rocblas_gemm_batched_general_kernelI19rocblas_complex_numIfELi16ELi16ELi32ELi32ELi8ELi32ELi8ELi8ELi32ELc84ELc67EKPKS2_S5_KPS2_EEvlllT_PT11_llSA_llS8_PT12_llPT13_lli.num_vgpr, 71
	.set _ZN12_GLOBAL__N_135rocblas_gemm_batched_general_kernelI19rocblas_complex_numIfELi16ELi16ELi32ELi32ELi8ELi32ELi8ELi8ELi32ELc84ELc67EKPKS2_S5_KPS2_EEvlllT_PT11_llSA_llS8_PT12_llPT13_lli.num_agpr, 0
	.set _ZN12_GLOBAL__N_135rocblas_gemm_batched_general_kernelI19rocblas_complex_numIfELi16ELi16ELi32ELi32ELi8ELi32ELi8ELi8ELi32ELc84ELc67EKPKS2_S5_KPS2_EEvlllT_PT11_llSA_llS8_PT12_llPT13_lli.numbered_sgpr, 46
	.set _ZN12_GLOBAL__N_135rocblas_gemm_batched_general_kernelI19rocblas_complex_numIfELi16ELi16ELi32ELi32ELi8ELi32ELi8ELi8ELi32ELc84ELc67EKPKS2_S5_KPS2_EEvlllT_PT11_llSA_llS8_PT12_llPT13_lli.num_named_barrier, 0
	.set _ZN12_GLOBAL__N_135rocblas_gemm_batched_general_kernelI19rocblas_complex_numIfELi16ELi16ELi32ELi32ELi8ELi32ELi8ELi8ELi32ELc84ELc67EKPKS2_S5_KPS2_EEvlllT_PT11_llSA_llS8_PT12_llPT13_lli.private_seg_size, 0
	.set _ZN12_GLOBAL__N_135rocblas_gemm_batched_general_kernelI19rocblas_complex_numIfELi16ELi16ELi32ELi32ELi8ELi32ELi8ELi8ELi32ELc84ELc67EKPKS2_S5_KPS2_EEvlllT_PT11_llSA_llS8_PT12_llPT13_lli.uses_vcc, 1
	.set _ZN12_GLOBAL__N_135rocblas_gemm_batched_general_kernelI19rocblas_complex_numIfELi16ELi16ELi32ELi32ELi8ELi32ELi8ELi8ELi32ELc84ELc67EKPKS2_S5_KPS2_EEvlllT_PT11_llSA_llS8_PT12_llPT13_lli.uses_flat_scratch, 0
	.set _ZN12_GLOBAL__N_135rocblas_gemm_batched_general_kernelI19rocblas_complex_numIfELi16ELi16ELi32ELi32ELi8ELi32ELi8ELi8ELi32ELc84ELc67EKPKS2_S5_KPS2_EEvlllT_PT11_llSA_llS8_PT12_llPT13_lli.has_dyn_sized_stack, 0
	.set _ZN12_GLOBAL__N_135rocblas_gemm_batched_general_kernelI19rocblas_complex_numIfELi16ELi16ELi32ELi32ELi8ELi32ELi8ELi8ELi32ELc84ELc67EKPKS2_S5_KPS2_EEvlllT_PT11_llSA_llS8_PT12_llPT13_lli.has_recursion, 0
	.set _ZN12_GLOBAL__N_135rocblas_gemm_batched_general_kernelI19rocblas_complex_numIfELi16ELi16ELi32ELi32ELi8ELi32ELi8ELi8ELi32ELc84ELc67EKPKS2_S5_KPS2_EEvlllT_PT11_llSA_llS8_PT12_llPT13_lli.has_indirect_call, 0
	.section	.AMDGPU.csdata,"",@progbits
; Kernel info:
; codeLenInByte = 3584
; TotalNumSgprs: 48
; NumVgprs: 71
; ScratchSize: 0
; MemoryBound: 1
; FloatMode: 240
; IeeeMode: 1
; LDSByteSize: 4096 bytes/workgroup (compile time only)
; SGPRBlocks: 0
; VGPRBlocks: 8
; NumSGPRsForWavesPerEU: 48
; NumVGPRsForWavesPerEU: 71
; Occupancy: 16
; WaveLimiterHint : 1
; COMPUTE_PGM_RSRC2:SCRATCH_EN: 0
; COMPUTE_PGM_RSRC2:USER_SGPR: 2
; COMPUTE_PGM_RSRC2:TRAP_HANDLER: 0
; COMPUTE_PGM_RSRC2:TGID_X_EN: 1
; COMPUTE_PGM_RSRC2:TGID_Y_EN: 1
; COMPUTE_PGM_RSRC2:TGID_Z_EN: 1
; COMPUTE_PGM_RSRC2:TIDIG_COMP_CNT: 1
	.section	.text._ZN12_GLOBAL__N_125rocblas_gemm_scale_kernelILi32ELi32E19rocblas_complex_numIdEPKPS2_EEviiT1_T2_llli,"axG",@progbits,_ZN12_GLOBAL__N_125rocblas_gemm_scale_kernelILi32ELi32E19rocblas_complex_numIdEPKPS2_EEviiT1_T2_llli,comdat
	.globl	_ZN12_GLOBAL__N_125rocblas_gemm_scale_kernelILi32ELi32E19rocblas_complex_numIdEPKPS2_EEviiT1_T2_llli ; -- Begin function _ZN12_GLOBAL__N_125rocblas_gemm_scale_kernelILi32ELi32E19rocblas_complex_numIdEPKPS2_EEviiT1_T2_llli
	.p2align	8
	.type	_ZN12_GLOBAL__N_125rocblas_gemm_scale_kernelILi32ELi32E19rocblas_complex_numIdEPKPS2_EEviiT1_T2_llli,@function
_ZN12_GLOBAL__N_125rocblas_gemm_scale_kernelILi32ELi32E19rocblas_complex_numIdEPKPS2_EEviiT1_T2_llli: ; @_ZN12_GLOBAL__N_125rocblas_gemm_scale_kernelILi32ELi32E19rocblas_complex_numIdEPKPS2_EEviiT1_T2_llli
; %bb.0:
	s_load_b32 s12, s[0:1], 0x38
	s_lshr_b32 s2, ttmp7, 16
	s_wait_kmcnt 0x0
	s_cmp_ge_u32 s2, s12
	s_cbranch_scc1 .LBB261_7
; %bb.1:
	s_clause 0x1
	s_load_b256 s[4:11], s[0:1], 0x8
	s_load_b64 s[14:15], s[0:1], 0x28
	v_bfe_u32 v1, v0, 10, 10
	s_and_b32 s16, ttmp7, 0xffff
	s_load_b64 s[0:1], s[0:1], 0x0
	v_and_b32_e32 v0, 0x3ff, v0
	v_mov_b32_e32 v4, 0
	v_lshl_add_u32 v5, s16, 5, v1
	s_wait_kmcnt 0x0
	v_cmp_neq_f64_e64 s3, s[4:5], 0
	v_cmp_neq_f64_e64 s13, s[6:7], 0
	s_delay_alu instid0(VALU_DEP_3) | instskip(NEXT) | instid1(VALU_DEP_1)
	v_mad_co_u64_u32 v[1:2], null, s14, v5, 0
	v_mad_co_u64_u32 v[2:3], null, s15, v5, v[2:3]
	v_lshl_add_u32 v3, ttmp9, 5, v0
	s_delay_alu instid0(VALU_DEP_1)
	v_cmp_gt_u32_e32 vcc_lo, s0, v3
	v_cmp_gt_u32_e64 s0, s1, v5
	v_lshlrev_b64_e32 v[4:5], 4, v[3:4]
	v_lshlrev_b64_e32 v[6:7], 4, v[1:2]
	s_and_b32 s14, vcc_lo, s0
	s_lshl_b64 s[0:1], s[10:11], 4
	s_or_b32 s13, s3, s13
	s_mov_b32 s3, 0
	s_branch .LBB261_4
.LBB261_2:                              ;   in Loop: Header=BB261_4 Depth=1
	v_add_co_u32 v8, vcc_lo, s10, v6
	s_wait_alu 0xfffd
	v_add_co_ci_u32_e64 v9, null, s11, v7, vcc_lo
	s_delay_alu instid0(VALU_DEP_2) | instskip(SKIP_1) | instid1(VALU_DEP_2)
	v_add_co_u32 v8, vcc_lo, v8, v4
	s_wait_alu 0xfffd
	v_add_co_ci_u32_e64 v9, null, v9, v5, vcc_lo
	flat_store_b128 v[8:9], v[0:3]
.LBB261_3:                              ;   in Loop: Header=BB261_4 Depth=1
	s_wait_alu 0xfffe
	s_or_b32 exec_lo, exec_lo, s15
	s_add_co_i32 s2, s2, 0x10000
	s_delay_alu instid0(SALU_CYCLE_1)
	s_cmp_lt_u32 s2, s12
	s_cbranch_scc0 .LBB261_7
.LBB261_4:                              ; =>This Inner Loop Header: Depth=1
	s_wait_alu 0xfffe
	s_and_saveexec_b32 s15, s14
	s_cbranch_execz .LBB261_3
; %bb.5:                                ;   in Loop: Header=BB261_4 Depth=1
	s_lshl_b64 s[10:11], s[2:3], 3
	v_mov_b32_e32 v2, 0
	s_wait_alu 0xfffe
	s_add_nc_u64 s[10:11], s[8:9], s[10:11]
	v_dual_mov_b32 v3, 0 :: v_dual_mov_b32 v0, 0
	s_load_b64 s[10:11], s[10:11], 0x0
	v_mov_b32_e32 v1, 0
	s_and_not1_b32 vcc_lo, exec_lo, s13
	s_wait_kmcnt 0x0
	s_add_nc_u64 s[10:11], s[10:11], s[0:1]
	s_wait_alu 0xfffe
	s_cbranch_vccnz .LBB261_2
; %bb.6:                                ;   in Loop: Header=BB261_4 Depth=1
	v_add_co_u32 v0, vcc_lo, s10, v6
	s_wait_alu 0xfffd
	v_add_co_ci_u32_e64 v1, null, s11, v7, vcc_lo
	s_delay_alu instid0(VALU_DEP_2) | instskip(SKIP_1) | instid1(VALU_DEP_2)
	v_add_co_u32 v0, vcc_lo, v0, v4
	s_wait_alu 0xfffd
	v_add_co_ci_u32_e64 v1, null, v1, v5, vcc_lo
	flat_load_b128 v[8:11], v[0:1]
	s_wait_loadcnt_dscnt 0x0
	v_mul_f64_e32 v[0:1], s[6:7], v[10:11]
	v_mul_f64_e32 v[2:3], s[4:5], v[10:11]
	s_delay_alu instid0(VALU_DEP_2) | instskip(NEXT) | instid1(VALU_DEP_2)
	v_fma_f64 v[0:1], s[4:5], v[8:9], -v[0:1]
	v_fma_f64 v[2:3], s[6:7], v[8:9], v[2:3]
	s_branch .LBB261_2
.LBB261_7:
	s_endpgm
	.section	.rodata,"a",@progbits
	.p2align	6, 0x0
	.amdhsa_kernel _ZN12_GLOBAL__N_125rocblas_gemm_scale_kernelILi32ELi32E19rocblas_complex_numIdEPKPS2_EEviiT1_T2_llli
		.amdhsa_group_segment_fixed_size 0
		.amdhsa_private_segment_fixed_size 0
		.amdhsa_kernarg_size 60
		.amdhsa_user_sgpr_count 2
		.amdhsa_user_sgpr_dispatch_ptr 0
		.amdhsa_user_sgpr_queue_ptr 0
		.amdhsa_user_sgpr_kernarg_segment_ptr 1
		.amdhsa_user_sgpr_dispatch_id 0
		.amdhsa_user_sgpr_private_segment_size 0
		.amdhsa_wavefront_size32 1
		.amdhsa_uses_dynamic_stack 0
		.amdhsa_enable_private_segment 0
		.amdhsa_system_sgpr_workgroup_id_x 1
		.amdhsa_system_sgpr_workgroup_id_y 1
		.amdhsa_system_sgpr_workgroup_id_z 1
		.amdhsa_system_sgpr_workgroup_info 0
		.amdhsa_system_vgpr_workitem_id 1
		.amdhsa_next_free_vgpr 12
		.amdhsa_next_free_sgpr 17
		.amdhsa_reserve_vcc 1
		.amdhsa_float_round_mode_32 0
		.amdhsa_float_round_mode_16_64 0
		.amdhsa_float_denorm_mode_32 3
		.amdhsa_float_denorm_mode_16_64 3
		.amdhsa_fp16_overflow 0
		.amdhsa_workgroup_processor_mode 1
		.amdhsa_memory_ordered 1
		.amdhsa_forward_progress 1
		.amdhsa_inst_pref_size 4
		.amdhsa_round_robin_scheduling 0
		.amdhsa_exception_fp_ieee_invalid_op 0
		.amdhsa_exception_fp_denorm_src 0
		.amdhsa_exception_fp_ieee_div_zero 0
		.amdhsa_exception_fp_ieee_overflow 0
		.amdhsa_exception_fp_ieee_underflow 0
		.amdhsa_exception_fp_ieee_inexact 0
		.amdhsa_exception_int_div_zero 0
	.end_amdhsa_kernel
	.section	.text._ZN12_GLOBAL__N_125rocblas_gemm_scale_kernelILi32ELi32E19rocblas_complex_numIdEPKPS2_EEviiT1_T2_llli,"axG",@progbits,_ZN12_GLOBAL__N_125rocblas_gemm_scale_kernelILi32ELi32E19rocblas_complex_numIdEPKPS2_EEviiT1_T2_llli,comdat
.Lfunc_end261:
	.size	_ZN12_GLOBAL__N_125rocblas_gemm_scale_kernelILi32ELi32E19rocblas_complex_numIdEPKPS2_EEviiT1_T2_llli, .Lfunc_end261-_ZN12_GLOBAL__N_125rocblas_gemm_scale_kernelILi32ELi32E19rocblas_complex_numIdEPKPS2_EEviiT1_T2_llli
                                        ; -- End function
	.set _ZN12_GLOBAL__N_125rocblas_gemm_scale_kernelILi32ELi32E19rocblas_complex_numIdEPKPS2_EEviiT1_T2_llli.num_vgpr, 12
	.set _ZN12_GLOBAL__N_125rocblas_gemm_scale_kernelILi32ELi32E19rocblas_complex_numIdEPKPS2_EEviiT1_T2_llli.num_agpr, 0
	.set _ZN12_GLOBAL__N_125rocblas_gemm_scale_kernelILi32ELi32E19rocblas_complex_numIdEPKPS2_EEviiT1_T2_llli.numbered_sgpr, 17
	.set _ZN12_GLOBAL__N_125rocblas_gemm_scale_kernelILi32ELi32E19rocblas_complex_numIdEPKPS2_EEviiT1_T2_llli.num_named_barrier, 0
	.set _ZN12_GLOBAL__N_125rocblas_gemm_scale_kernelILi32ELi32E19rocblas_complex_numIdEPKPS2_EEviiT1_T2_llli.private_seg_size, 0
	.set _ZN12_GLOBAL__N_125rocblas_gemm_scale_kernelILi32ELi32E19rocblas_complex_numIdEPKPS2_EEviiT1_T2_llli.uses_vcc, 1
	.set _ZN12_GLOBAL__N_125rocblas_gemm_scale_kernelILi32ELi32E19rocblas_complex_numIdEPKPS2_EEviiT1_T2_llli.uses_flat_scratch, 0
	.set _ZN12_GLOBAL__N_125rocblas_gemm_scale_kernelILi32ELi32E19rocblas_complex_numIdEPKPS2_EEviiT1_T2_llli.has_dyn_sized_stack, 0
	.set _ZN12_GLOBAL__N_125rocblas_gemm_scale_kernelILi32ELi32E19rocblas_complex_numIdEPKPS2_EEviiT1_T2_llli.has_recursion, 0
	.set _ZN12_GLOBAL__N_125rocblas_gemm_scale_kernelILi32ELi32E19rocblas_complex_numIdEPKPS2_EEviiT1_T2_llli.has_indirect_call, 0
	.section	.AMDGPU.csdata,"",@progbits
; Kernel info:
; codeLenInByte = 428
; TotalNumSgprs: 19
; NumVgprs: 12
; ScratchSize: 0
; MemoryBound: 0
; FloatMode: 240
; IeeeMode: 1
; LDSByteSize: 0 bytes/workgroup (compile time only)
; SGPRBlocks: 0
; VGPRBlocks: 1
; NumSGPRsForWavesPerEU: 19
; NumVGPRsForWavesPerEU: 12
; Occupancy: 16
; WaveLimiterHint : 1
; COMPUTE_PGM_RSRC2:SCRATCH_EN: 0
; COMPUTE_PGM_RSRC2:USER_SGPR: 2
; COMPUTE_PGM_RSRC2:TRAP_HANDLER: 0
; COMPUTE_PGM_RSRC2:TGID_X_EN: 1
; COMPUTE_PGM_RSRC2:TGID_Y_EN: 1
; COMPUTE_PGM_RSRC2:TGID_Z_EN: 1
; COMPUTE_PGM_RSRC2:TIDIG_COMP_CNT: 1
	.section	.text._ZN12_GLOBAL__N_120gemm_ex_scale_kernelILi32ELi32E19rocblas_complex_numIdEPKPKS2_PKPS2_EEviiT1_T2_lllT3_llli,"axG",@progbits,_ZN12_GLOBAL__N_120gemm_ex_scale_kernelILi32ELi32E19rocblas_complex_numIdEPKPKS2_PKPS2_EEviiT1_T2_lllT3_llli,comdat
	.globl	_ZN12_GLOBAL__N_120gemm_ex_scale_kernelILi32ELi32E19rocblas_complex_numIdEPKPKS2_PKPS2_EEviiT1_T2_lllT3_llli ; -- Begin function _ZN12_GLOBAL__N_120gemm_ex_scale_kernelILi32ELi32E19rocblas_complex_numIdEPKPKS2_PKPS2_EEviiT1_T2_lllT3_llli
	.p2align	8
	.type	_ZN12_GLOBAL__N_120gemm_ex_scale_kernelILi32ELi32E19rocblas_complex_numIdEPKPKS2_PKPS2_EEviiT1_T2_lllT3_llli,@function
_ZN12_GLOBAL__N_120gemm_ex_scale_kernelILi32ELi32E19rocblas_complex_numIdEPKPKS2_PKPS2_EEviiT1_T2_lllT3_llli: ; @_ZN12_GLOBAL__N_120gemm_ex_scale_kernelILi32ELi32E19rocblas_complex_numIdEPKPKS2_PKPS2_EEviiT1_T2_lllT3_llli
; %bb.0:
	s_load_b32 s16, s[0:1], 0x58
	s_lshr_b32 s2, ttmp7, 16
	s_wait_kmcnt 0x0
	s_cmp_ge_u32 s2, s16
	s_cbranch_scc1 .LBB262_9
; %bb.1:
	s_clause 0x2
	s_load_b256 s[4:11], s[0:1], 0x8
	s_load_b64 s[18:19], s[0:1], 0x28
	s_load_b64 s[20:21], s[0:1], 0x48
	v_bfe_u32 v1, v0, 10, 10
	s_and_b32 s12, ttmp7, 0xffff
	v_and_b32_e32 v0, 0x3ff, v0
	s_delay_alu instid0(VALU_DEP_2)
	v_lshl_add_u32 v10, s12, 5, v1
	s_clause 0x1
	s_load_b64 s[22:23], s[0:1], 0x0
	s_load_b128 s[12:15], s[0:1], 0x38
	s_wait_kmcnt 0x0
	v_cmp_neq_f64_e64 s3, s[4:5], 0
	v_cmp_neq_f64_e64 s24, s[6:7], 0
	v_mad_co_u64_u32 v[8:9], null, s20, v10, 0
	v_mad_co_u64_u32 v[1:2], null, s18, v10, 0
	v_cmp_gt_u32_e64 s0, s23, v10
	s_delay_alu instid0(VALU_DEP_3) | instskip(NEXT) | instid1(VALU_DEP_1)
	v_mov_b32_e32 v3, v9
	v_mad_co_u64_u32 v[4:5], null, s19, v10, v[2:3]
	s_delay_alu instid0(VALU_DEP_1) | instskip(SKIP_2) | instid1(VALU_DEP_1)
	v_dual_mov_b32 v7, 0 :: v_dual_mov_b32 v2, v4
	v_mad_co_u64_u32 v[5:6], null, s21, v10, v[3:4]
	v_lshl_add_u32 v6, ttmp9, 5, v0
	v_cmp_gt_u32_e32 vcc_lo, s22, v6
	s_delay_alu instid0(VALU_DEP_3) | instskip(SKIP_3) | instid1(VALU_DEP_3)
	v_mov_b32_e32 v9, v5
	v_lshlrev_b64_e32 v[4:5], 4, v[6:7]
	v_lshlrev_b64_e32 v[6:7], 4, v[1:2]
	s_and_b32 s17, vcc_lo, s0
	v_lshlrev_b64_e32 v[8:9], 4, v[8:9]
	s_lshl_b64 s[0:1], s[10:11], 4
	s_or_b32 s18, s3, s24
	s_mov_b32 s3, 0
	s_lshl_b64 s[10:11], s[14:15], 4
	s_branch .LBB262_4
.LBB262_2:                              ;   in Loop: Header=BB262_4 Depth=1
	s_lshl_b64 s[14:15], s[2:3], 3
	s_wait_alu 0xfffe
	s_add_nc_u64 s[14:15], s[12:13], s[14:15]
	s_load_b64 s[14:15], s[14:15], 0x0
	s_wait_kmcnt 0x0
	s_add_nc_u64 s[14:15], s[14:15], s[10:11]
	s_wait_alu 0xfffe
	v_add_co_u32 v10, vcc_lo, s14, v8
	s_wait_alu 0xfffd
	v_add_co_ci_u32_e64 v11, null, s15, v9, vcc_lo
	s_delay_alu instid0(VALU_DEP_2) | instskip(SKIP_1) | instid1(VALU_DEP_2)
	v_add_co_u32 v10, vcc_lo, v10, v4
	s_wait_alu 0xfffd
	v_add_co_ci_u32_e64 v11, null, v11, v5, vcc_lo
	flat_store_b128 v[10:11], v[0:3]
.LBB262_3:                              ;   in Loop: Header=BB262_4 Depth=1
	s_wait_alu 0xfffe
	s_or_b32 exec_lo, exec_lo, s19
	s_add_co_i32 s2, s2, 0x10000
	s_delay_alu instid0(SALU_CYCLE_1)
	s_cmp_lt_u32 s2, s16
	s_cbranch_scc0 .LBB262_9
.LBB262_4:                              ; =>This Inner Loop Header: Depth=1
	s_wait_alu 0xfffe
	s_and_not1_b32 vcc_lo, exec_lo, s18
	s_mov_b64 s[14:15], 0
	s_wait_alu 0xfffe
	s_cbranch_vccz .LBB262_6
; %bb.5:                                ;   in Loop: Header=BB262_4 Depth=1
	s_and_saveexec_b32 s19, s17
	s_cbranch_execz .LBB262_3
	s_branch .LBB262_7
.LBB262_6:                              ;   in Loop: Header=BB262_4 Depth=1
	s_lshl_b64 s[14:15], s[2:3], 3
	s_wait_alu 0xfffe
	s_add_nc_u64 s[14:15], s[8:9], s[14:15]
	s_load_b64 s[14:15], s[14:15], 0x0
	s_wait_kmcnt 0x0
	s_add_nc_u64 s[14:15], s[14:15], s[0:1]
	s_and_saveexec_b32 s19, s17
	s_cbranch_execz .LBB262_3
.LBB262_7:                              ;   in Loop: Header=BB262_4 Depth=1
	v_mov_b32_e32 v2, 0
	v_dual_mov_b32 v3, 0 :: v_dual_mov_b32 v0, 0
	v_mov_b32_e32 v1, 0
	s_and_not1_b32 vcc_lo, exec_lo, s18
	s_wait_alu 0xfffe
	s_cbranch_vccnz .LBB262_2
; %bb.8:                                ;   in Loop: Header=BB262_4 Depth=1
	v_add_co_u32 v0, vcc_lo, s14, v6
	s_wait_alu 0xfffd
	v_add_co_ci_u32_e64 v1, null, s15, v7, vcc_lo
	s_delay_alu instid0(VALU_DEP_2) | instskip(SKIP_1) | instid1(VALU_DEP_2)
	v_add_co_u32 v0, vcc_lo, v0, v4
	s_wait_alu 0xfffd
	v_add_co_ci_u32_e64 v1, null, v1, v5, vcc_lo
	flat_load_b128 v[10:13], v[0:1]
	s_wait_loadcnt_dscnt 0x0
	v_mul_f64_e32 v[0:1], s[6:7], v[12:13]
	v_mul_f64_e32 v[2:3], s[4:5], v[12:13]
	s_delay_alu instid0(VALU_DEP_2) | instskip(NEXT) | instid1(VALU_DEP_2)
	v_fma_f64 v[0:1], s[4:5], v[10:11], -v[0:1]
	v_fma_f64 v[2:3], s[6:7], v[10:11], v[2:3]
	s_branch .LBB262_2
.LBB262_9:
	s_endpgm
	.section	.rodata,"a",@progbits
	.p2align	6, 0x0
	.amdhsa_kernel _ZN12_GLOBAL__N_120gemm_ex_scale_kernelILi32ELi32E19rocblas_complex_numIdEPKPKS2_PKPS2_EEviiT1_T2_lllT3_llli
		.amdhsa_group_segment_fixed_size 0
		.amdhsa_private_segment_fixed_size 0
		.amdhsa_kernarg_size 92
		.amdhsa_user_sgpr_count 2
		.amdhsa_user_sgpr_dispatch_ptr 0
		.amdhsa_user_sgpr_queue_ptr 0
		.amdhsa_user_sgpr_kernarg_segment_ptr 1
		.amdhsa_user_sgpr_dispatch_id 0
		.amdhsa_user_sgpr_private_segment_size 0
		.amdhsa_wavefront_size32 1
		.amdhsa_uses_dynamic_stack 0
		.amdhsa_enable_private_segment 0
		.amdhsa_system_sgpr_workgroup_id_x 1
		.amdhsa_system_sgpr_workgroup_id_y 1
		.amdhsa_system_sgpr_workgroup_id_z 1
		.amdhsa_system_sgpr_workgroup_info 0
		.amdhsa_system_vgpr_workitem_id 1
		.amdhsa_next_free_vgpr 14
		.amdhsa_next_free_sgpr 25
		.amdhsa_reserve_vcc 1
		.amdhsa_float_round_mode_32 0
		.amdhsa_float_round_mode_16_64 0
		.amdhsa_float_denorm_mode_32 3
		.amdhsa_float_denorm_mode_16_64 3
		.amdhsa_fp16_overflow 0
		.amdhsa_workgroup_processor_mode 1
		.amdhsa_memory_ordered 1
		.amdhsa_forward_progress 1
		.amdhsa_inst_pref_size 5
		.amdhsa_round_robin_scheduling 0
		.amdhsa_exception_fp_ieee_invalid_op 0
		.amdhsa_exception_fp_denorm_src 0
		.amdhsa_exception_fp_ieee_div_zero 0
		.amdhsa_exception_fp_ieee_overflow 0
		.amdhsa_exception_fp_ieee_underflow 0
		.amdhsa_exception_fp_ieee_inexact 0
		.amdhsa_exception_int_div_zero 0
	.end_amdhsa_kernel
	.section	.text._ZN12_GLOBAL__N_120gemm_ex_scale_kernelILi32ELi32E19rocblas_complex_numIdEPKPKS2_PKPS2_EEviiT1_T2_lllT3_llli,"axG",@progbits,_ZN12_GLOBAL__N_120gemm_ex_scale_kernelILi32ELi32E19rocblas_complex_numIdEPKPKS2_PKPS2_EEviiT1_T2_lllT3_llli,comdat
.Lfunc_end262:
	.size	_ZN12_GLOBAL__N_120gemm_ex_scale_kernelILi32ELi32E19rocblas_complex_numIdEPKPKS2_PKPS2_EEviiT1_T2_lllT3_llli, .Lfunc_end262-_ZN12_GLOBAL__N_120gemm_ex_scale_kernelILi32ELi32E19rocblas_complex_numIdEPKPKS2_PKPS2_EEviiT1_T2_lllT3_llli
                                        ; -- End function
	.set _ZN12_GLOBAL__N_120gemm_ex_scale_kernelILi32ELi32E19rocblas_complex_numIdEPKPKS2_PKPS2_EEviiT1_T2_lllT3_llli.num_vgpr, 14
	.set _ZN12_GLOBAL__N_120gemm_ex_scale_kernelILi32ELi32E19rocblas_complex_numIdEPKPKS2_PKPS2_EEviiT1_T2_lllT3_llli.num_agpr, 0
	.set _ZN12_GLOBAL__N_120gemm_ex_scale_kernelILi32ELi32E19rocblas_complex_numIdEPKPKS2_PKPS2_EEviiT1_T2_lllT3_llli.numbered_sgpr, 25
	.set _ZN12_GLOBAL__N_120gemm_ex_scale_kernelILi32ELi32E19rocblas_complex_numIdEPKPKS2_PKPS2_EEviiT1_T2_lllT3_llli.num_named_barrier, 0
	.set _ZN12_GLOBAL__N_120gemm_ex_scale_kernelILi32ELi32E19rocblas_complex_numIdEPKPKS2_PKPS2_EEviiT1_T2_lllT3_llli.private_seg_size, 0
	.set _ZN12_GLOBAL__N_120gemm_ex_scale_kernelILi32ELi32E19rocblas_complex_numIdEPKPKS2_PKPS2_EEviiT1_T2_lllT3_llli.uses_vcc, 1
	.set _ZN12_GLOBAL__N_120gemm_ex_scale_kernelILi32ELi32E19rocblas_complex_numIdEPKPKS2_PKPS2_EEviiT1_T2_lllT3_llli.uses_flat_scratch, 0
	.set _ZN12_GLOBAL__N_120gemm_ex_scale_kernelILi32ELi32E19rocblas_complex_numIdEPKPKS2_PKPS2_EEviiT1_T2_lllT3_llli.has_dyn_sized_stack, 0
	.set _ZN12_GLOBAL__N_120gemm_ex_scale_kernelILi32ELi32E19rocblas_complex_numIdEPKPKS2_PKPS2_EEviiT1_T2_lllT3_llli.has_recursion, 0
	.set _ZN12_GLOBAL__N_120gemm_ex_scale_kernelILi32ELi32E19rocblas_complex_numIdEPKPKS2_PKPS2_EEviiT1_T2_lllT3_llli.has_indirect_call, 0
	.section	.AMDGPU.csdata,"",@progbits
; Kernel info:
; codeLenInByte = 552
; TotalNumSgprs: 27
; NumVgprs: 14
; ScratchSize: 0
; MemoryBound: 0
; FloatMode: 240
; IeeeMode: 1
; LDSByteSize: 0 bytes/workgroup (compile time only)
; SGPRBlocks: 0
; VGPRBlocks: 1
; NumSGPRsForWavesPerEU: 27
; NumVGPRsForWavesPerEU: 14
; Occupancy: 16
; WaveLimiterHint : 1
; COMPUTE_PGM_RSRC2:SCRATCH_EN: 0
; COMPUTE_PGM_RSRC2:USER_SGPR: 2
; COMPUTE_PGM_RSRC2:TRAP_HANDLER: 0
; COMPUTE_PGM_RSRC2:TGID_X_EN: 1
; COMPUTE_PGM_RSRC2:TGID_Y_EN: 1
; COMPUTE_PGM_RSRC2:TGID_Z_EN: 1
; COMPUTE_PGM_RSRC2:TIDIG_COMP_CNT: 1
	.section	.text._ZN12_GLOBAL__N_127rocblas_gemm_batched_kernelI19rocblas_complex_numIdELi16ELi16ELi64ELi64ELi4ELi64ELi4ELi4ELi64ELc78ELc78EKPKS2_S5_KPS2_EEvlllT_PT11_llSA_llS8_PT12_llPT13_lli,"axG",@progbits,_ZN12_GLOBAL__N_127rocblas_gemm_batched_kernelI19rocblas_complex_numIdELi16ELi16ELi64ELi64ELi4ELi64ELi4ELi4ELi64ELc78ELc78EKPKS2_S5_KPS2_EEvlllT_PT11_llSA_llS8_PT12_llPT13_lli,comdat
	.globl	_ZN12_GLOBAL__N_127rocblas_gemm_batched_kernelI19rocblas_complex_numIdELi16ELi16ELi64ELi64ELi4ELi64ELi4ELi4ELi64ELc78ELc78EKPKS2_S5_KPS2_EEvlllT_PT11_llSA_llS8_PT12_llPT13_lli ; -- Begin function _ZN12_GLOBAL__N_127rocblas_gemm_batched_kernelI19rocblas_complex_numIdELi16ELi16ELi64ELi64ELi4ELi64ELi4ELi4ELi64ELc78ELc78EKPKS2_S5_KPS2_EEvlllT_PT11_llSA_llS8_PT12_llPT13_lli
	.p2align	8
	.type	_ZN12_GLOBAL__N_127rocblas_gemm_batched_kernelI19rocblas_complex_numIdELi16ELi16ELi64ELi64ELi4ELi64ELi4ELi4ELi64ELc78ELc78EKPKS2_S5_KPS2_EEvlllT_PT11_llSA_llS8_PT12_llPT13_lli,@function
_ZN12_GLOBAL__N_127rocblas_gemm_batched_kernelI19rocblas_complex_numIdELi16ELi16ELi64ELi64ELi4ELi64ELi4ELi4ELi64ELc78ELc78EKPKS2_S5_KPS2_EEvlllT_PT11_llSA_llS8_PT12_llPT13_lli: ; @_ZN12_GLOBAL__N_127rocblas_gemm_batched_kernelI19rocblas_complex_numIdELi16ELi16ELi64ELi64ELi4ELi64ELi4ELi4ELi64ELc78ELc78EKPKS2_S5_KPS2_EEvlllT_PT11_llSA_llS8_PT12_llPT13_lli
; %bb.0:
	s_load_b32 s24, s[0:1], 0x98
	s_lshr_b32 s2, ttmp7, 16
	s_wait_kmcnt 0x0
	s_cmp_ge_i32 s2, s24
	s_cbranch_scc1 .LBB263_12
; %bb.1:
	s_clause 0x2
	s_load_b512 s[4:19], s[0:1], 0x50
	s_load_b512 s[36:51], s[0:1], 0x10
	s_load_b64 s[20:21], s[0:1], 0x90
	v_dual_mov_b32 v138, 0 :: v_dual_and_b32 v1, 0x3ff, v0
	v_bfe_u32 v2, v0, 10, 10
	s_lshl_b32 s3, ttmp7, 6
	s_mov_b32 s22, ttmp9
	s_and_b32 s3, s3, 0x3fffc0
	s_ashr_i32 s23, ttmp9, 31
	v_lshl_add_u32 v3, v2, 4, v1
	v_lshl_add_u32 v208, v2, 6, 0x1000
	v_add_nc_u32_e32 v2, s3, v2
	s_lshl_b64 s[0:1], s[22:23], 6
	v_lshlrev_b32_e32 v255, 4, v1
	v_lshrrev_b32_e32 v4, 2, v3
	v_and_b32_e32 v15, 63, v3
	v_lshrrev_b32_e32 v3, 6, v3
	s_delay_alu instid0(VALU_DEP_3)
	v_add_nc_u32_e32 v13, s3, v4
	s_wait_kmcnt 0x0
	v_mad_co_u64_u32 v[16:17], null, v2, s18, 0
	v_lshlrev_b32_e32 v0, 4, v0
	v_mad_co_u64_u32 v[6:7], null, s44, v3, s[0:1]
	v_add_co_u32 v18, s0, s0, v1
	s_delay_alu instid0(VALU_DEP_4) | instskip(NEXT) | instid1(VALU_DEP_4)
	v_dual_mov_b32 v1, v17 :: v_dual_lshlrev_b32 v10, 4, v15
	v_and_b32_e32 v0, 48, v0
	v_mad_co_u64_u32 v[8:9], null, s50, v13, 0
	s_delay_alu instid0(VALU_DEP_3) | instskip(SKIP_1) | instid1(VALU_DEP_4)
	v_lshl_or_b32 v139, v3, 10, v10
	v_cmp_eq_f64_e64 s25, s[6:7], 0
	v_lshl_or_b32 v11, v4, 6, v0
	v_cmp_eq_f64_e64 s26, s[8:9], 0
	s_wait_alu 0xf1ff
	v_add_co_ci_u32_e64 v19, null, s1, 0, s0
	s_lshl_b64 s[0:1], s[46:47], 4
	v_add_nc_u32_e32 v140, 0x1000, v11
	v_mad_co_u64_u32 v[10:11], null, v2, s19, v[1:2]
	v_mad_co_u64_u32 v[11:12], null, s45, v3, v[7:8]
	s_lshl_b64 s[22:23], s[18:19], 4
	s_lshl_b64 s[18:19], s[12:13], 4
	s_mov_b32 s3, 0
	s_lshl_b64 s[14:15], s[14:15], 4
	v_mad_co_u64_u32 v[12:13], null, s51, v13, v[9:10]
	v_mov_b32_e32 v17, v10
	s_wait_alu 0xfffe
	s_lshl_b64 s[18:19], s[18:19], 4
	scratch_store_b64 off, v[16:17], off offset:344 ; 8-byte Folded Spill
	v_mov_b32_e32 v9, v12
	v_mad_co_u64_u32 v[4:5], null, v2, s12, 0
	s_delay_alu instid0(VALU_DEP_2) | instskip(NEXT) | instid1(VALU_DEP_2)
	v_lshlrev_b64_e32 v[8:9], 4, v[8:9]
	v_mad_co_u64_u32 v[13:14], null, v2, s13, v[5:6]
	v_add_co_u32 v5, vcc_lo, v6, v15
	s_delay_alu instid0(VALU_DEP_1) | instskip(SKIP_4) | instid1(VALU_DEP_2)
	v_add_co_ci_u32_e64 v6, null, 0, v11, vcc_lo
	s_lshl_b64 s[12:13], s[44:45], 6
	s_and_b32 s25, s25, s26
	v_lshlrev_b64_e32 v[6:7], 4, v[5:6]
	v_mov_b32_e32 v5, v13
	v_add_co_u32 v1, vcc_lo, s0, v6
	s_clause 0x1
	scratch_store_b64 off, v[18:19], off offset:352
	scratch_store_b32 off, v1, off offset:360
	s_wait_alu 0xfffd
	v_add_co_ci_u32_e64 v1, null, s1, v7, vcc_lo
	s_lshl_b64 s[0:1], s[4:5], 4
	s_lshl_b64 s[4:5], s[20:21], 4
	;; [unrolled: 1-line block ×3, first 2 shown]
	scratch_store_b32 off, v1, off offset:364 ; 4-byte Folded Spill
	s_wait_alu 0xfffe
	v_add_co_u32 v1, vcc_lo, v8, s0
	s_wait_alu 0xfffd
	v_add_co_ci_u32_e64 v2, null, s1, v9, vcc_lo
	v_cmp_gt_i64_e64 s0, s[36:37], 0
	s_delay_alu instid0(VALU_DEP_3)
	v_add_co_u32 v0, vcc_lo, v1, v0
	scratch_store_b32 off, v0, off offset:368 ; 4-byte Folded Spill
	s_wait_alu 0xfffd
	v_add_co_ci_u32_e64 v0, null, 0, v2, vcc_lo
	s_wait_alu 0xf1ff
	v_cndmask_b32_e64 v3, 0, 1, s0
	scratch_store_b32 off, v0, off offset:372 ; 4-byte Folded Spill
	v_lshlrev_b64_e32 v[0:1], 4, v[4:5]
	v_cmp_ne_u32_e64 s0, 1, v3
	s_clause 0x2
	scratch_store_b64 off, v[0:1], off offset:376
	scratch_store_b32 off, v139, off offset:320
	scratch_store_b32 off, v140, off offset:324
	s_branch .LBB263_3
.LBB263_2:                              ;   in Loop: Header=BB263_3 Depth=1
	s_add_co_i32 s2, s2, 0x10000
	flat_store_b64 v[74:75], v[72:73] offset:8
	s_wait_alu 0xfffe
	s_cmp_lt_i32 s2, s24
	s_cbranch_scc0 .LBB263_12
.LBB263_3:                              ; =>This Loop Header: Depth=1
                                        ;     Child Loop BB263_5 Depth 2
	s_lshl_b64 s[22:23], s[2:3], 3
	s_and_b32 vcc_lo, exec_lo, s0
	s_wait_alu 0xfffe
	s_add_nc_u64 s[26:27], s[10:11], s[22:23]
	s_add_nc_u64 s[28:29], s[16:17], s[22:23]
	s_clause 0x1
	global_load_b64 v[167:168], v138, s[26:27]
	global_load_b64 v[36:37], v138, s[28:29]
	s_cbranch_vccnz .LBB263_7
; %bb.4:                                ;   in Loop: Header=BB263_3 Depth=1
	v_mov_b32_e32 v38, 0
	v_dual_mov_b32 v39, 0 :: v_dual_mov_b32 v0, 0
	v_mov_b32_e32 v1, 0
	s_wait_loadcnt 0x0
	s_clause 0x1
	scratch_store_b64 off, v[36:37], off offset:336
	scratch_store_b64 off, v[167:168], off offset:328
	v_mov_b32_e32 v153, 0
	v_mov_b32_e32 v154, 0
	;; [unrolled: 1-line block ×3, first 2 shown]
	scratch_store_b64 off, v[0:1], off      ; 8-byte Folded Spill
	v_mov_b32_e32 v0, 0
	v_mov_b32_e32 v1, 0
	;; [unrolled: 1-line block ×3, first 2 shown]
	s_add_nc_u64 s[26:27], s[42:43], s[22:23]
	s_add_nc_u64 s[22:23], s[48:49], s[22:23]
	s_clause 0x1
	global_load_b64 v[74:75], v138, s[26:27]
	global_load_b64 v[76:77], v138, s[22:23]
	scratch_store_b64 off, v[0:1], off offset:8 ; 8-byte Folded Spill
	v_mov_b32_e32 v0, 0
	v_mov_b32_e32 v1, 0
	;; [unrolled: 1-line block ×3, first 2 shown]
	v_dual_mov_b32 v253, 0 :: v_dual_mov_b32 v46, 0
	v_mov_b32_e32 v42, 0
	scratch_store_b64 off, v[0:1], off offset:16 ; 8-byte Folded Spill
	scratch_load_b32 v0, off, off offset:360 ; 4-byte Folded Reload
	v_mov_b32_e32 v26, 0
	v_mov_b32_e32 v22, 0
	;; [unrolled: 1-line block ×6, first 2 shown]
	v_dual_mov_b32 v142, 0 :: v_dual_mov_b32 v211, 0
	v_dual_mov_b32 v254, 0 :: v_dual_mov_b32 v183, 0
	;; [unrolled: 1-line block ×14, first 2 shown]
	v_mov_b32_e32 v41, 0
	v_mov_b32_e32 v25, 0
	;; [unrolled: 1-line block ×7, first 2 shown]
	v_dual_mov_b32 v3, 0 :: v_dual_mov_b32 v252, 0
	v_dual_mov_b32 v207, 0 :: v_dual_mov_b32 v188, 0
	v_mov_b32_e32 v186, 0
	s_mov_b64 s[22:23], 0
	s_wait_loadcnt 0x0
	v_add_co_u32 v213, vcc_lo, v74, v0
	scratch_load_b32 v0, off, off offset:364 ; 4-byte Folded Reload
	s_wait_loadcnt 0x0
	s_wait_alu 0xfffd
	v_add_co_ci_u32_e64 v214, null, v75, v0, vcc_lo
	scratch_load_b32 v0, off, off offset:368 ; 4-byte Folded Reload
	s_wait_loadcnt 0x0
	v_add_co_u32 v76, vcc_lo, v76, v0
	scratch_load_b32 v0, off, off offset:372 ; 4-byte Folded Reload
	s_wait_loadcnt 0x0
	s_wait_alu 0xfffd
	v_add_co_ci_u32_e64 v77, null, v77, v0, vcc_lo
	v_mov_b32_e32 v0, 0
	v_mov_b32_e32 v1, 0
.LBB263_5:                              ;   Parent Loop BB263_3 Depth=1
                                        ; =>  This Inner Loop Header: Depth=2
	scratch_store_b64 off, v[141:142], off offset:24 ; 8-byte Folded Spill
	flat_load_b128 v[78:81], v[213:214]
	flat_load_b128 v[82:85], v[76:77]
	v_dual_mov_b32 v36, v153 :: v_dual_mov_b32 v37, v154
	v_dual_mov_b32 v74, v183 :: v_dual_mov_b32 v75, v184
	s_wait_alu 0xfffe
	s_add_nc_u64 s[22:23], s[22:23], 4
	v_add_co_u32 v213, s1, v213, s12
	s_wait_alu 0xf1ff
	v_add_co_ci_u32_e64 v214, null, s13, v214, s1
	s_wait_alu 0xfffe
	v_cmp_lt_i64_e64 s1, s[22:23], s[36:37]
	v_add_co_u32 v76, vcc_lo, v76, 64
	s_wait_alu 0xfffd
	v_add_co_ci_u32_e64 v77, null, 0, v77, vcc_lo
	s_wait_loadcnt_dscnt 0x101
	ds_store_2addr_b64 v139, v[78:79], v[80:81] offset1:1
	s_wait_loadcnt_dscnt 0x1
	ds_store_2addr_b64 v140, v[82:83], v[84:85] offset1:1
	s_wait_storecnt_dscnt 0x0
	s_barrier_signal -1
	s_barrier_wait -1
	global_inv scope:SCOPE_SE
	ds_load_b128 v[92:95], v208
	ds_load_b128 v[128:131], v255
	ds_load_b128 v[132:135], v255 offset:256
	ds_load_b128 v[156:159], v208 offset:16
	s_and_b32 vcc_lo, exec_lo, s1
	s_wait_dscnt 0x2
	v_mul_f64_e32 v[78:79], v[94:95], v[130:131]
	v_mul_f64_e32 v[80:81], v[92:93], v[130:131]
	s_wait_dscnt 0x1
	v_mul_f64_e32 v[82:83], v[94:95], v[134:135]
	v_mul_f64_e32 v[84:85], v[92:93], v[134:135]
	s_delay_alu instid0(VALU_DEP_4)
	v_fma_f64 v[28:29], v[92:93], v[128:129], -v[78:79]
	scratch_store_b64 off, v[28:29], off offset:32 ; 8-byte Folded Spill
	v_fma_f64 v[28:29], v[94:95], v[128:129], v[80:81]
	scratch_store_b64 off, v[28:29], off offset:40 ; 8-byte Folded Spill
	v_fma_f64 v[28:29], v[92:93], v[132:133], -v[82:83]
	scratch_store_b64 off, v[28:29], off offset:48 ; 8-byte Folded Spill
	v_fma_f64 v[28:29], v[94:95], v[132:133], v[84:85]
	scratch_store_b64 off, v[28:29], off offset:56 ; 8-byte Folded Spill
	ds_load_b128 v[136:139], v255 offset:512
	ds_load_b128 v[140:143], v255 offset:768
	s_wait_dscnt 0x1
	v_mul_f64_e32 v[86:87], v[94:95], v[138:139]
	v_mul_f64_e32 v[88:89], v[92:93], v[138:139]
	s_wait_dscnt 0x0
	v_mul_f64_e32 v[90:91], v[94:95], v[142:143]
	s_delay_alu instid0(VALU_DEP_3)
	v_fma_f64 v[28:29], v[92:93], v[136:137], -v[86:87]
	scratch_store_b64 off, v[28:29], off offset:64 ; 8-byte Folded Spill
	v_fma_f64 v[28:29], v[94:95], v[136:137], v[88:89]
	scratch_store_b64 off, v[28:29], off offset:72 ; 8-byte Folded Spill
	v_fma_f64 v[28:29], v[92:93], v[140:141], -v[90:91]
	v_mul_f64_e32 v[92:93], v[92:93], v[142:143]
	scratch_store_b64 off, v[28:29], off offset:80 ; 8-byte Folded Spill
	v_fma_f64 v[28:29], v[94:95], v[140:141], v[92:93]
	scratch_store_b64 off, v[28:29], off offset:88 ; 8-byte Folded Spill
	ds_load_b128 v[108:111], v208 offset:1024
	ds_load_b128 v[172:175], v208 offset:1040
	;; [unrolled: 1-line block ×3, first 2 shown]
	s_wait_dscnt 0x2
	v_mul_f64_e32 v[94:95], v[110:111], v[130:131]
	v_mul_f64_e32 v[96:97], v[108:109], v[130:131]
	;; [unrolled: 1-line block ×7, first 2 shown]
	v_fma_f64 v[28:29], v[108:109], v[128:129], -v[94:95]
	scratch_store_b64 off, v[28:29], off offset:96 ; 8-byte Folded Spill
	v_fma_f64 v[28:29], v[110:111], v[128:129], v[96:97]
	scratch_store_b64 off, v[28:29], off offset:104 ; 8-byte Folded Spill
	v_fma_f64 v[28:29], v[108:109], v[132:133], -v[98:99]
	scratch_store_b64 off, v[28:29], off offset:112 ; 8-byte Folded Spill
	v_fma_f64 v[28:29], v[110:111], v[132:133], v[100:101]
	scratch_store_b64 off, v[28:29], off offset:120 ; 8-byte Folded Spill
	v_fma_f64 v[28:29], v[108:109], v[136:137], -v[102:103]
	scratch_store_b64 off, v[28:29], off offset:128 ; 8-byte Folded Spill
	v_fma_f64 v[28:29], v[110:111], v[136:137], v[104:105]
	scratch_store_b64 off, v[28:29], off offset:136 ; 8-byte Folded Spill
	v_fma_f64 v[28:29], v[108:109], v[140:141], -v[106:107]
	v_mul_f64_e32 v[108:109], v[108:109], v[142:143]
	scratch_store_b64 off, v[28:29], off offset:144 ; 8-byte Folded Spill
	v_fma_f64 v[28:29], v[110:111], v[140:141], v[108:109]
	scratch_store_b64 off, v[28:29], off offset:152 ; 8-byte Folded Spill
	v_dual_mov_b32 v28, v187 :: v_dual_mov_b32 v29, v188
	ds_load_b128 v[188:191], v208 offset:2064
	s_wait_dscnt 0x1
	v_mul_f64_e32 v[110:111], v[126:127], v[130:131]
	v_mul_f64_e32 v[112:113], v[124:125], v[130:131]
	;; [unrolled: 1-line block ×7, first 2 shown]
	v_fma_f64 v[32:33], v[124:125], v[128:129], -v[110:111]
	scratch_store_b64 off, v[32:33], off offset:160 ; 8-byte Folded Spill
	v_fma_f64 v[32:33], v[126:127], v[128:129], v[112:113]
	scratch_store_b64 off, v[32:33], off offset:168 ; 8-byte Folded Spill
	v_fma_f64 v[32:33], v[124:125], v[132:133], -v[114:115]
	scratch_store_b64 off, v[32:33], off offset:176 ; 8-byte Folded Spill
	v_fma_f64 v[32:33], v[126:127], v[132:133], v[116:117]
	scratch_store_b64 off, v[32:33], off offset:184 ; 8-byte Folded Spill
	;; [unrolled: 4-line block ×3, first 2 shown]
	v_fma_f64 v[32:33], v[124:125], v[140:141], -v[122:123]
	v_mul_f64_e32 v[124:125], v[124:125], v[142:143]
	scratch_store_b64 off, v[32:33], off offset:208 ; 8-byte Folded Spill
	v_fma_f64 v[32:33], v[126:127], v[140:141], v[124:125]
	scratch_store_b64 off, v[32:33], off offset:216 ; 8-byte Folded Spill
	ds_load_b128 v[144:147], v208 offset:3072
	ds_load_b128 v[215:218], v208 offset:3088
	s_wait_dscnt 0x1
	v_mul_f64_e32 v[126:127], v[146:147], v[130:131]
	v_mul_f64_e32 v[130:131], v[144:145], v[130:131]
	s_delay_alu instid0(VALU_DEP_2)
	v_fma_f64 v[32:33], v[144:145], v[128:129], -v[126:127]
	scratch_store_b64 off, v[32:33], off offset:224 ; 8-byte Folded Spill
	v_fma_f64 v[32:33], v[146:147], v[128:129], v[130:131]
	v_mul_f64_e32 v[130:131], v[146:147], v[134:135]
	v_mul_f64_e32 v[134:135], v[144:145], v[134:135]
	scratch_store_b64 off, v[32:33], off offset:232 ; 8-byte Folded Spill
	v_fma_f64 v[32:33], v[144:145], v[132:133], -v[130:131]
	scratch_store_b64 off, v[32:33], off offset:240 ; 8-byte Folded Spill
	v_fma_f64 v[32:33], v[146:147], v[132:133], v[134:135]
	v_mul_f64_e32 v[134:135], v[146:147], v[138:139]
	v_mul_f64_e32 v[138:139], v[144:145], v[138:139]
	scratch_store_b64 off, v[32:33], off offset:248 ; 8-byte Folded Spill
	;; [unrolled: 6-line block ×3, first 2 shown]
	v_fma_f64 v[32:33], v[144:145], v[140:141], -v[138:139]
	scratch_store_b64 off, v[32:33], off offset:272 ; 8-byte Folded Spill
	v_fma_f64 v[32:33], v[146:147], v[140:141], v[142:143]
	scratch_store_b64 off, v[32:33], off offset:280 ; 8-byte Folded Spill
	ds_load_b128 v[192:195], v255 offset:1024
	ds_load_b128 v[196:199], v255 offset:1280
	s_wait_dscnt 0x1
	v_mul_f64_e32 v[142:143], v[158:159], v[194:195]
	v_mul_f64_e32 v[144:145], v[156:157], v[194:195]
	s_wait_dscnt 0x0
	v_mul_f64_e32 v[146:147], v[158:159], v[198:199]
	v_mul_f64_e32 v[148:149], v[156:157], v[198:199]
	;; [unrolled: 1-line block ×8, first 2 shown]
	v_fma_f64 v[32:33], v[156:157], v[192:193], -v[142:143]
	v_fma_f64 v[162:163], v[172:173], v[196:197], -v[162:163]
	v_fma_f64 v[160:161], v[174:175], v[192:193], v[160:161]
	v_fma_f64 v[164:165], v[174:175], v[196:197], v[164:165]
	v_fma_f64 v[178:179], v[188:189], v[196:197], -v[178:179]
	v_fma_f64 v[176:177], v[190:191], v[192:193], v[176:177]
	v_fma_f64 v[180:181], v[190:191], v[196:197], v[180:181]
	scratch_store_b64 off, v[32:33], off offset:288 ; 8-byte Folded Spill
	v_fma_f64 v[32:33], v[158:159], v[192:193], v[144:145]
	scratch_store_b64 off, v[32:33], off offset:296 ; 8-byte Folded Spill
	v_fma_f64 v[32:33], v[156:157], v[196:197], -v[146:147]
	scratch_store_b64 off, v[32:33], off offset:304 ; 8-byte Folded Spill
	v_fma_f64 v[32:33], v[158:159], v[196:197], v[148:149]
	scratch_store_b64 off, v[32:33], off offset:312 ; 8-byte Folded Spill
	ds_load_b128 v[200:203], v255 offset:1536
	ds_load_b128 v[219:222], v255 offset:1792
	v_dual_mov_b32 v32, v185 :: v_dual_mov_b32 v33, v186
	s_wait_dscnt 0x1
	v_mul_f64_e32 v[150:151], v[158:159], v[202:203]
	s_wait_dscnt 0x0
	v_mul_f64_e32 v[154:155], v[158:159], v[221:222]
	v_mul_f64_e32 v[152:153], v[156:157], v[202:203]
	v_mul_f64_e32 v[166:167], v[174:175], v[202:203]
	v_mul_f64_e32 v[170:171], v[174:175], v[221:222]
	v_mul_f64_e32 v[168:169], v[172:173], v[202:203]
	v_mul_f64_e32 v[182:183], v[190:191], v[202:203]
	v_mul_f64_e32 v[186:187], v[190:191], v[221:222]
	v_mul_f64_e32 v[184:185], v[188:189], v[202:203]
	v_mul_f64_e32 v[204:205], v[215:216], v[221:222]
	v_fma_f64 v[150:151], v[156:157], v[200:201], -v[150:151]
	v_fma_f64 v[154:155], v[156:157], v[219:220], -v[154:155]
	v_mul_f64_e32 v[156:157], v[156:157], v[221:222]
	v_fma_f64 v[152:153], v[158:159], v[200:201], v[152:153]
	v_fma_f64 v[166:167], v[172:173], v[200:201], -v[166:167]
	v_fma_f64 v[170:171], v[172:173], v[219:220], -v[170:171]
	v_fma_f64 v[168:169], v[174:175], v[200:201], v[168:169]
	v_fma_f64 v[182:183], v[188:189], v[200:201], -v[182:183]
	v_fma_f64 v[186:187], v[188:189], v[219:220], -v[186:187]
	v_fma_f64 v[184:185], v[190:191], v[200:201], v[184:185]
	v_fma_f64 v[204:205], v[217:218], v[219:220], v[204:205]
	;; [unrolled: 1-line block ×3, first 2 shown]
	v_mul_f64_e32 v[158:159], v[174:175], v[194:195]
	s_delay_alu instid0(VALU_DEP_1) | instskip(SKIP_1) | instid1(VALU_DEP_1)
	v_fma_f64 v[158:159], v[172:173], v[192:193], -v[158:159]
	v_mul_f64_e32 v[172:173], v[172:173], v[221:222]
	v_fma_f64 v[172:173], v[174:175], v[219:220], v[172:173]
	v_mul_f64_e32 v[174:175], v[190:191], v[194:195]
	s_delay_alu instid0(VALU_DEP_1) | instskip(SKIP_1) | instid1(VALU_DEP_1)
	v_fma_f64 v[174:175], v[188:189], v[192:193], -v[174:175]
	v_mul_f64_e32 v[188:189], v[188:189], v[221:222]
	v_fma_f64 v[188:189], v[190:191], v[219:220], v[188:189]
	v_mul_f64_e32 v[190:191], v[217:218], v[194:195]
	v_mul_f64_e32 v[194:195], v[215:216], v[194:195]
	s_delay_alu instid0(VALU_DEP_2) | instskip(NEXT) | instid1(VALU_DEP_2)
	v_fma_f64 v[190:191], v[215:216], v[192:193], -v[190:191]
	v_fma_f64 v[192:193], v[217:218], v[192:193], v[194:195]
	v_mul_f64_e32 v[194:195], v[217:218], v[198:199]
	v_mul_f64_e32 v[198:199], v[215:216], v[198:199]
	s_delay_alu instid0(VALU_DEP_2) | instskip(NEXT) | instid1(VALU_DEP_2)
	v_fma_f64 v[194:195], v[215:216], v[196:197], -v[194:195]
	;; [unrolled: 5-line block ×3, first 2 shown]
	v_fma_f64 v[200:201], v[217:218], v[200:201], v[202:203]
	v_mul_f64_e32 v[202:203], v[217:218], v[221:222]
	s_delay_alu instid0(VALU_DEP_1)
	v_fma_f64 v[202:203], v[215:216], v[219:220], -v[202:203]
	ds_load_b128 v[215:218], v208 offset:32
	ds_load_b128 v[219:222], v255 offset:2048
	;; [unrolled: 1-line block ×4, first 2 shown]
	s_wait_dscnt 0x2
	v_mul_f64_e32 v[231:232], v[217:218], v[221:222]
	s_delay_alu instid0(VALU_DEP_1) | instskip(SKIP_1) | instid1(VALU_DEP_1)
	v_fma_f64 v[146:147], v[215:216], v[219:220], -v[231:232]
	v_mul_f64_e32 v[231:232], v[215:216], v[221:222]
	v_fma_f64 v[144:145], v[217:218], v[219:220], v[231:232]
	s_wait_dscnt 0x1
	v_mul_f64_e32 v[231:232], v[217:218], v[225:226]
	s_delay_alu instid0(VALU_DEP_1) | instskip(SKIP_1) | instid1(VALU_DEP_1)
	v_fma_f64 v[142:143], v[215:216], v[223:224], -v[231:232]
	v_mul_f64_e32 v[231:232], v[215:216], v[225:226]
	v_fma_f64 v[140:141], v[217:218], v[223:224], v[231:232]
	ds_load_b128 v[231:234], v255 offset:2560
	ds_load_b128 v[235:238], v255 offset:2816
	s_wait_dscnt 0x1
	v_mul_f64_e32 v[239:240], v[217:218], v[233:234]
	s_delay_alu instid0(VALU_DEP_1) | instskip(SKIP_1) | instid1(VALU_DEP_1)
	v_fma_f64 v[138:139], v[215:216], v[231:232], -v[239:240]
	v_mul_f64_e32 v[239:240], v[215:216], v[233:234]
	v_fma_f64 v[136:137], v[217:218], v[231:232], v[239:240]
	s_wait_dscnt 0x0
	v_mul_f64_e32 v[239:240], v[217:218], v[237:238]
	s_delay_alu instid0(VALU_DEP_1) | instskip(SKIP_1) | instid1(VALU_DEP_1)
	v_fma_f64 v[134:135], v[215:216], v[235:236], -v[239:240]
	v_mul_f64_e32 v[215:216], v[215:216], v[237:238]
	v_fma_f64 v[132:133], v[217:218], v[235:236], v[215:216]
	ds_load_b128 v[215:218], v208 offset:1056
	ds_load_b128 v[239:242], v208 offset:1072
	s_wait_dscnt 0x1
	v_mul_f64_e32 v[243:244], v[217:218], v[221:222]
	s_delay_alu instid0(VALU_DEP_1) | instskip(SKIP_1) | instid1(VALU_DEP_1)
	v_fma_f64 v[130:131], v[215:216], v[219:220], -v[243:244]
	v_mul_f64_e32 v[243:244], v[215:216], v[221:222]
	v_fma_f64 v[209:210], v[217:218], v[219:220], v[243:244]
	v_mul_f64_e32 v[243:244], v[217:218], v[225:226]
	s_delay_alu instid0(VALU_DEP_1) | instskip(SKIP_1) | instid1(VALU_DEP_1)
	v_fma_f64 v[128:129], v[215:216], v[223:224], -v[243:244]
	v_mul_f64_e32 v[243:244], v[215:216], v[225:226]
	v_fma_f64 v[126:127], v[217:218], v[223:224], v[243:244]
	;; [unrolled: 5-line block ×4, first 2 shown]
	ds_load_b128 v[215:218], v208 offset:2080
	ds_load_b128 v[243:246], v208 offset:2096
	s_wait_dscnt 0x1
	v_mul_f64_e32 v[247:248], v[217:218], v[221:222]
	s_delay_alu instid0(VALU_DEP_1) | instskip(SKIP_1) | instid1(VALU_DEP_1)
	v_fma_f64 v[116:117], v[215:216], v[219:220], -v[247:248]
	v_mul_f64_e32 v[247:248], v[215:216], v[221:222]
	v_fma_f64 v[114:115], v[217:218], v[219:220], v[247:248]
	v_mul_f64_e32 v[247:248], v[217:218], v[225:226]
	s_delay_alu instid0(VALU_DEP_1) | instskip(SKIP_1) | instid1(VALU_DEP_1)
	v_fma_f64 v[112:113], v[215:216], v[223:224], -v[247:248]
	v_mul_f64_e32 v[247:248], v[215:216], v[225:226]
	v_fma_f64 v[110:111], v[217:218], v[223:224], v[247:248]
	;; [unrolled: 5-line block ×4, first 2 shown]
	ds_load_b128 v[215:218], v208 offset:3104
	ds_load_b128 v[247:250], v208 offset:3120
	s_wait_dscnt 0x1
	v_mul_f64_e32 v[34:35], v[217:218], v[221:222]
	v_mul_f64_e32 v[221:222], v[215:216], v[221:222]
	s_delay_alu instid0(VALU_DEP_2) | instskip(NEXT) | instid1(VALU_DEP_2)
	v_fma_f64 v[100:101], v[215:216], v[219:220], -v[34:35]
	v_fma_f64 v[98:99], v[217:218], v[219:220], v[221:222]
	v_mul_f64_e32 v[219:220], v[217:218], v[225:226]
	s_delay_alu instid0(VALU_DEP_1) | instskip(SKIP_1) | instid1(VALU_DEP_1)
	v_fma_f64 v[96:97], v[215:216], v[223:224], -v[219:220]
	v_mul_f64_e32 v[219:220], v[215:216], v[225:226]
	v_fma_f64 v[94:95], v[217:218], v[223:224], v[219:220]
	v_mul_f64_e32 v[219:220], v[217:218], v[233:234]
	s_delay_alu instid0(VALU_DEP_1) | instskip(SKIP_1) | instid1(VALU_DEP_1)
	v_fma_f64 v[92:93], v[215:216], v[231:232], -v[219:220]
	v_mul_f64_e32 v[219:220], v[215:216], v[233:234]
	;; [unrolled: 5-line block ×3, first 2 shown]
	v_fma_f64 v[235:236], v[217:218], v[235:236], v[215:216]
	ds_load_b128 v[215:218], v255 offset:3072
	ds_load_b128 v[219:222], v255 offset:3328
	s_wait_dscnt 0x1
	v_mul_f64_e32 v[223:224], v[229:230], v[217:218]
	s_wait_dscnt 0x0
	v_mul_f64_e32 v[64:65], v[241:242], v[221:222]
	v_mul_f64_e32 v[62:63], v[239:240], v[217:218]
	;; [unrolled: 1-line block ×6, first 2 shown]
	v_fma_f64 v[237:238], v[227:228], v[215:216], -v[223:224]
	v_mul_f64_e32 v[223:224], v[227:228], v[217:218]
	v_fma_f64 v[64:65], v[239:240], v[219:220], -v[64:65]
	v_fma_f64 v[62:63], v[241:242], v[215:216], v[62:63]
	v_fma_f64 v[66:67], v[241:242], v[219:220], v[66:67]
	v_fma_f64 v[82:83], v[243:244], v[219:220], -v[82:83]
	v_fma_f64 v[80:81], v[245:246], v[215:216], v[80:81]
	v_fma_f64 v[84:85], v[245:246], v[219:220], v[84:85]
	;; [unrolled: 1-line block ×3, first 2 shown]
	v_mul_f64_e32 v[223:224], v[229:230], v[221:222]
	s_delay_alu instid0(VALU_DEP_1) | instskip(SKIP_1) | instid1(VALU_DEP_1)
	v_fma_f64 v[52:53], v[227:228], v[219:220], -v[223:224]
	v_mul_f64_e32 v[223:224], v[227:228], v[221:222]
	v_fma_f64 v[54:55], v[229:230], v[219:220], v[223:224]
	ds_load_b128 v[223:226], v255 offset:3584
	ds_load_b128 v[231:234], v255 offset:3840
	scratch_load_b64 v[34:35], off, off offset:32 th:TH_LOAD_LU ; 8-byte Folded Reload
	s_wait_dscnt 0x1
	v_mul_f64_e32 v[56:57], v[229:230], v[225:226]
	s_wait_dscnt 0x0
	v_mul_f64_e32 v[60:61], v[229:230], v[233:234]
	v_mul_f64_e32 v[58:59], v[227:228], v[225:226]
	;; [unrolled: 1-line block ×8, first 2 shown]
	v_fma_f64 v[56:57], v[227:228], v[223:224], -v[56:57]
	v_fma_f64 v[60:61], v[227:228], v[231:232], -v[60:61]
	v_mul_f64_e32 v[227:228], v[227:228], v[233:234]
	v_fma_f64 v[58:59], v[229:230], v[223:224], v[58:59]
	v_fma_f64 v[68:69], v[239:240], v[223:224], -v[68:69]
	v_fma_f64 v[78:79], v[239:240], v[231:232], -v[78:79]
	v_fma_f64 v[70:71], v[241:242], v[223:224], v[70:71]
	v_fma_f64 v[86:87], v[243:244], v[223:224], -v[86:87]
	v_fma_f64 v[90:91], v[243:244], v[231:232], -v[90:91]
	v_fma_f64 v[88:89], v[245:246], v[223:224], v[88:89]
	v_fma_f64 v[227:228], v[229:230], v[231:232], v[227:228]
	v_mul_f64_e32 v[229:230], v[241:242], v[217:218]
	s_delay_alu instid0(VALU_DEP_1) | instskip(SKIP_1) | instid1(VALU_DEP_1)
	v_fma_f64 v[229:230], v[239:240], v[215:216], -v[229:230]
	v_mul_f64_e32 v[239:240], v[239:240], v[233:234]
	v_fma_f64 v[239:240], v[241:242], v[231:232], v[239:240]
	v_mul_f64_e32 v[241:242], v[245:246], v[217:218]
	s_delay_alu instid0(VALU_DEP_1) | instskip(SKIP_1) | instid1(VALU_DEP_1)
	v_fma_f64 v[241:242], v[243:244], v[215:216], -v[241:242]
	v_mul_f64_e32 v[243:244], v[243:244], v[233:234]
	v_fma_f64 v[243:244], v[245:246], v[231:232], v[243:244]
	v_mul_f64_e32 v[245:246], v[249:250], v[217:218]
	v_mul_f64_e32 v[217:218], v[247:248], v[217:218]
	s_delay_alu instid0(VALU_DEP_2) | instskip(NEXT) | instid1(VALU_DEP_2)
	v_fma_f64 v[245:246], v[247:248], v[215:216], -v[245:246]
	v_fma_f64 v[215:216], v[249:250], v[215:216], v[217:218]
	v_mul_f64_e32 v[217:218], v[249:250], v[221:222]
	v_mul_f64_e32 v[221:222], v[247:248], v[221:222]
	s_delay_alu instid0(VALU_DEP_2) | instskip(NEXT) | instid1(VALU_DEP_2)
	v_fma_f64 v[217:218], v[247:248], v[219:220], -v[217:218]
	;; [unrolled: 5-line block ×4, first 2 shown]
	v_fma_f64 v[231:232], v[249:250], v[231:232], v[233:234]
	s_wait_loadcnt 0x0
	v_add_f64_e32 v[233:234], v[32:33], v[34:35]
	scratch_load_b64 v[32:33], off, off offset:40 th:TH_LOAD_LU ; 8-byte Folded Reload
	s_wait_loadcnt 0x0
	v_add_f64_e32 v[247:248], v[32:33], v[28:29]
	scratch_load_b64 v[28:29], off, off offset:48 th:TH_LOAD_LU ; 8-byte Folded Reload
	;; [unrolled: 3-line block ×5, first 2 shown]
	v_add_f64_e32 v[0:1], v[0:1], v[150:151]
	s_delay_alu instid0(VALU_DEP_1) | instskip(NEXT) | instid1(VALU_DEP_1)
	v_add_f64_e32 v[0:1], v[0:1], v[138:139]
	v_add_f64_e32 v[0:1], v[0:1], v[56:57]
	s_wait_loadcnt 0x0
	v_add_f64_e32 v[2:3], v[28:29], v[2:3]
	scratch_load_b64 v[28:29], off, off offset:80 th:TH_LOAD_LU ; 8-byte Folded Reload
	v_add_f64_e32 v[2:3], v[152:153], v[2:3]
	s_delay_alu instid0(VALU_DEP_1) | instskip(NEXT) | instid1(VALU_DEP_1)
	v_add_f64_e32 v[2:3], v[136:137], v[2:3]
	v_add_f64_e32 v[2:3], v[58:59], v[2:3]
	s_wait_loadcnt 0x0
	v_add_f64_e32 v[4:5], v[4:5], v[28:29]
	scratch_load_b64 v[28:29], off, off offset:88 th:TH_LOAD_LU ; 8-byte Folded Reload
	v_add_f64_e32 v[4:5], v[4:5], v[154:155]
	s_delay_alu instid0(VALU_DEP_1) | instskip(NEXT) | instid1(VALU_DEP_1)
	v_add_f64_e32 v[4:5], v[4:5], v[134:135]
	v_add_f64_e32 v[4:5], v[4:5], v[60:61]
	s_wait_loadcnt 0x0
	v_add_f64_e32 v[6:7], v[28:29], v[6:7]
	scratch_load_b64 v[28:29], off, off offset:96 th:TH_LOAD_LU ; 8-byte Folded Reload
	v_add_f64_e32 v[6:7], v[156:157], v[6:7]
	s_delay_alu instid0(VALU_DEP_1) | instskip(NEXT) | instid1(VALU_DEP_1)
	v_add_f64_e32 v[6:7], v[132:133], v[6:7]
	v_add_f64_e32 v[6:7], v[227:228], v[6:7]
	s_wait_loadcnt 0x0
	v_add_f64_e32 v[8:9], v[8:9], v[28:29]
	scratch_load_b64 v[28:29], off, off offset:104 th:TH_LOAD_LU ; 8-byte Folded Reload
	v_add_f64_e32 v[8:9], v[8:9], v[158:159]
	s_delay_alu instid0(VALU_DEP_1) | instskip(NEXT) | instid1(VALU_DEP_1)
	v_add_f64_e32 v[8:9], v[8:9], v[130:131]
	v_add_f64_e32 v[8:9], v[8:9], v[229:230]
	s_wait_loadcnt 0x0
	v_add_f64_e32 v[10:11], v[28:29], v[10:11]
	scratch_load_b64 v[28:29], off, off offset:112 th:TH_LOAD_LU ; 8-byte Folded Reload
	v_add_f64_e32 v[10:11], v[160:161], v[10:11]
	s_delay_alu instid0(VALU_DEP_1) | instskip(NEXT) | instid1(VALU_DEP_1)
	v_add_f64_e32 v[10:11], v[209:210], v[10:11]
	v_add_f64_e32 v[10:11], v[62:63], v[10:11]
	s_wait_loadcnt 0x0
	v_add_f64_e32 v[12:13], v[12:13], v[28:29]
	scratch_load_b64 v[28:29], off, off offset:120 th:TH_LOAD_LU ; 8-byte Folded Reload
	v_add_f64_e32 v[12:13], v[12:13], v[162:163]
	s_delay_alu instid0(VALU_DEP_1) | instskip(NEXT) | instid1(VALU_DEP_1)
	v_add_f64_e32 v[12:13], v[12:13], v[128:129]
	v_add_f64_e32 v[12:13], v[12:13], v[64:65]
	s_wait_loadcnt 0x0
	v_add_f64_e32 v[14:15], v[28:29], v[14:15]
	scratch_load_b64 v[28:29], off, off offset:128 th:TH_LOAD_LU ; 8-byte Folded Reload
	v_add_f64_e32 v[14:15], v[164:165], v[14:15]
	s_delay_alu instid0(VALU_DEP_1) | instskip(NEXT) | instid1(VALU_DEP_1)
	v_add_f64_e32 v[14:15], v[126:127], v[14:15]
	v_add_f64_e32 v[14:15], v[66:67], v[14:15]
	s_wait_loadcnt 0x0
	v_add_f64_e32 v[16:17], v[16:17], v[28:29]
	scratch_load_b64 v[28:29], off, off offset:136 th:TH_LOAD_LU ; 8-byte Folded Reload
	v_add_f64_e32 v[16:17], v[16:17], v[166:167]
	s_delay_alu instid0(VALU_DEP_1) | instskip(NEXT) | instid1(VALU_DEP_1)
	v_add_f64_e32 v[16:17], v[16:17], v[124:125]
	v_add_f64_e32 v[16:17], v[16:17], v[68:69]
	s_wait_loadcnt 0x0
	v_add_f64_e32 v[18:19], v[28:29], v[18:19]
	scratch_load_b64 v[28:29], off, off offset:144 th:TH_LOAD_LU ; 8-byte Folded Reload
	v_add_f64_e32 v[18:19], v[168:169], v[18:19]
	s_delay_alu instid0(VALU_DEP_1) | instskip(NEXT) | instid1(VALU_DEP_1)
	v_add_f64_e32 v[18:19], v[122:123], v[18:19]
	v_add_f64_e32 v[18:19], v[70:71], v[18:19]
	s_wait_loadcnt 0x0
	v_add_f64_e32 v[20:21], v[20:21], v[28:29]
	scratch_load_b64 v[28:29], off, off offset:152 th:TH_LOAD_LU ; 8-byte Folded Reload
	v_add_f64_e32 v[20:21], v[20:21], v[170:171]
	s_delay_alu instid0(VALU_DEP_1) | instskip(NEXT) | instid1(VALU_DEP_1)
	v_add_f64_e32 v[20:21], v[20:21], v[120:121]
	v_add_f64_e32 v[20:21], v[20:21], v[78:79]
	s_wait_loadcnt 0x0
	v_add_f64_e32 v[22:23], v[28:29], v[22:23]
	scratch_load_b64 v[28:29], off, off offset:160 th:TH_LOAD_LU ; 8-byte Folded Reload
	v_add_f64_e32 v[22:23], v[172:173], v[22:23]
	s_delay_alu instid0(VALU_DEP_1) | instskip(NEXT) | instid1(VALU_DEP_1)
	v_add_f64_e32 v[22:23], v[118:119], v[22:23]
	v_add_f64_e32 v[22:23], v[239:240], v[22:23]
	s_wait_loadcnt 0x0
	v_add_f64_e32 v[24:25], v[24:25], v[28:29]
	scratch_load_b64 v[28:29], off, off offset:168 th:TH_LOAD_LU ; 8-byte Folded Reload
	v_add_f64_e32 v[24:25], v[24:25], v[174:175]
	s_delay_alu instid0(VALU_DEP_1) | instskip(NEXT) | instid1(VALU_DEP_1)
	v_add_f64_e32 v[24:25], v[24:25], v[116:117]
	v_add_f64_e32 v[24:25], v[24:25], v[241:242]
	s_wait_loadcnt 0x0
	v_add_f64_e32 v[26:27], v[28:29], v[26:27]
	s_clause 0x1
	scratch_load_b64 v[28:29], off, off offset:16 th:TH_LOAD_LU
	scratch_load_b64 v[32:33], off, off offset:176 th:TH_LOAD_LU
	v_add_f64_e32 v[26:27], v[176:177], v[26:27]
	s_delay_alu instid0(VALU_DEP_1) | instskip(NEXT) | instid1(VALU_DEP_1)
	v_add_f64_e32 v[26:27], v[114:115], v[26:27]
	v_add_f64_e32 v[26:27], v[80:81], v[26:27]
	s_wait_loadcnt 0x0
	v_add_f64_e32 v[28:29], v[28:29], v[32:33]
	scratch_load_b64 v[32:33], off, off offset:184 th:TH_LOAD_LU ; 8-byte Folded Reload
	v_add_f64_e32 v[28:29], v[28:29], v[178:179]
	s_delay_alu instid0(VALU_DEP_1) | instskip(NEXT) | instid1(VALU_DEP_1)
	v_add_f64_e32 v[28:29], v[28:29], v[112:113]
	v_add_f64_e32 v[28:29], v[28:29], v[82:83]
	s_wait_loadcnt 0x0
	v_add_f64_e32 v[30:31], v[32:33], v[30:31]
	s_clause 0x1
	scratch_load_b64 v[32:33], off, off offset:8 th:TH_LOAD_LU
	scratch_load_b64 v[34:35], off, off offset:192 th:TH_LOAD_LU
	v_add_f64_e32 v[30:31], v[180:181], v[30:31]
	s_delay_alu instid0(VALU_DEP_1) | instskip(NEXT) | instid1(VALU_DEP_1)
	v_add_f64_e32 v[30:31], v[110:111], v[30:31]
	v_add_f64_e32 v[30:31], v[84:85], v[30:31]
	s_wait_loadcnt 0x0
	v_add_f64_e32 v[32:33], v[32:33], v[34:35]
	scratch_load_b64 v[34:35], off, off offset:200 th:TH_LOAD_LU ; 8-byte Folded Reload
	v_add_f64_e32 v[32:33], v[32:33], v[182:183]
	s_delay_alu instid0(VALU_DEP_1) | instskip(NEXT) | instid1(VALU_DEP_1)
	v_add_f64_e32 v[32:33], v[32:33], v[108:109]
	v_add_f64_e32 v[32:33], v[32:33], v[86:87]
	s_wait_loadcnt 0x0
	v_add_f64_e32 v[34:35], v[34:35], v[36:37]
	s_clause 0x1
	scratch_load_b64 v[36:37], off, off th:TH_LOAD_LU
	scratch_load_b64 v[251:252], off, off offset:208 th:TH_LOAD_LU
	v_add_f64_e32 v[34:35], v[184:185], v[34:35]
	s_delay_alu instid0(VALU_DEP_1) | instskip(SKIP_4) | instid1(VALU_DEP_1)
	v_add_f64_e32 v[34:35], v[106:107], v[34:35]
	s_wait_loadcnt 0x0
	v_add_f64_e32 v[36:37], v[36:37], v[251:252]
	scratch_load_b64 v[251:252], off, off offset:216 th:TH_LOAD_LU ; 8-byte Folded Reload
	v_add_f64_e32 v[36:37], v[36:37], v[186:187]
	v_add_f64_e32 v[36:37], v[36:37], v[104:105]
	s_wait_loadcnt 0x0
	v_add_f64_e32 v[38:39], v[251:252], v[38:39]
	scratch_load_b64 v[251:252], off, off offset:224 th:TH_LOAD_LU ; 8-byte Folded Reload
	v_add_f64_e32 v[38:39], v[188:189], v[38:39]
	s_delay_alu instid0(VALU_DEP_1) | instskip(NEXT) | instid1(VALU_DEP_1)
	v_add_f64_e32 v[38:39], v[102:103], v[38:39]
	v_add_f64_e32 v[38:39], v[243:244], v[38:39]
	s_wait_loadcnt 0x0
	v_add_f64_e32 v[40:41], v[40:41], v[251:252]
	scratch_load_b64 v[251:252], off, off offset:232 th:TH_LOAD_LU ; 8-byte Folded Reload
	v_add_f64_e32 v[40:41], v[40:41], v[190:191]
	s_delay_alu instid0(VALU_DEP_1) | instskip(NEXT) | instid1(VALU_DEP_1)
	;; [unrolled: 7-line block ×6, first 2 shown]
	v_add_f64_e32 v[74:75], v[74:75], v[92:93]
	v_add_f64_e32 v[183:184], v[74:75], v[221:222]
	s_wait_loadcnt 0x0
	v_add_f64_e32 v[251:252], v[251:252], v[253:254]
	scratch_load_b64 v[253:254], off, off offset:272 th:TH_LOAD_LU ; 8-byte Folded Reload
	v_add_f64_e32 v[150:151], v[200:201], v[251:252]
	s_delay_alu instid0(VALU_DEP_1)
	v_add_f64_e32 v[72:73], v[72:73], v[150:151]
	s_wait_loadcnt 0x0
	v_add_f64_e32 v[253:254], v[211:212], v[253:254]
	s_clause 0x2
	scratch_load_b64 v[211:212], off, off offset:24 th:TH_LOAD_LU
	scratch_load_b64 v[148:149], off, off offset:280 th:TH_LOAD_LU
	scratch_load_b32 v139, off, off offset:320
	v_add_f64_e32 v[152:153], v[253:254], v[202:203]
	v_add_f64_e32 v[253:254], v[223:224], v[72:73]
	s_delay_alu instid0(VALU_DEP_2)
	v_add_f64_e32 v[50:51], v[152:153], v[50:51]
	s_wait_loadcnt 0x1
	v_add_f64_e32 v[211:212], v[148:149], v[211:212]
	scratch_load_b64 v[148:149], off, off offset:288 th:TH_LOAD_LU ; 8-byte Folded Reload
	v_add_f64_e32 v[154:155], v[204:205], v[211:212]
	v_add_f64_e32 v[211:212], v[50:51], v[225:226]
	s_delay_alu instid0(VALU_DEP_2)
	v_add_f64_e32 v[92:93], v[235:236], v[154:155]
	v_add_f64_e32 v[153:154], v[88:89], v[34:35]
	;; [unrolled: 1-line block ×3, first 2 shown]
	s_clause 0x2
	scratch_store_b64 off, v[28:29], off offset:16
	scratch_store_b64 off, v[32:33], off offset:8
	scratch_store_b64 off, v[34:35], off
	s_wait_loadcnt 0x0
	v_add_f64_e32 v[233:234], v[233:234], v[148:149]
	scratch_load_b64 v[148:149], off, off offset:296 th:TH_LOAD_LU ; 8-byte Folded Reload
	v_add_f64_e32 v[146:147], v[233:234], v[146:147]
	s_delay_alu instid0(VALU_DEP_1) | instskip(SKIP_4) | instid1(VALU_DEP_1)
	v_add_f64_e32 v[185:186], v[146:147], v[237:238]
	s_wait_loadcnt 0x0
	v_add_f64_e32 v[247:248], v[148:149], v[247:248]
	scratch_load_b64 v[148:149], off, off offset:304 th:TH_LOAD_LU ; 8-byte Folded Reload
	v_add_f64_e32 v[144:145], v[144:145], v[247:248]
	v_add_f64_e32 v[187:188], v[48:49], v[144:145]
	s_wait_loadcnt 0x0
	v_add_f64_e32 v[249:250], v[249:250], v[148:149]
	scratch_load_b64 v[148:149], off, off offset:312 th:TH_LOAD_LU ; 8-byte Folded Reload
	v_add_f64_e32 v[142:143], v[249:250], v[142:143]
	s_wait_loadcnt 0x0
	v_add_f64_e32 v[148:149], v[148:149], v[206:207]
	s_delay_alu instid0(VALU_DEP_2) | instskip(NEXT) | instid1(VALU_DEP_2)
	v_add_f64_e32 v[206:207], v[142:143], v[52:53]
	v_add_f64_e32 v[140:141], v[140:141], v[148:149]
	s_delay_alu instid0(VALU_DEP_1)
	v_add_f64_e32 v[251:252], v[54:55], v[140:141]
	scratch_load_b32 v140, off, off offset:324 ; 4-byte Folded Reload
	v_add_f64_e32 v[141:142], v[231:232], v[92:93]
	s_wait_loadcnt 0x0
	s_wait_storecnt 0x0
	s_barrier_signal -1
	s_barrier_wait -1
	global_inv scope:SCOPE_SE
	s_wait_alu 0xfffe
	s_cbranch_vccnz .LBB263_5
; %bb.6:                                ;   in Loop: Header=BB263_3 Depth=1
	s_clause 0x1
	scratch_load_b64 v[167:168], off, off offset:328
	scratch_load_b64 v[36:37], off, off offset:336
	v_mov_b32_e32 v138, 0
	s_branch .LBB263_8
.LBB263_7:                              ;   in Loop: Header=BB263_3 Depth=1
	v_mov_b32_e32 v28, 0
	v_dual_mov_b32 v32, 0 :: v_dual_mov_b32 v153, 0
	v_dual_mov_b32 v34, 0 :: v_dual_mov_b32 v29, 0
	;; [unrolled: 1-line block ×5, first 2 shown]
	v_mov_b32_e32 v0, 0
	v_mov_b32_e32 v4, 0
	;; [unrolled: 1-line block ×8, first 2 shown]
	v_dual_mov_b32 v44, 0 :: v_dual_mov_b32 v183, 0
	v_dual_mov_b32 v211, 0 :: v_dual_mov_b32 v186, 0
	;; [unrolled: 1-line block ×3, first 2 shown]
	v_mov_b32_e32 v251, 0
	v_dual_mov_b32 v1, 0 :: v_dual_mov_b32 v2, 0
	v_dual_mov_b32 v5, 0 :: v_dual_mov_b32 v6, 0
	;; [unrolled: 1-line block ×13, first 2 shown]
	v_mov_b32_e32 v7, 0
	v_mov_b32_e32 v11, 0
	;; [unrolled: 1-line block ×6, first 2 shown]
	s_clause 0x2
	scratch_store_b64 off, v[28:29], off offset:16
	scratch_store_b64 off, v[32:33], off offset:8
	scratch_store_b64 off, v[34:35], off
	v_mov_b32_e32 v31, 0
	v_mov_b32_e32 v39, 0
	;; [unrolled: 1-line block ×3, first 2 shown]
	v_dual_mov_b32 v47, 0 :: v_dual_mov_b32 v254, 0
	v_mov_b32_e32 v142, 0
.LBB263_8:                              ;   in Loop: Header=BB263_3 Depth=1
	s_wait_loadcnt 0x0
	v_add_co_u32 v76, vcc_lo, v36, s4
	v_dual_mov_b32 v160, v23 :: v_dual_mov_b32 v159, v22
	v_dual_mov_b32 v158, v27 :: v_dual_mov_b32 v157, v26
	;; [unrolled: 1-line block ×15, first 2 shown]
	s_wait_alu 0xfffd
	v_add_co_ci_u32_e64 v77, null, s5, v37, vcc_lo
	s_and_not1_b32 vcc_lo, exec_lo, s25
	s_mov_b32 s1, -1
                                        ; implicit-def: $vgpr72_vgpr73
                                        ; implicit-def: $vgpr74_vgpr75
	s_wait_alu 0xfffe
	s_cbranch_vccz .LBB263_10
; %bb.9:                                ;   in Loop: Header=BB263_3 Depth=1
	s_and_not1_b32 vcc_lo, exec_lo, s1
	s_wait_alu 0xfffe
	s_cbranch_vccnz .LBB263_2
	s_branch .LBB263_11
.LBB263_10:                             ;   in Loop: Header=BB263_3 Depth=1
	v_mul_f64_e32 v[0:1], s[40:41], v[187:188]
	v_dual_mov_b32 v10, v179 :: v_dual_mov_b32 v11, v180
	v_dual_mov_b32 v14, v175 :: v_dual_mov_b32 v15, v176
	;; [unrolled: 1-line block ×3, first 2 shown]
	s_delay_alu instid0(VALU_DEP_3) | instskip(SKIP_1) | instid1(VALU_DEP_4)
	v_mul_f64_e32 v[8:9], s[40:41], v[10:11]
	v_mul_f64_e32 v[10:11], s[38:39], v[10:11]
	v_mul_f64_e32 v[12:13], s[40:41], v[14:15]
	v_mul_f64_e32 v[14:15], s[38:39], v[14:15]
	v_dual_mov_b32 v75, v17 :: v_dual_mov_b32 v74, v16
	v_mul_f64_e32 v[16:17], s[40:41], v[18:19]
	v_mul_f64_e32 v[18:19], s[38:39], v[18:19]
	v_dual_mov_b32 v22, v165 :: v_dual_mov_b32 v23, v166
	v_dual_mov_b32 v73, v21 :: v_dual_mov_b32 v72, v20
	s_clause 0x1
	scratch_load_b64 v[32:33], off, off offset:344
	scratch_load_b64 v[34:35], off, off offset:352
	v_mul_f64_e32 v[20:21], s[40:41], v[22:23]
	v_mul_f64_e32 v[22:23], s[38:39], v[22:23]
	;; [unrolled: 1-line block ×5, first 2 shown]
	v_dual_mov_b32 v26, v161 :: v_dual_mov_b32 v27, v162
	v_dual_mov_b32 v42, v155 :: v_dual_mov_b32 v43, v156
	;; [unrolled: 1-line block ×3, first 2 shown]
	s_delay_alu instid0(VALU_DEP_3)
	v_mul_f64_e32 v[24:25], s[40:41], v[26:27]
	v_dual_mov_b32 v38, v157 :: v_dual_mov_b32 v39, v158
	v_dual_mov_b32 v63, v41 :: v_dual_mov_b32 v62, v40
	v_mul_f64_e32 v[40:41], s[40:41], v[42:43]
	v_fma_f64 v[78:79], s[38:39], v[185:186], -v[0:1]
	v_dual_mov_b32 v0, v177 :: v_dual_mov_b32 v1, v178
	v_dual_mov_b32 v54, v149 :: v_dual_mov_b32 v55, v150
	;; [unrolled: 1-line block ×4, first 2 shown]
	s_delay_alu instid0(VALU_DEP_4) | instskip(SKIP_4) | instid1(VALU_DEP_4)
	v_fma_f64 v[88:89], s[40:41], v[0:1], v[10:11]
	v_dual_mov_b32 v10, v173 :: v_dual_mov_b32 v11, v174
	v_mul_f64_e32 v[44:45], s[40:41], v[153:154]
	v_dual_mov_b32 v50, v151 :: v_dual_mov_b32 v51, v152
	v_dual_mov_b32 v60, v147 :: v_dual_mov_b32 v61, v148
	v_fma_f64 v[90:91], s[38:39], v[10:11], -v[12:13]
	v_fma_f64 v[92:93], s[40:41], v[10:11], v[14:15]
	v_dual_mov_b32 v10, v169 :: v_dual_mov_b32 v11, v170
	scratch_load_b64 v[12:13], off, off     ; 8-byte Folded Reload
	v_mul_f64_e32 v[26:27], s[38:39], v[26:27]
	v_mul_f64_e32 v[36:37], s[40:41], v[38:39]
	;; [unrolled: 1-line block ×3, first 2 shown]
	v_fma_f64 v[94:95], s[38:39], v[10:11], -v[16:17]
	v_fma_f64 v[96:97], s[40:41], v[10:11], v[18:19]
	v_dual_mov_b32 v10, v163 :: v_dual_mov_b32 v11, v164
	scratch_load_b64 v[18:19], off, off offset:8 ; 8-byte Folded Reload
	v_mul_f64_e32 v[46:47], s[38:39], v[153:154]
	v_mul_f64_e32 v[52:53], s[40:41], v[54:55]
	;; [unrolled: 1-line block ×3, first 2 shown]
	v_fma_f64 v[100:101], s[40:41], v[10:11], v[22:23]
	scratch_load_b64 v[22:23], off, off offset:16 ; 8-byte Folded Reload
	v_fma_f64 v[80:81], s[40:41], v[185:186], v[2:3]
	v_fma_f64 v[82:83], s[38:39], v[206:207], -v[4:5]
	v_fma_f64 v[86:87], s[38:39], v[0:1], -v[8:9]
	v_mul_f64_e32 v[2:3], s[40:41], v[253:254]
	v_mul_f64_e32 v[4:5], s[38:39], v[253:254]
	;; [unrolled: 1-line block ×9, first 2 shown]
	v_fma_f64 v[84:85], s[40:41], v[206:207], v[6:7]
	v_mul_f64_e32 v[0:1], s[38:39], v[60:61]
	v_mul_f64_e32 v[6:7], s[40:41], v[141:142]
	v_dual_mov_b32 v16, v74 :: v_dual_mov_b32 v17, v75
	v_fma_f64 v[98:99], s[38:39], v[10:11], -v[20:21]
	v_dual_mov_b32 v20, v72 :: v_dual_mov_b32 v21, v73
	s_delay_alu instid0(VALU_DEP_3) | instskip(SKIP_2) | instid1(VALU_DEP_2)
	v_fma_f64 v[102:103], s[38:39], v[16:17], -v[24:25]
	v_dual_mov_b32 v24, v70 :: v_dual_mov_b32 v25, v71
	v_fma_f64 v[104:105], s[40:41], v[16:17], v[26:27]
	v_fma_f64 v[110:111], s[38:39], v[24:25], -v[36:37]
	v_fma_f64 v[112:113], s[40:41], v[24:25], v[38:39]
	v_fma_f64 v[134:135], s[38:39], v[183:184], -v[2:3]
	v_fma_f64 v[136:137], s[40:41], v[183:184], v[4:5]
	v_fma_f64 v[72:73], s[40:41], v[211:212], v[8:9]
	v_fma_f64 v[106:107], s[38:39], v[20:21], -v[28:29]
	v_fma_f64 v[108:109], s[40:41], v[20:21], v[30:31]
	s_wait_loadcnt 0x4
	v_lshlrev_b64_e32 v[32:33], 4, v[32:33]
	s_wait_loadcnt 0x3
	v_lshlrev_b64_e32 v[34:35], 4, v[34:35]
	s_delay_alu instid0(VALU_DEP_2) | instskip(SKIP_1) | instid1(VALU_DEP_3)
	v_add_co_u32 v32, vcc_lo, v76, v32
	s_wait_alu 0xfffd
	v_add_co_ci_u32_e64 v33, null, v77, v33, vcc_lo
	s_delay_alu instid0(VALU_DEP_2) | instskip(SKIP_1) | instid1(VALU_DEP_2)
	v_add_co_u32 v10, vcc_lo, v32, v34
	s_wait_alu 0xfffd
	v_add_co_ci_u32_e64 v11, null, v33, v35, vcc_lo
	v_add_co_u32 v14, vcc_lo, v32, s20
	s_wait_alu 0xfffd
	v_add_co_ci_u32_e64 v15, null, s21, v33, vcc_lo
	s_wait_loadcnt 0x2
	v_fma_f64 v[122:123], s[38:39], v[12:13], -v[48:49]
	v_fma_f64 v[124:125], s[40:41], v[12:13], v[50:51]
	v_add_co_u32 v12, vcc_lo, v14, v34
	s_wait_alu 0xfffd
	v_add_co_ci_u32_e64 v13, null, v15, v35, vcc_lo
	v_add_co_u32 v4, vcc_lo, v14, s20
	s_wait_loadcnt 0x1
	v_fma_f64 v[118:119], s[38:39], v[18:19], -v[44:45]
	v_dual_mov_b32 v44, v58 :: v_dual_mov_b32 v45, v59
	v_fma_f64 v[120:121], s[40:41], v[18:19], v[46:47]
	s_wait_alu 0xfffd
	v_add_co_ci_u32_e64 v5, null, s21, v15, vcc_lo
	s_wait_loadcnt 0x0
	v_fma_f64 v[114:115], s[38:39], v[22:23], -v[40:41]
	v_dual_mov_b32 v40, v62 :: v_dual_mov_b32 v41, v63
	v_fma_f64 v[116:117], s[40:41], v[22:23], v[42:43]
	v_fma_f64 v[130:131], s[38:39], v[44:45], -v[56:57]
	v_fma_f64 v[132:133], s[40:41], v[44:45], v[0:1]
	v_fma_f64 v[0:1], s[38:39], v[211:212], -v[6:7]
	v_fma_f64 v[126:127], s[38:39], v[40:41], -v[52:53]
	v_fma_f64 v[128:129], s[40:41], v[40:41], v[54:55]
	v_add_co_u32 v2, vcc_lo, v4, v34
	s_wait_alu 0xfffd
	v_add_co_ci_u32_e64 v3, null, v5, v35, vcc_lo
	v_add_co_u32 v4, vcc_lo, v4, s20
	s_wait_alu 0xfffd
	v_add_co_ci_u32_e64 v5, null, s21, v5, vcc_lo
	s_clause 0x5
	flat_store_b128 v[10:11], v[78:81]
	flat_store_b128 v[10:11], v[82:85] offset:256
	flat_store_b128 v[10:11], v[86:89] offset:512
	flat_store_b128 v[10:11], v[90:93] offset:768
	flat_store_b128 v[12:13], v[94:97]
	flat_store_b128 v[12:13], v[98:101] offset:256
	v_add_co_u32 v4, vcc_lo, v4, v34
	s_wait_alu 0xfffd
	v_add_co_ci_u32_e64 v5, null, v5, v35, vcc_lo
	s_clause 0x1
	flat_store_b128 v[12:13], v[102:105] offset:512
	flat_store_b128 v[12:13], v[106:109] offset:768
	v_add_co_u32 v74, vcc_lo, 0x300, v4
	s_wait_alu 0xfffd
	v_add_co_ci_u32_e64 v75, null, 0, v5, vcc_lo
	s_clause 0x7
	flat_store_b128 v[2:3], v[110:113]
	flat_store_b128 v[2:3], v[114:117] offset:256
	flat_store_b128 v[2:3], v[118:121] offset:512
	;; [unrolled: 1-line block ×3, first 2 shown]
	flat_store_b128 v[4:5], v[126:129]
	flat_store_b128 v[4:5], v[130:133] offset:256
	flat_store_b128 v[4:5], v[134:137] offset:512
	flat_store_b64 v[4:5], v[0:1] offset:768
	s_cbranch_execnz .LBB263_2
.LBB263_11:                             ;   in Loop: Header=BB263_3 Depth=1
	s_clause 0x1
	scratch_load_b64 v[0:1], off, off offset:352
	scratch_load_b64 v[4:5], off, off offset:376
	v_add_co_u32 v2, vcc_lo, v167, s14
	s_wait_alu 0xfffd
	v_add_co_ci_u32_e64 v3, null, s15, v168, vcc_lo
	v_mul_f64_e32 v[6:7], s[38:39], v[187:188]
	v_dual_mov_b32 v19, v17 :: v_dual_mov_b32 v18, v16
	scratch_load_b64 v[22:23], off, off offset:16 th:TH_LOAD_LU ; 8-byte Folded Reload
	v_fma_f64 v[6:7], s[40:41], v[185:186], v[6:7]
	s_wait_loadcnt 0x2
	v_lshlrev_b64_e32 v[0:1], 4, v[0:1]
	s_wait_loadcnt 0x1
	v_add_co_u32 v14, vcc_lo, v2, v4
	s_wait_alu 0xfffd
	v_add_co_ci_u32_e64 v15, null, v3, v5, vcc_lo
	v_mul_f64_e32 v[4:5], s[40:41], v[187:188]
	s_delay_alu instid0(VALU_DEP_3) | instskip(SKIP_1) | instid1(VALU_DEP_3)
	v_add_co_u32 v2, vcc_lo, v14, v0
	s_wait_alu 0xfffd
	v_add_co_ci_u32_e64 v3, null, v15, v1, vcc_lo
	flat_load_b128 v[72:75], v[2:3]
	v_fma_f64 v[4:5], s[38:39], v[185:186], -v[4:5]
	s_wait_loadcnt_dscnt 0x0
	v_mul_f64_e32 v[8:9], s[8:9], v[74:75]
	v_mul_f64_e32 v[10:11], s[6:7], v[74:75]
	s_delay_alu instid0(VALU_DEP_2) | instskip(NEXT) | instid1(VALU_DEP_2)
	v_fma_f64 v[8:9], s[6:7], v[72:73], -v[8:9]
	v_fma_f64 v[10:11], s[8:9], v[72:73], v[10:11]
	s_delay_alu instid0(VALU_DEP_2) | instskip(SKIP_4) | instid1(VALU_DEP_2)
	v_add_f64_e32 v[68:69], v[4:5], v[8:9]
	scratch_load_b64 v[4:5], off, off offset:344 ; 8-byte Folded Reload
	v_add_f64_e32 v[70:71], v[6:7], v[10:11]
	v_mul_f64_e32 v[6:7], s[40:41], v[251:252]
	v_mul_f64_e32 v[8:9], s[38:39], v[251:252]
	v_fma_f64 v[6:7], s[38:39], v[206:207], -v[6:7]
	s_delay_alu instid0(VALU_DEP_2) | instskip(SKIP_2) | instid1(VALU_DEP_1)
	v_fma_f64 v[8:9], s[40:41], v[206:207], v[8:9]
	s_wait_loadcnt 0x0
	v_lshlrev_b64_e32 v[4:5], 4, v[4:5]
	v_add_co_u32 v16, vcc_lo, v76, v4
	s_wait_alu 0xfffd
	s_delay_alu instid0(VALU_DEP_2) | instskip(NEXT) | instid1(VALU_DEP_2)
	v_add_co_ci_u32_e64 v17, null, v77, v5, vcc_lo
	v_add_co_u32 v4, vcc_lo, v16, v0
	s_wait_alu 0xfffd
	s_delay_alu instid0(VALU_DEP_2)
	v_add_co_ci_u32_e64 v5, null, v17, v1, vcc_lo
	v_add_co_u32 v14, vcc_lo, v14, s18
	s_wait_alu 0xfffd
	v_add_co_ci_u32_e64 v15, null, s19, v15, vcc_lo
	flat_store_b128 v[4:5], v[68:71]
	flat_load_b128 v[68:71], v[2:3] offset:256
	s_wait_loadcnt_dscnt 0x0
	v_mul_f64_e32 v[10:11], s[8:9], v[70:71]
	v_mul_f64_e32 v[12:13], s[6:7], v[70:71]
	s_delay_alu instid0(VALU_DEP_2) | instskip(NEXT) | instid1(VALU_DEP_2)
	v_fma_f64 v[10:11], s[6:7], v[68:69], -v[10:11]
	v_fma_f64 v[12:13], s[8:9], v[68:69], v[12:13]
	s_delay_alu instid0(VALU_DEP_2) | instskip(NEXT) | instid1(VALU_DEP_2)
	v_add_f64_e32 v[64:65], v[6:7], v[10:11]
	v_add_f64_e32 v[66:67], v[8:9], v[12:13]
	v_mul_f64_e32 v[6:7], s[40:41], v[179:180]
	v_mul_f64_e32 v[8:9], s[38:39], v[179:180]
	flat_store_b128 v[4:5], v[64:67] offset:256
	flat_load_b128 v[64:67], v[2:3] offset:512
	v_fma_f64 v[6:7], s[38:39], v[177:178], -v[6:7]
	v_fma_f64 v[8:9], s[40:41], v[177:178], v[8:9]
	s_wait_loadcnt_dscnt 0x0
	v_mul_f64_e32 v[10:11], s[8:9], v[66:67]
	v_mul_f64_e32 v[12:13], s[6:7], v[66:67]
	s_delay_alu instid0(VALU_DEP_2) | instskip(NEXT) | instid1(VALU_DEP_2)
	v_fma_f64 v[10:11], s[6:7], v[64:65], -v[10:11]
	v_fma_f64 v[12:13], s[8:9], v[64:65], v[12:13]
	s_delay_alu instid0(VALU_DEP_2) | instskip(NEXT) | instid1(VALU_DEP_2)
	v_add_f64_e32 v[60:61], v[6:7], v[10:11]
	v_add_f64_e32 v[62:63], v[8:9], v[12:13]
	v_mul_f64_e32 v[6:7], s[38:39], v[175:176]
	flat_store_b128 v[4:5], v[60:63] offset:512
	flat_load_b128 v[60:63], v[2:3] offset:768
	v_mul_f64_e32 v[2:3], s[40:41], v[175:176]
	v_fma_f64 v[6:7], s[40:41], v[173:174], v[6:7]
	s_delay_alu instid0(VALU_DEP_2) | instskip(SKIP_3) | instid1(VALU_DEP_2)
	v_fma_f64 v[2:3], s[38:39], v[173:174], -v[2:3]
	s_wait_loadcnt_dscnt 0x0
	v_mul_f64_e32 v[8:9], s[8:9], v[62:63]
	v_mul_f64_e32 v[10:11], s[6:7], v[62:63]
	v_fma_f64 v[8:9], s[6:7], v[60:61], -v[8:9]
	s_delay_alu instid0(VALU_DEP_2) | instskip(NEXT) | instid1(VALU_DEP_2)
	v_fma_f64 v[10:11], s[8:9], v[60:61], v[10:11]
	v_add_f64_e32 v[56:57], v[2:3], v[8:9]
	s_delay_alu instid0(VALU_DEP_2)
	v_add_f64_e32 v[58:59], v[6:7], v[10:11]
	v_add_co_u32 v2, vcc_lo, v14, v0
	s_wait_alu 0xfffd
	v_add_co_ci_u32_e64 v3, null, v15, v1, vcc_lo
	v_mul_f64_e32 v[6:7], s[38:39], v[171:172]
	v_add_co_u32 v16, vcc_lo, v16, s20
	s_wait_alu 0xfffd
	v_add_co_ci_u32_e64 v17, null, s21, v17, vcc_lo
	flat_store_b128 v[4:5], v[56:59] offset:768
	flat_load_b128 v[56:59], v[2:3]
	v_mul_f64_e32 v[4:5], s[40:41], v[171:172]
	v_fma_f64 v[6:7], s[40:41], v[169:170], v[6:7]
	s_delay_alu instid0(VALU_DEP_2) | instskip(SKIP_3) | instid1(VALU_DEP_2)
	v_fma_f64 v[4:5], s[38:39], v[169:170], -v[4:5]
	s_wait_loadcnt_dscnt 0x0
	v_mul_f64_e32 v[8:9], s[8:9], v[58:59]
	v_mul_f64_e32 v[10:11], s[6:7], v[58:59]
	v_fma_f64 v[8:9], s[6:7], v[56:57], -v[8:9]
	s_delay_alu instid0(VALU_DEP_2) | instskip(NEXT) | instid1(VALU_DEP_2)
	v_fma_f64 v[10:11], s[8:9], v[56:57], v[10:11]
	v_add_f64_e32 v[50:51], v[4:5], v[8:9]
	s_delay_alu instid0(VALU_DEP_2)
	v_add_f64_e32 v[52:53], v[6:7], v[10:11]
	v_add_co_u32 v4, vcc_lo, v16, v0
	s_wait_alu 0xfffd
	v_add_co_ci_u32_e64 v5, null, v17, v1, vcc_lo
	v_mul_f64_e32 v[6:7], s[40:41], v[165:166]
	v_mul_f64_e32 v[8:9], s[38:39], v[165:166]
	v_add_co_u32 v14, vcc_lo, v14, s18
	s_wait_alu 0xfffd
	v_add_co_ci_u32_e64 v15, null, s19, v15, vcc_lo
	flat_store_b128 v[4:5], v[50:53]
	flat_load_b128 v[50:53], v[2:3] offset:256
	v_fma_f64 v[6:7], s[38:39], v[163:164], -v[6:7]
	v_fma_f64 v[8:9], s[40:41], v[163:164], v[8:9]
	s_wait_loadcnt_dscnt 0x0
	v_mul_f64_e32 v[10:11], s[8:9], v[52:53]
	v_mul_f64_e32 v[12:13], s[6:7], v[52:53]
	s_delay_alu instid0(VALU_DEP_2) | instskip(NEXT) | instid1(VALU_DEP_2)
	v_fma_f64 v[10:11], s[6:7], v[50:51], -v[10:11]
	v_fma_f64 v[12:13], s[8:9], v[50:51], v[12:13]
	s_delay_alu instid0(VALU_DEP_2) | instskip(NEXT) | instid1(VALU_DEP_2)
	v_add_f64_e32 v[46:47], v[6:7], v[10:11]
	v_add_f64_e32 v[48:49], v[8:9], v[12:13]
	v_mul_f64_e32 v[6:7], s[40:41], v[161:162]
	v_mul_f64_e32 v[8:9], s[38:39], v[161:162]
	flat_store_b128 v[4:5], v[46:49] offset:256
	flat_load_b128 v[46:49], v[2:3] offset:512
	v_fma_f64 v[6:7], s[38:39], v[18:19], -v[6:7]
	v_fma_f64 v[8:9], s[40:41], v[18:19], v[8:9]
	v_dual_mov_b32 v18, v40 :: v_dual_mov_b32 v19, v41
	s_wait_loadcnt_dscnt 0x0
	v_mul_f64_e32 v[10:11], s[8:9], v[48:49]
	v_mul_f64_e32 v[12:13], s[6:7], v[48:49]
	s_delay_alu instid0(VALU_DEP_2) | instskip(NEXT) | instid1(VALU_DEP_2)
	v_fma_f64 v[10:11], s[6:7], v[46:47], -v[10:11]
	v_fma_f64 v[12:13], s[8:9], v[46:47], v[12:13]
	v_dual_mov_b32 v47, v45 :: v_dual_mov_b32 v46, v44
	s_delay_alu instid0(VALU_DEP_3) | instskip(NEXT) | instid1(VALU_DEP_3)
	v_add_f64_e32 v[42:43], v[6:7], v[10:11]
	v_add_f64_e32 v[44:45], v[8:9], v[12:13]
	v_mul_f64_e32 v[6:7], s[38:39], v[159:160]
	flat_store_b128 v[4:5], v[42:45] offset:512
	flat_load_b128 v[42:45], v[2:3] offset:768
	v_mul_f64_e32 v[2:3], s[40:41], v[159:160]
	v_fma_f64 v[6:7], s[40:41], v[20:21], v[6:7]
	s_delay_alu instid0(VALU_DEP_2) | instskip(SKIP_4) | instid1(VALU_DEP_2)
	v_fma_f64 v[2:3], s[38:39], v[20:21], -v[2:3]
	scratch_load_b64 v[20:21], off, off th:TH_LOAD_LU ; 8-byte Folded Reload
	s_wait_loadcnt_dscnt 0x100
	v_mul_f64_e32 v[8:9], s[8:9], v[44:45]
	v_mul_f64_e32 v[10:11], s[6:7], v[44:45]
	v_fma_f64 v[8:9], s[6:7], v[42:43], -v[8:9]
	s_delay_alu instid0(VALU_DEP_2) | instskip(NEXT) | instid1(VALU_DEP_2)
	v_fma_f64 v[10:11], s[8:9], v[42:43], v[10:11]
	v_add_f64_e32 v[38:39], v[2:3], v[8:9]
	s_delay_alu instid0(VALU_DEP_2)
	v_add_f64_e32 v[40:41], v[6:7], v[10:11]
	v_add_co_u32 v2, vcc_lo, v14, v0
	s_wait_alu 0xfffd
	v_add_co_ci_u32_e64 v3, null, v15, v1, vcc_lo
	v_mul_f64_e32 v[6:7], s[38:39], v[157:158]
	v_add_co_u32 v16, vcc_lo, v16, s20
	s_wait_alu 0xfffd
	v_add_co_ci_u32_e64 v17, null, s21, v17, vcc_lo
	flat_store_b128 v[4:5], v[38:41] offset:768
	flat_load_b128 v[38:41], v[2:3]
	v_mul_f64_e32 v[4:5], s[40:41], v[157:158]
	v_fma_f64 v[6:7], s[40:41], v[24:25], v[6:7]
	s_delay_alu instid0(VALU_DEP_2) | instskip(SKIP_3) | instid1(VALU_DEP_2)
	v_fma_f64 v[4:5], s[38:39], v[24:25], -v[4:5]
	s_wait_loadcnt_dscnt 0x0
	v_mul_f64_e32 v[8:9], s[8:9], v[40:41]
	v_mul_f64_e32 v[10:11], s[6:7], v[40:41]
	v_fma_f64 v[8:9], s[6:7], v[38:39], -v[8:9]
	s_delay_alu instid0(VALU_DEP_2) | instskip(NEXT) | instid1(VALU_DEP_2)
	v_fma_f64 v[10:11], s[8:9], v[38:39], v[10:11]
	v_add_f64_e32 v[34:35], v[4:5], v[8:9]
	s_delay_alu instid0(VALU_DEP_2)
	v_add_f64_e32 v[36:37], v[6:7], v[10:11]
	v_add_co_u32 v4, vcc_lo, v16, v0
	s_wait_alu 0xfffd
	v_add_co_ci_u32_e64 v5, null, v17, v1, vcc_lo
	v_mul_f64_e32 v[6:7], s[40:41], v[155:156]
	v_mul_f64_e32 v[8:9], s[38:39], v[155:156]
	flat_store_b128 v[4:5], v[34:37]
	flat_load_b128 v[34:37], v[2:3] offset:256
	v_fma_f64 v[6:7], s[38:39], v[22:23], -v[6:7]
	v_fma_f64 v[8:9], s[40:41], v[22:23], v[8:9]
	scratch_load_b64 v[22:23], off, off offset:8 th:TH_LOAD_LU ; 8-byte Folded Reload
	s_wait_loadcnt_dscnt 0x100
	v_mul_f64_e32 v[10:11], s[8:9], v[36:37]
	v_mul_f64_e32 v[12:13], s[6:7], v[36:37]
	s_delay_alu instid0(VALU_DEP_2) | instskip(NEXT) | instid1(VALU_DEP_2)
	v_fma_f64 v[10:11], s[6:7], v[34:35], -v[10:11]
	v_fma_f64 v[12:13], s[8:9], v[34:35], v[12:13]
	s_delay_alu instid0(VALU_DEP_2) | instskip(NEXT) | instid1(VALU_DEP_2)
	v_add_f64_e32 v[30:31], v[6:7], v[10:11]
	v_add_f64_e32 v[32:33], v[8:9], v[12:13]
	v_mul_f64_e32 v[6:7], s[40:41], v[153:154]
	v_mul_f64_e32 v[8:9], s[38:39], v[153:154]
	flat_store_b128 v[4:5], v[30:33] offset:256
	flat_load_b128 v[30:33], v[2:3] offset:512
	s_wait_loadcnt 0x1
	v_fma_f64 v[6:7], s[38:39], v[22:23], -v[6:7]
	v_fma_f64 v[8:9], s[40:41], v[22:23], v[8:9]
	s_wait_loadcnt_dscnt 0x0
	v_mul_f64_e32 v[10:11], s[8:9], v[32:33]
	v_mul_f64_e32 v[12:13], s[6:7], v[32:33]
	s_delay_alu instid0(VALU_DEP_2) | instskip(NEXT) | instid1(VALU_DEP_2)
	v_fma_f64 v[10:11], s[6:7], v[30:31], -v[10:11]
	v_fma_f64 v[12:13], s[8:9], v[30:31], v[12:13]
	s_delay_alu instid0(VALU_DEP_2) | instskip(NEXT) | instid1(VALU_DEP_2)
	v_add_f64_e32 v[26:27], v[6:7], v[10:11]
	v_add_f64_e32 v[28:29], v[8:9], v[12:13]
	v_mul_f64_e32 v[6:7], s[38:39], v[151:152]
	flat_store_b128 v[4:5], v[26:29] offset:512
	flat_load_b128 v[26:29], v[2:3] offset:768
	v_mul_f64_e32 v[2:3], s[40:41], v[151:152]
	v_fma_f64 v[6:7], s[40:41], v[20:21], v[6:7]
	s_delay_alu instid0(VALU_DEP_2) | instskip(SKIP_3) | instid1(VALU_DEP_2)
	v_fma_f64 v[2:3], s[38:39], v[20:21], -v[2:3]
	s_wait_loadcnt_dscnt 0x0
	v_mul_f64_e32 v[8:9], s[8:9], v[28:29]
	v_mul_f64_e32 v[10:11], s[6:7], v[28:29]
	v_fma_f64 v[8:9], s[6:7], v[26:27], -v[8:9]
	s_delay_alu instid0(VALU_DEP_2) | instskip(NEXT) | instid1(VALU_DEP_2)
	v_fma_f64 v[10:11], s[8:9], v[26:27], v[10:11]
	v_add_f64_e32 v[22:23], v[2:3], v[8:9]
	s_delay_alu instid0(VALU_DEP_2) | instskip(SKIP_4) | instid1(VALU_DEP_3)
	v_add_f64_e32 v[24:25], v[6:7], v[10:11]
	v_add_co_u32 v2, vcc_lo, v14, s18
	s_wait_alu 0xfffd
	v_add_co_ci_u32_e64 v3, null, s19, v15, vcc_lo
	v_mul_f64_e32 v[6:7], s[38:39], v[149:150]
	v_add_co_u32 v2, vcc_lo, v2, v0
	s_wait_alu 0xfffd
	s_delay_alu instid0(VALU_DEP_3) | instskip(SKIP_4) | instid1(VALU_DEP_2)
	v_add_co_ci_u32_e64 v3, null, v3, v1, vcc_lo
	flat_store_b128 v[4:5], v[22:25] offset:768
	flat_load_b128 v[22:25], v[2:3]
	v_mul_f64_e32 v[4:5], s[40:41], v[149:150]
	v_fma_f64 v[6:7], s[40:41], v[18:19], v[6:7]
	v_fma_f64 v[4:5], s[38:39], v[18:19], -v[4:5]
	s_wait_loadcnt_dscnt 0x0
	v_mul_f64_e32 v[8:9], s[8:9], v[24:25]
	v_mul_f64_e32 v[10:11], s[6:7], v[24:25]
	s_delay_alu instid0(VALU_DEP_2) | instskip(NEXT) | instid1(VALU_DEP_2)
	v_fma_f64 v[8:9], s[6:7], v[22:23], -v[8:9]
	v_fma_f64 v[10:11], s[8:9], v[22:23], v[10:11]
	s_delay_alu instid0(VALU_DEP_2) | instskip(NEXT) | instid1(VALU_DEP_2)
	v_add_f64_e32 v[18:19], v[4:5], v[8:9]
	v_add_f64_e32 v[20:21], v[6:7], v[10:11]
	v_add_co_u32 v4, vcc_lo, v16, s20
	s_wait_alu 0xfffd
	v_add_co_ci_u32_e64 v5, null, s21, v17, vcc_lo
	v_mul_f64_e32 v[6:7], s[38:39], v[147:148]
	s_delay_alu instid0(VALU_DEP_3) | instskip(SKIP_1) | instid1(VALU_DEP_3)
	v_add_co_u32 v0, vcc_lo, v4, v0
	s_wait_alu 0xfffd
	v_add_co_ci_u32_e64 v1, null, v5, v1, vcc_lo
	v_mul_f64_e32 v[4:5], s[40:41], v[147:148]
	s_delay_alu instid0(VALU_DEP_3) | instskip(SKIP_1) | instid1(VALU_DEP_3)
	v_add_co_u32 v74, vcc_lo, 0x300, v0
	s_wait_alu 0xfffd
	v_add_co_ci_u32_e64 v75, null, 0, v1, vcc_lo
	flat_store_b128 v[0:1], v[18:21]
	flat_load_b128 v[18:21], v[2:3] offset:256
	v_fma_f64 v[6:7], s[40:41], v[46:47], v[6:7]
	v_fma_f64 v[4:5], s[38:39], v[46:47], -v[4:5]
	s_wait_loadcnt_dscnt 0x0
	v_mul_f64_e32 v[8:9], s[8:9], v[20:21]
	v_mul_f64_e32 v[10:11], s[6:7], v[20:21]
	s_delay_alu instid0(VALU_DEP_2) | instskip(NEXT) | instid1(VALU_DEP_2)
	v_fma_f64 v[8:9], s[6:7], v[18:19], -v[8:9]
	v_fma_f64 v[10:11], s[8:9], v[18:19], v[10:11]
	s_delay_alu instid0(VALU_DEP_2) | instskip(NEXT) | instid1(VALU_DEP_2)
	v_add_f64_e32 v[14:15], v[4:5], v[8:9]
	v_add_f64_e32 v[16:17], v[6:7], v[10:11]
	v_mul_f64_e32 v[4:5], s[40:41], v[253:254]
	v_mul_f64_e32 v[6:7], s[38:39], v[253:254]
	flat_store_b128 v[0:1], v[14:17] offset:256
	flat_load_b128 v[14:17], v[2:3] offset:512
	v_fma_f64 v[4:5], s[38:39], v[183:184], -v[4:5]
	v_fma_f64 v[6:7], s[40:41], v[183:184], v[6:7]
	s_wait_loadcnt_dscnt 0x0
	v_mul_f64_e32 v[8:9], s[8:9], v[16:17]
	v_mul_f64_e32 v[10:11], s[6:7], v[16:17]
	s_delay_alu instid0(VALU_DEP_2) | instskip(NEXT) | instid1(VALU_DEP_2)
	v_fma_f64 v[8:9], s[6:7], v[14:15], -v[8:9]
	v_fma_f64 v[12:13], s[8:9], v[14:15], v[10:11]
	s_delay_alu instid0(VALU_DEP_2) | instskip(NEXT) | instid1(VALU_DEP_2)
	v_add_f64_e32 v[10:11], v[4:5], v[8:9]
	v_add_f64_e32 v[12:13], v[6:7], v[12:13]
	v_mul_f64_e32 v[4:5], s[38:39], v[141:142]
	flat_store_b128 v[0:1], v[10:13] offset:512
	flat_load_b128 v[10:13], v[2:3] offset:768
	v_mul_f64_e32 v[2:3], s[40:41], v[141:142]
	v_fma_f64 v[4:5], s[40:41], v[211:212], v[4:5]
	s_delay_alu instid0(VALU_DEP_2) | instskip(SKIP_3) | instid1(VALU_DEP_2)
	v_fma_f64 v[2:3], s[38:39], v[211:212], -v[2:3]
	s_wait_loadcnt_dscnt 0x0
	v_mul_f64_e32 v[6:7], s[8:9], v[12:13]
	v_mul_f64_e32 v[8:9], s[6:7], v[12:13]
	v_fma_f64 v[6:7], s[6:7], v[10:11], -v[6:7]
	s_delay_alu instid0(VALU_DEP_2) | instskip(NEXT) | instid1(VALU_DEP_2)
	v_fma_f64 v[8:9], s[8:9], v[10:11], v[8:9]
	v_add_f64_e32 v[2:3], v[2:3], v[6:7]
	s_delay_alu instid0(VALU_DEP_2)
	v_add_f64_e32 v[72:73], v[4:5], v[8:9]
	flat_store_b64 v[0:1], v[2:3] offset:768
	s_branch .LBB263_2
.LBB263_12:
	s_nop 0
	s_sendmsg sendmsg(MSG_DEALLOC_VGPRS)
	s_endpgm
	.section	.rodata,"a",@progbits
	.p2align	6, 0x0
	.amdhsa_kernel _ZN12_GLOBAL__N_127rocblas_gemm_batched_kernelI19rocblas_complex_numIdELi16ELi16ELi64ELi64ELi4ELi64ELi4ELi4ELi64ELc78ELc78EKPKS2_S5_KPS2_EEvlllT_PT11_llSA_llS8_PT12_llPT13_lli
		.amdhsa_group_segment_fixed_size 8192
		.amdhsa_private_segment_fixed_size 388
		.amdhsa_kernarg_size 156
		.amdhsa_user_sgpr_count 2
		.amdhsa_user_sgpr_dispatch_ptr 0
		.amdhsa_user_sgpr_queue_ptr 0
		.amdhsa_user_sgpr_kernarg_segment_ptr 1
		.amdhsa_user_sgpr_dispatch_id 0
		.amdhsa_user_sgpr_private_segment_size 0
		.amdhsa_wavefront_size32 1
		.amdhsa_uses_dynamic_stack 0
		.amdhsa_enable_private_segment 1
		.amdhsa_system_sgpr_workgroup_id_x 1
		.amdhsa_system_sgpr_workgroup_id_y 1
		.amdhsa_system_sgpr_workgroup_id_z 1
		.amdhsa_system_sgpr_workgroup_info 0
		.amdhsa_system_vgpr_workitem_id 1
		.amdhsa_next_free_vgpr 256
		.amdhsa_next_free_sgpr 52
		.amdhsa_reserve_vcc 1
		.amdhsa_float_round_mode_32 0
		.amdhsa_float_round_mode_16_64 0
		.amdhsa_float_denorm_mode_32 3
		.amdhsa_float_denorm_mode_16_64 3
		.amdhsa_fp16_overflow 0
		.amdhsa_workgroup_processor_mode 1
		.amdhsa_memory_ordered 1
		.amdhsa_forward_progress 1
		.amdhsa_inst_pref_size 69
		.amdhsa_round_robin_scheduling 0
		.amdhsa_exception_fp_ieee_invalid_op 0
		.amdhsa_exception_fp_denorm_src 0
		.amdhsa_exception_fp_ieee_div_zero 0
		.amdhsa_exception_fp_ieee_overflow 0
		.amdhsa_exception_fp_ieee_underflow 0
		.amdhsa_exception_fp_ieee_inexact 0
		.amdhsa_exception_int_div_zero 0
	.end_amdhsa_kernel
	.section	.text._ZN12_GLOBAL__N_127rocblas_gemm_batched_kernelI19rocblas_complex_numIdELi16ELi16ELi64ELi64ELi4ELi64ELi4ELi4ELi64ELc78ELc78EKPKS2_S5_KPS2_EEvlllT_PT11_llSA_llS8_PT12_llPT13_lli,"axG",@progbits,_ZN12_GLOBAL__N_127rocblas_gemm_batched_kernelI19rocblas_complex_numIdELi16ELi16ELi64ELi64ELi4ELi64ELi4ELi4ELi64ELc78ELc78EKPKS2_S5_KPS2_EEvlllT_PT11_llSA_llS8_PT12_llPT13_lli,comdat
.Lfunc_end263:
	.size	_ZN12_GLOBAL__N_127rocblas_gemm_batched_kernelI19rocblas_complex_numIdELi16ELi16ELi64ELi64ELi4ELi64ELi4ELi4ELi64ELc78ELc78EKPKS2_S5_KPS2_EEvlllT_PT11_llSA_llS8_PT12_llPT13_lli, .Lfunc_end263-_ZN12_GLOBAL__N_127rocblas_gemm_batched_kernelI19rocblas_complex_numIdELi16ELi16ELi64ELi64ELi4ELi64ELi4ELi4ELi64ELc78ELc78EKPKS2_S5_KPS2_EEvlllT_PT11_llSA_llS8_PT12_llPT13_lli
                                        ; -- End function
	.set _ZN12_GLOBAL__N_127rocblas_gemm_batched_kernelI19rocblas_complex_numIdELi16ELi16ELi64ELi64ELi4ELi64ELi4ELi4ELi64ELc78ELc78EKPKS2_S5_KPS2_EEvlllT_PT11_llSA_llS8_PT12_llPT13_lli.num_vgpr, 256
	.set _ZN12_GLOBAL__N_127rocblas_gemm_batched_kernelI19rocblas_complex_numIdELi16ELi16ELi64ELi64ELi4ELi64ELi4ELi4ELi64ELc78ELc78EKPKS2_S5_KPS2_EEvlllT_PT11_llSA_llS8_PT12_llPT13_lli.num_agpr, 0
	.set _ZN12_GLOBAL__N_127rocblas_gemm_batched_kernelI19rocblas_complex_numIdELi16ELi16ELi64ELi64ELi4ELi64ELi4ELi4ELi64ELc78ELc78EKPKS2_S5_KPS2_EEvlllT_PT11_llSA_llS8_PT12_llPT13_lli.numbered_sgpr, 52
	.set _ZN12_GLOBAL__N_127rocblas_gemm_batched_kernelI19rocblas_complex_numIdELi16ELi16ELi64ELi64ELi4ELi64ELi4ELi4ELi64ELc78ELc78EKPKS2_S5_KPS2_EEvlllT_PT11_llSA_llS8_PT12_llPT13_lli.num_named_barrier, 0
	.set _ZN12_GLOBAL__N_127rocblas_gemm_batched_kernelI19rocblas_complex_numIdELi16ELi16ELi64ELi64ELi4ELi64ELi4ELi4ELi64ELc78ELc78EKPKS2_S5_KPS2_EEvlllT_PT11_llSA_llS8_PT12_llPT13_lli.private_seg_size, 388
	.set _ZN12_GLOBAL__N_127rocblas_gemm_batched_kernelI19rocblas_complex_numIdELi16ELi16ELi64ELi64ELi4ELi64ELi4ELi4ELi64ELc78ELc78EKPKS2_S5_KPS2_EEvlllT_PT11_llSA_llS8_PT12_llPT13_lli.uses_vcc, 1
	.set _ZN12_GLOBAL__N_127rocblas_gemm_batched_kernelI19rocblas_complex_numIdELi16ELi16ELi64ELi64ELi4ELi64ELi4ELi4ELi64ELc78ELc78EKPKS2_S5_KPS2_EEvlllT_PT11_llSA_llS8_PT12_llPT13_lli.uses_flat_scratch, 1
	.set _ZN12_GLOBAL__N_127rocblas_gemm_batched_kernelI19rocblas_complex_numIdELi16ELi16ELi64ELi64ELi4ELi64ELi4ELi4ELi64ELc78ELc78EKPKS2_S5_KPS2_EEvlllT_PT11_llSA_llS8_PT12_llPT13_lli.has_dyn_sized_stack, 0
	.set _ZN12_GLOBAL__N_127rocblas_gemm_batched_kernelI19rocblas_complex_numIdELi16ELi16ELi64ELi64ELi4ELi64ELi4ELi4ELi64ELc78ELc78EKPKS2_S5_KPS2_EEvlllT_PT11_llSA_llS8_PT12_llPT13_lli.has_recursion, 0
	.set _ZN12_GLOBAL__N_127rocblas_gemm_batched_kernelI19rocblas_complex_numIdELi16ELi16ELi64ELi64ELi4ELi64ELi4ELi4ELi64ELc78ELc78EKPKS2_S5_KPS2_EEvlllT_PT11_llSA_llS8_PT12_llPT13_lli.has_indirect_call, 0
	.section	.AMDGPU.csdata,"",@progbits
; Kernel info:
; codeLenInByte = 8780
; TotalNumSgprs: 54
; NumVgprs: 256
; ScratchSize: 388
; MemoryBound: 0
; FloatMode: 240
; IeeeMode: 1
; LDSByteSize: 8192 bytes/workgroup (compile time only)
; SGPRBlocks: 0
; VGPRBlocks: 31
; NumSGPRsForWavesPerEU: 54
; NumVGPRsForWavesPerEU: 256
; Occupancy: 5
; WaveLimiterHint : 1
; COMPUTE_PGM_RSRC2:SCRATCH_EN: 1
; COMPUTE_PGM_RSRC2:USER_SGPR: 2
; COMPUTE_PGM_RSRC2:TRAP_HANDLER: 0
; COMPUTE_PGM_RSRC2:TGID_X_EN: 1
; COMPUTE_PGM_RSRC2:TGID_Y_EN: 1
; COMPUTE_PGM_RSRC2:TGID_Z_EN: 1
; COMPUTE_PGM_RSRC2:TIDIG_COMP_CNT: 1
	.section	.text._ZN12_GLOBAL__N_127rocblas_gemm_batched_kernelI19rocblas_complex_numIdELi16ELi16ELi64ELi64ELi4ELi64ELi4ELi4ELi64ELc84ELc78EKPKS2_S5_KPS2_EEvlllT_PT11_llSA_llS8_PT12_llPT13_lli,"axG",@progbits,_ZN12_GLOBAL__N_127rocblas_gemm_batched_kernelI19rocblas_complex_numIdELi16ELi16ELi64ELi64ELi4ELi64ELi4ELi4ELi64ELc84ELc78EKPKS2_S5_KPS2_EEvlllT_PT11_llSA_llS8_PT12_llPT13_lli,comdat
	.globl	_ZN12_GLOBAL__N_127rocblas_gemm_batched_kernelI19rocblas_complex_numIdELi16ELi16ELi64ELi64ELi4ELi64ELi4ELi4ELi64ELc84ELc78EKPKS2_S5_KPS2_EEvlllT_PT11_llSA_llS8_PT12_llPT13_lli ; -- Begin function _ZN12_GLOBAL__N_127rocblas_gemm_batched_kernelI19rocblas_complex_numIdELi16ELi16ELi64ELi64ELi4ELi64ELi4ELi4ELi64ELc84ELc78EKPKS2_S5_KPS2_EEvlllT_PT11_llSA_llS8_PT12_llPT13_lli
	.p2align	8
	.type	_ZN12_GLOBAL__N_127rocblas_gemm_batched_kernelI19rocblas_complex_numIdELi16ELi16ELi64ELi64ELi4ELi64ELi4ELi4ELi64ELc84ELc78EKPKS2_S5_KPS2_EEvlllT_PT11_llSA_llS8_PT12_llPT13_lli,@function
_ZN12_GLOBAL__N_127rocblas_gemm_batched_kernelI19rocblas_complex_numIdELi16ELi16ELi64ELi64ELi4ELi64ELi4ELi4ELi64ELc84ELc78EKPKS2_S5_KPS2_EEvlllT_PT11_llSA_llS8_PT12_llPT13_lli: ; @_ZN12_GLOBAL__N_127rocblas_gemm_batched_kernelI19rocblas_complex_numIdELi16ELi16ELi64ELi64ELi4ELi64ELi4ELi4ELi64ELc84ELc78EKPKS2_S5_KPS2_EEvlllT_PT11_llSA_llS8_PT12_llPT13_lli
; %bb.0:
	s_load_b32 s22, s[0:1], 0x98
	s_lshr_b32 s2, ttmp7, 16
	s_wait_kmcnt 0x0
	s_cmp_ge_i32 s2, s22
	s_cbranch_scc1 .LBB264_12
; %bb.1:
	s_clause 0x2
	s_load_b512 s[4:19], s[0:1], 0x50
	s_load_b512 s[36:51], s[0:1], 0x10
	s_load_b64 s[20:21], s[0:1], 0x90
	v_dual_mov_b32 v138, 0 :: v_dual_and_b32 v1, 0x3ff, v0
	v_bfe_u32 v2, v0, 10, 10
	s_lshl_b32 s3, ttmp7, 6
	s_mov_b32 s24, ttmp9
	s_and_b32 s3, s3, 0x3fffc0
	s_ashr_i32 s25, ttmp9, 31
	v_lshl_add_u32 v3, v2, 4, v1
	v_lshl_add_u32 v208, v2, 6, 0x1000
	v_add_nc_u32_e32 v2, s3, v2
	s_lshl_b64 s[0:1], s[24:25], 6
	v_lshlrev_b32_e32 v255, 4, v1
	v_and_b32_e32 v4, 63, v3
	v_add_co_u32 v7, s24, s0, v1
	v_lshrrev_b32_e32 v5, 2, v3
	v_lshrrev_b32_e32 v14, 6, v3
	s_wait_kmcnt 0x0
	v_mad_co_u64_u32 v[15:16], null, v2, s18, 0
	v_lshlrev_b32_e32 v0, 4, v0
	v_lshlrev_b32_e32 v3, 4, v4
	v_add_co_ci_u32_e64 v8, null, s1, 0, s24
	v_add_nc_u32_e32 v1, s3, v5
	v_cmp_eq_f64_e64 s23, s[6:7], 0
	s_delay_alu instid0(VALU_DEP_4)
	v_lshl_or_b32 v139, v14, 10, v3
	v_dual_mov_b32 v3, v16 :: v_dual_and_b32 v0, 48, v0
	scratch_store_b64 off, v[7:8], off offset:344 ; 8-byte Folded Spill
	v_or_b32_e32 v8, s0, v4
	s_mul_i32 s0, s44, s1
	v_cmp_eq_f64_e64 s26, s[8:9], 0
	v_lshl_or_b32 v6, v5, 6, v0
	v_mad_co_u64_u32 v[4:5], null, v2, s12, 0
	v_mul_lo_u32 v13, s45, v8
	v_mad_co_u64_u32 v[8:9], null, s44, v8, 0
	s_delay_alu instid0(VALU_DEP_4)
	v_add_nc_u32_e32 v140, 0x1000, v6
	v_mad_co_u64_u32 v[6:7], null, s50, v1, 0
	v_mad_co_u64_u32 v[10:11], null, v2, s19, v[3:4]
	s_lshl_b64 s[24:25], s[18:19], 4
	s_wait_alu 0xfffe
	v_add3_u32 v9, v9, s0, v13
	s_lshl_b64 s[0:1], s[46:47], 4
	s_lshl_b64 s[18:19], s[12:13], 4
	v_mad_co_u64_u32 v[11:12], null, v2, s13, v[5:6]
	v_mad_co_u64_u32 v[12:13], null, s51, v1, v[7:8]
	v_lshlrev_b64_e32 v[8:9], 4, v[8:9]
	v_dual_mov_b32 v16, v10 :: v_dual_lshlrev_b32 v1, 4, v14
	s_mov_b32 s3, 0
	s_delay_alu instid0(VALU_DEP_4)
	v_mov_b32_e32 v5, v11
	s_lshl_b64 s[12:13], s[14:15], 4
	s_wait_alu 0xfffe
	v_add_co_u32 v2, vcc_lo, v8, s0
	v_mov_b32_e32 v7, v12
	v_add_co_ci_u32_e64 v3, null, s1, v9, vcc_lo
	s_delay_alu instid0(VALU_DEP_3) | instskip(NEXT) | instid1(VALU_DEP_3)
	v_add_co_u32 v1, vcc_lo, v2, v1
	v_lshlrev_b64_e32 v[6:7], 4, v[6:7]
	scratch_store_b64 off, v[15:16], off offset:352 ; 8-byte Folded Spill
	s_lshl_b64 s[0:1], s[4:5], 4
	scratch_store_b32 off, v1, off offset:360 ; 4-byte Folded Spill
	s_wait_alu 0xfffd
	v_add_co_ci_u32_e64 v1, null, 0, v3, vcc_lo
	s_and_b32 s23, s23, s26
	s_lshl_b64 s[4:5], s[20:21], 4
	s_lshl_b64 s[14:15], s[18:19], 4
	scratch_store_b32 off, v1, off offset:364 ; 4-byte Folded Spill
	s_wait_alu 0xfffe
	v_add_co_u32 v1, vcc_lo, v6, s0
	s_wait_alu 0xfffd
	v_add_co_ci_u32_e64 v2, null, s1, v7, vcc_lo
	v_cmp_gt_i64_e64 s0, s[36:37], 0
	s_delay_alu instid0(VALU_DEP_3)
	v_add_co_u32 v0, vcc_lo, v1, v0
	s_lshl_b64 s[18:19], s[24:25], 4
	scratch_store_b32 off, v0, off offset:368 ; 4-byte Folded Spill
	s_wait_alu 0xfffd
	v_add_co_ci_u32_e64 v0, null, 0, v2, vcc_lo
	v_cndmask_b32_e64 v3, 0, 1, s0
	scratch_store_b32 off, v0, off offset:372 ; 4-byte Folded Spill
	v_lshlrev_b64_e32 v[0:1], 4, v[4:5]
	v_cmp_ne_u32_e64 s0, 1, v3
	s_clause 0x2
	scratch_store_b64 off, v[0:1], off offset:376
	scratch_store_b32 off, v139, off offset:320
	scratch_store_b32 off, v140, off offset:324
	s_branch .LBB264_3
.LBB264_2:                              ;   in Loop: Header=BB264_3 Depth=1
	s_add_co_i32 s2, s2, 0x10000
	flat_store_b64 v[74:75], v[72:73] offset:8
	s_wait_alu 0xfffe
	s_cmp_lt_i32 s2, s22
	s_cbranch_scc0 .LBB264_12
.LBB264_3:                              ; =>This Loop Header: Depth=1
                                        ;     Child Loop BB264_5 Depth 2
	s_lshl_b64 s[20:21], s[2:3], 3
	s_and_b32 vcc_lo, exec_lo, s0
	s_wait_alu 0xfffe
	s_add_nc_u64 s[24:25], s[10:11], s[20:21]
	s_add_nc_u64 s[26:27], s[16:17], s[20:21]
	s_clause 0x1
	global_load_b64 v[167:168], v138, s[24:25]
	global_load_b64 v[36:37], v138, s[26:27]
	s_cbranch_vccnz .LBB264_7
; %bb.4:                                ;   in Loop: Header=BB264_3 Depth=1
	v_mov_b32_e32 v38, 0
	v_dual_mov_b32 v39, 0 :: v_dual_mov_b32 v0, 0
	v_mov_b32_e32 v1, 0
	s_wait_loadcnt 0x0
	s_clause 0x1
	scratch_store_b64 off, v[36:37], off offset:336
	scratch_store_b64 off, v[167:168], off offset:328
	v_mov_b32_e32 v153, 0
	v_mov_b32_e32 v154, 0
	v_mov_b32_e32 v30, 0
	scratch_store_b64 off, v[0:1], off      ; 8-byte Folded Spill
	v_mov_b32_e32 v0, 0
	v_mov_b32_e32 v1, 0
	;; [unrolled: 1-line block ×3, first 2 shown]
	s_add_nc_u64 s[24:25], s[42:43], s[20:21]
	s_add_nc_u64 s[20:21], s[48:49], s[20:21]
	s_clause 0x1
	global_load_b64 v[74:75], v138, s[24:25]
	global_load_b64 v[76:77], v138, s[20:21]
	scratch_store_b64 off, v[0:1], off offset:8 ; 8-byte Folded Spill
	v_mov_b32_e32 v0, 0
	v_mov_b32_e32 v1, 0
	v_mov_b32_e32 v141, 0
	v_dual_mov_b32 v253, 0 :: v_dual_mov_b32 v46, 0
	v_mov_b32_e32 v42, 0
	scratch_store_b64 off, v[0:1], off offset:16 ; 8-byte Folded Spill
	scratch_load_b32 v0, off, off offset:360 ; 4-byte Folded Reload
	v_mov_b32_e32 v26, 0
	v_mov_b32_e32 v22, 0
	v_mov_b32_e32 v18, 0
	v_mov_b32_e32 v14, 0
	v_mov_b32_e32 v10, 0
	v_mov_b32_e32 v6, 0
	v_dual_mov_b32 v142, 0 :: v_dual_mov_b32 v211, 0
	v_dual_mov_b32 v254, 0 :: v_dual_mov_b32 v183, 0
	;; [unrolled: 1-line block ×14, first 2 shown]
	v_mov_b32_e32 v41, 0
	v_mov_b32_e32 v25, 0
	;; [unrolled: 1-line block ×7, first 2 shown]
	v_dual_mov_b32 v3, 0 :: v_dual_mov_b32 v252, 0
	v_dual_mov_b32 v207, 0 :: v_dual_mov_b32 v188, 0
	v_mov_b32_e32 v186, 0
	s_mov_b64 s[20:21], 0
	s_wait_loadcnt 0x0
	v_add_co_u32 v213, vcc_lo, v74, v0
	scratch_load_b32 v0, off, off offset:364 ; 4-byte Folded Reload
	s_wait_loadcnt 0x0
	s_wait_alu 0xfffd
	v_add_co_ci_u32_e64 v214, null, v75, v0, vcc_lo
	scratch_load_b32 v0, off, off offset:368 ; 4-byte Folded Reload
	s_wait_loadcnt 0x0
	v_add_co_u32 v76, vcc_lo, v76, v0
	scratch_load_b32 v0, off, off offset:372 ; 4-byte Folded Reload
	s_wait_loadcnt 0x0
	s_wait_alu 0xfffd
	v_add_co_ci_u32_e64 v77, null, v77, v0, vcc_lo
	v_mov_b32_e32 v0, 0
	v_mov_b32_e32 v1, 0
.LBB264_5:                              ;   Parent Loop BB264_3 Depth=1
                                        ; =>  This Inner Loop Header: Depth=2
	scratch_store_b64 off, v[141:142], off offset:24 ; 8-byte Folded Spill
	flat_load_b128 v[78:81], v[213:214]
	flat_load_b128 v[82:85], v[76:77]
	v_dual_mov_b32 v36, v153 :: v_dual_mov_b32 v37, v154
	v_dual_mov_b32 v74, v183 :: v_dual_mov_b32 v75, v184
	s_wait_alu 0xfffe
	s_add_nc_u64 s[20:21], s[20:21], 4
	v_add_co_u32 v213, s1, v213, 64
	s_wait_alu 0xf1ff
	v_add_co_ci_u32_e64 v214, null, 0, v214, s1
	s_wait_alu 0xfffe
	v_cmp_lt_i64_e64 s1, s[20:21], s[36:37]
	v_add_co_u32 v76, vcc_lo, v76, 64
	s_wait_alu 0xfffd
	v_add_co_ci_u32_e64 v77, null, 0, v77, vcc_lo
	s_wait_loadcnt_dscnt 0x101
	ds_store_2addr_b64 v139, v[78:79], v[80:81] offset1:1
	s_wait_loadcnt_dscnt 0x1
	ds_store_2addr_b64 v140, v[82:83], v[84:85] offset1:1
	s_wait_storecnt_dscnt 0x0
	s_barrier_signal -1
	s_barrier_wait -1
	global_inv scope:SCOPE_SE
	ds_load_b128 v[92:95], v208
	ds_load_b128 v[128:131], v255
	ds_load_b128 v[132:135], v255 offset:256
	ds_load_b128 v[156:159], v208 offset:16
	s_and_b32 vcc_lo, exec_lo, s1
	s_wait_dscnt 0x2
	v_mul_f64_e32 v[78:79], v[94:95], v[130:131]
	v_mul_f64_e32 v[80:81], v[92:93], v[130:131]
	s_wait_dscnt 0x1
	v_mul_f64_e32 v[82:83], v[94:95], v[134:135]
	v_mul_f64_e32 v[84:85], v[92:93], v[134:135]
	s_delay_alu instid0(VALU_DEP_4)
	v_fma_f64 v[28:29], v[92:93], v[128:129], -v[78:79]
	scratch_store_b64 off, v[28:29], off offset:32 ; 8-byte Folded Spill
	v_fma_f64 v[28:29], v[94:95], v[128:129], v[80:81]
	scratch_store_b64 off, v[28:29], off offset:40 ; 8-byte Folded Spill
	v_fma_f64 v[28:29], v[92:93], v[132:133], -v[82:83]
	scratch_store_b64 off, v[28:29], off offset:48 ; 8-byte Folded Spill
	v_fma_f64 v[28:29], v[94:95], v[132:133], v[84:85]
	scratch_store_b64 off, v[28:29], off offset:56 ; 8-byte Folded Spill
	ds_load_b128 v[136:139], v255 offset:512
	ds_load_b128 v[140:143], v255 offset:768
	s_wait_dscnt 0x1
	v_mul_f64_e32 v[86:87], v[94:95], v[138:139]
	v_mul_f64_e32 v[88:89], v[92:93], v[138:139]
	s_wait_dscnt 0x0
	v_mul_f64_e32 v[90:91], v[94:95], v[142:143]
	s_delay_alu instid0(VALU_DEP_3)
	v_fma_f64 v[28:29], v[92:93], v[136:137], -v[86:87]
	scratch_store_b64 off, v[28:29], off offset:64 ; 8-byte Folded Spill
	v_fma_f64 v[28:29], v[94:95], v[136:137], v[88:89]
	scratch_store_b64 off, v[28:29], off offset:72 ; 8-byte Folded Spill
	v_fma_f64 v[28:29], v[92:93], v[140:141], -v[90:91]
	v_mul_f64_e32 v[92:93], v[92:93], v[142:143]
	scratch_store_b64 off, v[28:29], off offset:80 ; 8-byte Folded Spill
	v_fma_f64 v[28:29], v[94:95], v[140:141], v[92:93]
	scratch_store_b64 off, v[28:29], off offset:88 ; 8-byte Folded Spill
	ds_load_b128 v[108:111], v208 offset:1024
	ds_load_b128 v[172:175], v208 offset:1040
	;; [unrolled: 1-line block ×3, first 2 shown]
	s_wait_dscnt 0x2
	v_mul_f64_e32 v[94:95], v[110:111], v[130:131]
	v_mul_f64_e32 v[96:97], v[108:109], v[130:131]
	;; [unrolled: 1-line block ×7, first 2 shown]
	v_fma_f64 v[28:29], v[108:109], v[128:129], -v[94:95]
	scratch_store_b64 off, v[28:29], off offset:96 ; 8-byte Folded Spill
	v_fma_f64 v[28:29], v[110:111], v[128:129], v[96:97]
	scratch_store_b64 off, v[28:29], off offset:104 ; 8-byte Folded Spill
	v_fma_f64 v[28:29], v[108:109], v[132:133], -v[98:99]
	scratch_store_b64 off, v[28:29], off offset:112 ; 8-byte Folded Spill
	v_fma_f64 v[28:29], v[110:111], v[132:133], v[100:101]
	scratch_store_b64 off, v[28:29], off offset:120 ; 8-byte Folded Spill
	;; [unrolled: 4-line block ×3, first 2 shown]
	v_fma_f64 v[28:29], v[108:109], v[140:141], -v[106:107]
	v_mul_f64_e32 v[108:109], v[108:109], v[142:143]
	scratch_store_b64 off, v[28:29], off offset:144 ; 8-byte Folded Spill
	v_fma_f64 v[28:29], v[110:111], v[140:141], v[108:109]
	scratch_store_b64 off, v[28:29], off offset:152 ; 8-byte Folded Spill
	v_dual_mov_b32 v28, v187 :: v_dual_mov_b32 v29, v188
	ds_load_b128 v[188:191], v208 offset:2064
	s_wait_dscnt 0x1
	v_mul_f64_e32 v[110:111], v[126:127], v[130:131]
	v_mul_f64_e32 v[112:113], v[124:125], v[130:131]
	;; [unrolled: 1-line block ×7, first 2 shown]
	v_fma_f64 v[32:33], v[124:125], v[128:129], -v[110:111]
	scratch_store_b64 off, v[32:33], off offset:160 ; 8-byte Folded Spill
	v_fma_f64 v[32:33], v[126:127], v[128:129], v[112:113]
	scratch_store_b64 off, v[32:33], off offset:168 ; 8-byte Folded Spill
	v_fma_f64 v[32:33], v[124:125], v[132:133], -v[114:115]
	scratch_store_b64 off, v[32:33], off offset:176 ; 8-byte Folded Spill
	v_fma_f64 v[32:33], v[126:127], v[132:133], v[116:117]
	scratch_store_b64 off, v[32:33], off offset:184 ; 8-byte Folded Spill
	;; [unrolled: 4-line block ×3, first 2 shown]
	v_fma_f64 v[32:33], v[124:125], v[140:141], -v[122:123]
	v_mul_f64_e32 v[124:125], v[124:125], v[142:143]
	scratch_store_b64 off, v[32:33], off offset:208 ; 8-byte Folded Spill
	v_fma_f64 v[32:33], v[126:127], v[140:141], v[124:125]
	scratch_store_b64 off, v[32:33], off offset:216 ; 8-byte Folded Spill
	ds_load_b128 v[144:147], v208 offset:3072
	ds_load_b128 v[215:218], v208 offset:3088
	s_wait_dscnt 0x1
	v_mul_f64_e32 v[126:127], v[146:147], v[130:131]
	v_mul_f64_e32 v[130:131], v[144:145], v[130:131]
	s_delay_alu instid0(VALU_DEP_2)
	v_fma_f64 v[32:33], v[144:145], v[128:129], -v[126:127]
	scratch_store_b64 off, v[32:33], off offset:224 ; 8-byte Folded Spill
	v_fma_f64 v[32:33], v[146:147], v[128:129], v[130:131]
	v_mul_f64_e32 v[130:131], v[146:147], v[134:135]
	v_mul_f64_e32 v[134:135], v[144:145], v[134:135]
	scratch_store_b64 off, v[32:33], off offset:232 ; 8-byte Folded Spill
	v_fma_f64 v[32:33], v[144:145], v[132:133], -v[130:131]
	scratch_store_b64 off, v[32:33], off offset:240 ; 8-byte Folded Spill
	v_fma_f64 v[32:33], v[146:147], v[132:133], v[134:135]
	v_mul_f64_e32 v[134:135], v[146:147], v[138:139]
	v_mul_f64_e32 v[138:139], v[144:145], v[138:139]
	scratch_store_b64 off, v[32:33], off offset:248 ; 8-byte Folded Spill
	;; [unrolled: 6-line block ×3, first 2 shown]
	v_fma_f64 v[32:33], v[144:145], v[140:141], -v[138:139]
	scratch_store_b64 off, v[32:33], off offset:272 ; 8-byte Folded Spill
	v_fma_f64 v[32:33], v[146:147], v[140:141], v[142:143]
	scratch_store_b64 off, v[32:33], off offset:280 ; 8-byte Folded Spill
	ds_load_b128 v[192:195], v255 offset:1024
	ds_load_b128 v[196:199], v255 offset:1280
	s_wait_dscnt 0x1
	v_mul_f64_e32 v[142:143], v[158:159], v[194:195]
	v_mul_f64_e32 v[144:145], v[156:157], v[194:195]
	s_wait_dscnt 0x0
	v_mul_f64_e32 v[146:147], v[158:159], v[198:199]
	v_mul_f64_e32 v[148:149], v[156:157], v[198:199]
	;; [unrolled: 1-line block ×8, first 2 shown]
	v_fma_f64 v[32:33], v[156:157], v[192:193], -v[142:143]
	v_fma_f64 v[162:163], v[172:173], v[196:197], -v[162:163]
	v_fma_f64 v[160:161], v[174:175], v[192:193], v[160:161]
	v_fma_f64 v[164:165], v[174:175], v[196:197], v[164:165]
	v_fma_f64 v[178:179], v[188:189], v[196:197], -v[178:179]
	v_fma_f64 v[176:177], v[190:191], v[192:193], v[176:177]
	v_fma_f64 v[180:181], v[190:191], v[196:197], v[180:181]
	scratch_store_b64 off, v[32:33], off offset:288 ; 8-byte Folded Spill
	v_fma_f64 v[32:33], v[158:159], v[192:193], v[144:145]
	scratch_store_b64 off, v[32:33], off offset:296 ; 8-byte Folded Spill
	v_fma_f64 v[32:33], v[156:157], v[196:197], -v[146:147]
	scratch_store_b64 off, v[32:33], off offset:304 ; 8-byte Folded Spill
	v_fma_f64 v[32:33], v[158:159], v[196:197], v[148:149]
	scratch_store_b64 off, v[32:33], off offset:312 ; 8-byte Folded Spill
	ds_load_b128 v[200:203], v255 offset:1536
	ds_load_b128 v[219:222], v255 offset:1792
	v_dual_mov_b32 v32, v185 :: v_dual_mov_b32 v33, v186
	s_wait_dscnt 0x1
	v_mul_f64_e32 v[150:151], v[158:159], v[202:203]
	s_wait_dscnt 0x0
	v_mul_f64_e32 v[154:155], v[158:159], v[221:222]
	v_mul_f64_e32 v[152:153], v[156:157], v[202:203]
	;; [unrolled: 1-line block ×9, first 2 shown]
	v_fma_f64 v[150:151], v[156:157], v[200:201], -v[150:151]
	v_fma_f64 v[154:155], v[156:157], v[219:220], -v[154:155]
	v_mul_f64_e32 v[156:157], v[156:157], v[221:222]
	v_fma_f64 v[152:153], v[158:159], v[200:201], v[152:153]
	v_fma_f64 v[166:167], v[172:173], v[200:201], -v[166:167]
	v_fma_f64 v[170:171], v[172:173], v[219:220], -v[170:171]
	v_fma_f64 v[168:169], v[174:175], v[200:201], v[168:169]
	v_fma_f64 v[182:183], v[188:189], v[200:201], -v[182:183]
	v_fma_f64 v[186:187], v[188:189], v[219:220], -v[186:187]
	v_fma_f64 v[184:185], v[190:191], v[200:201], v[184:185]
	v_fma_f64 v[204:205], v[217:218], v[219:220], v[204:205]
	v_fma_f64 v[156:157], v[158:159], v[219:220], v[156:157]
	v_mul_f64_e32 v[158:159], v[174:175], v[194:195]
	s_delay_alu instid0(VALU_DEP_1) | instskip(SKIP_1) | instid1(VALU_DEP_1)
	v_fma_f64 v[158:159], v[172:173], v[192:193], -v[158:159]
	v_mul_f64_e32 v[172:173], v[172:173], v[221:222]
	v_fma_f64 v[172:173], v[174:175], v[219:220], v[172:173]
	v_mul_f64_e32 v[174:175], v[190:191], v[194:195]
	s_delay_alu instid0(VALU_DEP_1) | instskip(SKIP_1) | instid1(VALU_DEP_1)
	v_fma_f64 v[174:175], v[188:189], v[192:193], -v[174:175]
	v_mul_f64_e32 v[188:189], v[188:189], v[221:222]
	v_fma_f64 v[188:189], v[190:191], v[219:220], v[188:189]
	v_mul_f64_e32 v[190:191], v[217:218], v[194:195]
	v_mul_f64_e32 v[194:195], v[215:216], v[194:195]
	s_delay_alu instid0(VALU_DEP_2) | instskip(NEXT) | instid1(VALU_DEP_2)
	v_fma_f64 v[190:191], v[215:216], v[192:193], -v[190:191]
	v_fma_f64 v[192:193], v[217:218], v[192:193], v[194:195]
	v_mul_f64_e32 v[194:195], v[217:218], v[198:199]
	v_mul_f64_e32 v[198:199], v[215:216], v[198:199]
	s_delay_alu instid0(VALU_DEP_2) | instskip(NEXT) | instid1(VALU_DEP_2)
	v_fma_f64 v[194:195], v[215:216], v[196:197], -v[194:195]
	;; [unrolled: 5-line block ×3, first 2 shown]
	v_fma_f64 v[200:201], v[217:218], v[200:201], v[202:203]
	v_mul_f64_e32 v[202:203], v[217:218], v[221:222]
	s_delay_alu instid0(VALU_DEP_1)
	v_fma_f64 v[202:203], v[215:216], v[219:220], -v[202:203]
	ds_load_b128 v[215:218], v208 offset:32
	ds_load_b128 v[219:222], v255 offset:2048
	ds_load_b128 v[223:226], v255 offset:2304
	ds_load_b128 v[227:230], v208 offset:48
	s_wait_dscnt 0x2
	v_mul_f64_e32 v[231:232], v[217:218], v[221:222]
	s_delay_alu instid0(VALU_DEP_1) | instskip(SKIP_1) | instid1(VALU_DEP_1)
	v_fma_f64 v[146:147], v[215:216], v[219:220], -v[231:232]
	v_mul_f64_e32 v[231:232], v[215:216], v[221:222]
	v_fma_f64 v[144:145], v[217:218], v[219:220], v[231:232]
	s_wait_dscnt 0x1
	v_mul_f64_e32 v[231:232], v[217:218], v[225:226]
	s_delay_alu instid0(VALU_DEP_1) | instskip(SKIP_1) | instid1(VALU_DEP_1)
	v_fma_f64 v[142:143], v[215:216], v[223:224], -v[231:232]
	v_mul_f64_e32 v[231:232], v[215:216], v[225:226]
	v_fma_f64 v[140:141], v[217:218], v[223:224], v[231:232]
	ds_load_b128 v[231:234], v255 offset:2560
	ds_load_b128 v[235:238], v255 offset:2816
	s_wait_dscnt 0x1
	v_mul_f64_e32 v[239:240], v[217:218], v[233:234]
	s_delay_alu instid0(VALU_DEP_1) | instskip(SKIP_1) | instid1(VALU_DEP_1)
	v_fma_f64 v[138:139], v[215:216], v[231:232], -v[239:240]
	v_mul_f64_e32 v[239:240], v[215:216], v[233:234]
	v_fma_f64 v[136:137], v[217:218], v[231:232], v[239:240]
	s_wait_dscnt 0x0
	v_mul_f64_e32 v[239:240], v[217:218], v[237:238]
	s_delay_alu instid0(VALU_DEP_1) | instskip(SKIP_1) | instid1(VALU_DEP_1)
	v_fma_f64 v[134:135], v[215:216], v[235:236], -v[239:240]
	v_mul_f64_e32 v[215:216], v[215:216], v[237:238]
	v_fma_f64 v[132:133], v[217:218], v[235:236], v[215:216]
	ds_load_b128 v[215:218], v208 offset:1056
	ds_load_b128 v[239:242], v208 offset:1072
	s_wait_dscnt 0x1
	v_mul_f64_e32 v[243:244], v[217:218], v[221:222]
	s_delay_alu instid0(VALU_DEP_1) | instskip(SKIP_1) | instid1(VALU_DEP_1)
	v_fma_f64 v[130:131], v[215:216], v[219:220], -v[243:244]
	v_mul_f64_e32 v[243:244], v[215:216], v[221:222]
	v_fma_f64 v[209:210], v[217:218], v[219:220], v[243:244]
	v_mul_f64_e32 v[243:244], v[217:218], v[225:226]
	s_delay_alu instid0(VALU_DEP_1) | instskip(SKIP_1) | instid1(VALU_DEP_1)
	v_fma_f64 v[128:129], v[215:216], v[223:224], -v[243:244]
	v_mul_f64_e32 v[243:244], v[215:216], v[225:226]
	v_fma_f64 v[126:127], v[217:218], v[223:224], v[243:244]
	;; [unrolled: 5-line block ×4, first 2 shown]
	ds_load_b128 v[215:218], v208 offset:2080
	ds_load_b128 v[243:246], v208 offset:2096
	s_wait_dscnt 0x1
	v_mul_f64_e32 v[247:248], v[217:218], v[221:222]
	s_delay_alu instid0(VALU_DEP_1) | instskip(SKIP_1) | instid1(VALU_DEP_1)
	v_fma_f64 v[116:117], v[215:216], v[219:220], -v[247:248]
	v_mul_f64_e32 v[247:248], v[215:216], v[221:222]
	v_fma_f64 v[114:115], v[217:218], v[219:220], v[247:248]
	v_mul_f64_e32 v[247:248], v[217:218], v[225:226]
	s_delay_alu instid0(VALU_DEP_1) | instskip(SKIP_1) | instid1(VALU_DEP_1)
	v_fma_f64 v[112:113], v[215:216], v[223:224], -v[247:248]
	v_mul_f64_e32 v[247:248], v[215:216], v[225:226]
	v_fma_f64 v[110:111], v[217:218], v[223:224], v[247:248]
	;; [unrolled: 5-line block ×4, first 2 shown]
	ds_load_b128 v[215:218], v208 offset:3104
	ds_load_b128 v[247:250], v208 offset:3120
	s_wait_dscnt 0x1
	v_mul_f64_e32 v[34:35], v[217:218], v[221:222]
	v_mul_f64_e32 v[221:222], v[215:216], v[221:222]
	s_delay_alu instid0(VALU_DEP_2) | instskip(NEXT) | instid1(VALU_DEP_2)
	v_fma_f64 v[100:101], v[215:216], v[219:220], -v[34:35]
	v_fma_f64 v[98:99], v[217:218], v[219:220], v[221:222]
	v_mul_f64_e32 v[219:220], v[217:218], v[225:226]
	s_delay_alu instid0(VALU_DEP_1) | instskip(SKIP_1) | instid1(VALU_DEP_1)
	v_fma_f64 v[96:97], v[215:216], v[223:224], -v[219:220]
	v_mul_f64_e32 v[219:220], v[215:216], v[225:226]
	v_fma_f64 v[94:95], v[217:218], v[223:224], v[219:220]
	v_mul_f64_e32 v[219:220], v[217:218], v[233:234]
	s_delay_alu instid0(VALU_DEP_1) | instskip(SKIP_1) | instid1(VALU_DEP_1)
	v_fma_f64 v[92:93], v[215:216], v[231:232], -v[219:220]
	v_mul_f64_e32 v[219:220], v[215:216], v[233:234]
	;; [unrolled: 5-line block ×3, first 2 shown]
	v_fma_f64 v[235:236], v[217:218], v[235:236], v[215:216]
	ds_load_b128 v[215:218], v255 offset:3072
	ds_load_b128 v[219:222], v255 offset:3328
	s_wait_dscnt 0x1
	v_mul_f64_e32 v[223:224], v[229:230], v[217:218]
	s_wait_dscnt 0x0
	v_mul_f64_e32 v[64:65], v[241:242], v[221:222]
	v_mul_f64_e32 v[62:63], v[239:240], v[217:218]
	;; [unrolled: 1-line block ×6, first 2 shown]
	v_fma_f64 v[237:238], v[227:228], v[215:216], -v[223:224]
	v_mul_f64_e32 v[223:224], v[227:228], v[217:218]
	v_fma_f64 v[64:65], v[239:240], v[219:220], -v[64:65]
	v_fma_f64 v[62:63], v[241:242], v[215:216], v[62:63]
	v_fma_f64 v[66:67], v[241:242], v[219:220], v[66:67]
	v_fma_f64 v[82:83], v[243:244], v[219:220], -v[82:83]
	v_fma_f64 v[80:81], v[245:246], v[215:216], v[80:81]
	v_fma_f64 v[84:85], v[245:246], v[219:220], v[84:85]
	;; [unrolled: 1-line block ×3, first 2 shown]
	v_mul_f64_e32 v[223:224], v[229:230], v[221:222]
	s_delay_alu instid0(VALU_DEP_1) | instskip(SKIP_1) | instid1(VALU_DEP_1)
	v_fma_f64 v[52:53], v[227:228], v[219:220], -v[223:224]
	v_mul_f64_e32 v[223:224], v[227:228], v[221:222]
	v_fma_f64 v[54:55], v[229:230], v[219:220], v[223:224]
	ds_load_b128 v[223:226], v255 offset:3584
	ds_load_b128 v[231:234], v255 offset:3840
	scratch_load_b64 v[34:35], off, off offset:32 th:TH_LOAD_LU ; 8-byte Folded Reload
	s_wait_dscnt 0x1
	v_mul_f64_e32 v[56:57], v[229:230], v[225:226]
	s_wait_dscnt 0x0
	v_mul_f64_e32 v[60:61], v[229:230], v[233:234]
	v_mul_f64_e32 v[58:59], v[227:228], v[225:226]
	;; [unrolled: 1-line block ×8, first 2 shown]
	v_fma_f64 v[56:57], v[227:228], v[223:224], -v[56:57]
	v_fma_f64 v[60:61], v[227:228], v[231:232], -v[60:61]
	v_mul_f64_e32 v[227:228], v[227:228], v[233:234]
	v_fma_f64 v[58:59], v[229:230], v[223:224], v[58:59]
	v_fma_f64 v[68:69], v[239:240], v[223:224], -v[68:69]
	v_fma_f64 v[78:79], v[239:240], v[231:232], -v[78:79]
	v_fma_f64 v[70:71], v[241:242], v[223:224], v[70:71]
	v_fma_f64 v[86:87], v[243:244], v[223:224], -v[86:87]
	v_fma_f64 v[90:91], v[243:244], v[231:232], -v[90:91]
	v_fma_f64 v[88:89], v[245:246], v[223:224], v[88:89]
	v_fma_f64 v[227:228], v[229:230], v[231:232], v[227:228]
	v_mul_f64_e32 v[229:230], v[241:242], v[217:218]
	s_delay_alu instid0(VALU_DEP_1) | instskip(SKIP_1) | instid1(VALU_DEP_1)
	v_fma_f64 v[229:230], v[239:240], v[215:216], -v[229:230]
	v_mul_f64_e32 v[239:240], v[239:240], v[233:234]
	v_fma_f64 v[239:240], v[241:242], v[231:232], v[239:240]
	v_mul_f64_e32 v[241:242], v[245:246], v[217:218]
	s_delay_alu instid0(VALU_DEP_1) | instskip(SKIP_1) | instid1(VALU_DEP_1)
	v_fma_f64 v[241:242], v[243:244], v[215:216], -v[241:242]
	v_mul_f64_e32 v[243:244], v[243:244], v[233:234]
	v_fma_f64 v[243:244], v[245:246], v[231:232], v[243:244]
	v_mul_f64_e32 v[245:246], v[249:250], v[217:218]
	v_mul_f64_e32 v[217:218], v[247:248], v[217:218]
	s_delay_alu instid0(VALU_DEP_2) | instskip(NEXT) | instid1(VALU_DEP_2)
	v_fma_f64 v[245:246], v[247:248], v[215:216], -v[245:246]
	v_fma_f64 v[215:216], v[249:250], v[215:216], v[217:218]
	v_mul_f64_e32 v[217:218], v[249:250], v[221:222]
	v_mul_f64_e32 v[221:222], v[247:248], v[221:222]
	s_delay_alu instid0(VALU_DEP_2) | instskip(NEXT) | instid1(VALU_DEP_2)
	v_fma_f64 v[217:218], v[247:248], v[219:220], -v[217:218]
	;; [unrolled: 5-line block ×4, first 2 shown]
	v_fma_f64 v[231:232], v[249:250], v[231:232], v[233:234]
	s_wait_loadcnt 0x0
	v_add_f64_e32 v[233:234], v[32:33], v[34:35]
	scratch_load_b64 v[32:33], off, off offset:40 th:TH_LOAD_LU ; 8-byte Folded Reload
	s_wait_loadcnt 0x0
	v_add_f64_e32 v[247:248], v[32:33], v[28:29]
	scratch_load_b64 v[28:29], off, off offset:48 th:TH_LOAD_LU ; 8-byte Folded Reload
	;; [unrolled: 3-line block ×5, first 2 shown]
	v_add_f64_e32 v[0:1], v[0:1], v[150:151]
	s_delay_alu instid0(VALU_DEP_1) | instskip(NEXT) | instid1(VALU_DEP_1)
	v_add_f64_e32 v[0:1], v[0:1], v[138:139]
	v_add_f64_e32 v[0:1], v[0:1], v[56:57]
	s_wait_loadcnt 0x0
	v_add_f64_e32 v[2:3], v[28:29], v[2:3]
	scratch_load_b64 v[28:29], off, off offset:80 th:TH_LOAD_LU ; 8-byte Folded Reload
	v_add_f64_e32 v[2:3], v[152:153], v[2:3]
	s_delay_alu instid0(VALU_DEP_1) | instskip(NEXT) | instid1(VALU_DEP_1)
	v_add_f64_e32 v[2:3], v[136:137], v[2:3]
	v_add_f64_e32 v[2:3], v[58:59], v[2:3]
	s_wait_loadcnt 0x0
	v_add_f64_e32 v[4:5], v[4:5], v[28:29]
	scratch_load_b64 v[28:29], off, off offset:88 th:TH_LOAD_LU ; 8-byte Folded Reload
	;; [unrolled: 7-line block ×12, first 2 shown]
	v_add_f64_e32 v[24:25], v[24:25], v[174:175]
	s_delay_alu instid0(VALU_DEP_1) | instskip(NEXT) | instid1(VALU_DEP_1)
	v_add_f64_e32 v[24:25], v[24:25], v[116:117]
	v_add_f64_e32 v[24:25], v[24:25], v[241:242]
	s_wait_loadcnt 0x0
	v_add_f64_e32 v[26:27], v[28:29], v[26:27]
	s_clause 0x1
	scratch_load_b64 v[28:29], off, off offset:16 th:TH_LOAD_LU
	scratch_load_b64 v[32:33], off, off offset:176 th:TH_LOAD_LU
	v_add_f64_e32 v[26:27], v[176:177], v[26:27]
	s_delay_alu instid0(VALU_DEP_1) | instskip(NEXT) | instid1(VALU_DEP_1)
	v_add_f64_e32 v[26:27], v[114:115], v[26:27]
	v_add_f64_e32 v[26:27], v[80:81], v[26:27]
	s_wait_loadcnt 0x0
	v_add_f64_e32 v[28:29], v[28:29], v[32:33]
	scratch_load_b64 v[32:33], off, off offset:184 th:TH_LOAD_LU ; 8-byte Folded Reload
	v_add_f64_e32 v[28:29], v[28:29], v[178:179]
	s_delay_alu instid0(VALU_DEP_1) | instskip(NEXT) | instid1(VALU_DEP_1)
	v_add_f64_e32 v[28:29], v[28:29], v[112:113]
	v_add_f64_e32 v[28:29], v[28:29], v[82:83]
	s_wait_loadcnt 0x0
	v_add_f64_e32 v[30:31], v[32:33], v[30:31]
	s_clause 0x1
	scratch_load_b64 v[32:33], off, off offset:8 th:TH_LOAD_LU
	scratch_load_b64 v[34:35], off, off offset:192 th:TH_LOAD_LU
	v_add_f64_e32 v[30:31], v[180:181], v[30:31]
	s_delay_alu instid0(VALU_DEP_1) | instskip(NEXT) | instid1(VALU_DEP_1)
	v_add_f64_e32 v[30:31], v[110:111], v[30:31]
	v_add_f64_e32 v[30:31], v[84:85], v[30:31]
	s_wait_loadcnt 0x0
	v_add_f64_e32 v[32:33], v[32:33], v[34:35]
	scratch_load_b64 v[34:35], off, off offset:200 th:TH_LOAD_LU ; 8-byte Folded Reload
	v_add_f64_e32 v[32:33], v[32:33], v[182:183]
	s_delay_alu instid0(VALU_DEP_1) | instskip(NEXT) | instid1(VALU_DEP_1)
	v_add_f64_e32 v[32:33], v[32:33], v[108:109]
	v_add_f64_e32 v[32:33], v[32:33], v[86:87]
	s_wait_loadcnt 0x0
	v_add_f64_e32 v[34:35], v[34:35], v[36:37]
	s_clause 0x1
	scratch_load_b64 v[36:37], off, off th:TH_LOAD_LU
	scratch_load_b64 v[251:252], off, off offset:208 th:TH_LOAD_LU
	v_add_f64_e32 v[34:35], v[184:185], v[34:35]
	s_delay_alu instid0(VALU_DEP_1) | instskip(SKIP_4) | instid1(VALU_DEP_1)
	v_add_f64_e32 v[34:35], v[106:107], v[34:35]
	s_wait_loadcnt 0x0
	v_add_f64_e32 v[36:37], v[36:37], v[251:252]
	scratch_load_b64 v[251:252], off, off offset:216 th:TH_LOAD_LU ; 8-byte Folded Reload
	v_add_f64_e32 v[36:37], v[36:37], v[186:187]
	v_add_f64_e32 v[36:37], v[36:37], v[104:105]
	s_wait_loadcnt 0x0
	v_add_f64_e32 v[38:39], v[251:252], v[38:39]
	scratch_load_b64 v[251:252], off, off offset:224 th:TH_LOAD_LU ; 8-byte Folded Reload
	v_add_f64_e32 v[38:39], v[188:189], v[38:39]
	s_delay_alu instid0(VALU_DEP_1) | instskip(NEXT) | instid1(VALU_DEP_1)
	v_add_f64_e32 v[38:39], v[102:103], v[38:39]
	v_add_f64_e32 v[38:39], v[243:244], v[38:39]
	s_wait_loadcnt 0x0
	v_add_f64_e32 v[40:41], v[40:41], v[251:252]
	scratch_load_b64 v[251:252], off, off offset:232 th:TH_LOAD_LU ; 8-byte Folded Reload
	v_add_f64_e32 v[40:41], v[40:41], v[190:191]
	s_delay_alu instid0(VALU_DEP_1) | instskip(NEXT) | instid1(VALU_DEP_1)
	;; [unrolled: 7-line block ×6, first 2 shown]
	v_add_f64_e32 v[74:75], v[74:75], v[92:93]
	v_add_f64_e32 v[183:184], v[74:75], v[221:222]
	s_wait_loadcnt 0x0
	v_add_f64_e32 v[251:252], v[251:252], v[253:254]
	scratch_load_b64 v[253:254], off, off offset:272 th:TH_LOAD_LU ; 8-byte Folded Reload
	v_add_f64_e32 v[150:151], v[200:201], v[251:252]
	s_delay_alu instid0(VALU_DEP_1)
	v_add_f64_e32 v[72:73], v[72:73], v[150:151]
	s_wait_loadcnt 0x0
	v_add_f64_e32 v[253:254], v[211:212], v[253:254]
	s_clause 0x2
	scratch_load_b64 v[211:212], off, off offset:24 th:TH_LOAD_LU
	scratch_load_b64 v[148:149], off, off offset:280 th:TH_LOAD_LU
	scratch_load_b32 v139, off, off offset:320
	v_add_f64_e32 v[152:153], v[253:254], v[202:203]
	v_add_f64_e32 v[253:254], v[223:224], v[72:73]
	s_delay_alu instid0(VALU_DEP_2)
	v_add_f64_e32 v[50:51], v[152:153], v[50:51]
	s_wait_loadcnt 0x1
	v_add_f64_e32 v[211:212], v[148:149], v[211:212]
	scratch_load_b64 v[148:149], off, off offset:288 th:TH_LOAD_LU ; 8-byte Folded Reload
	v_add_f64_e32 v[154:155], v[204:205], v[211:212]
	v_add_f64_e32 v[211:212], v[50:51], v[225:226]
	s_delay_alu instid0(VALU_DEP_2)
	v_add_f64_e32 v[92:93], v[235:236], v[154:155]
	v_add_f64_e32 v[153:154], v[88:89], v[34:35]
	;; [unrolled: 1-line block ×3, first 2 shown]
	s_clause 0x2
	scratch_store_b64 off, v[28:29], off offset:16
	scratch_store_b64 off, v[32:33], off offset:8
	scratch_store_b64 off, v[34:35], off
	s_wait_loadcnt 0x0
	v_add_f64_e32 v[233:234], v[233:234], v[148:149]
	scratch_load_b64 v[148:149], off, off offset:296 th:TH_LOAD_LU ; 8-byte Folded Reload
	v_add_f64_e32 v[146:147], v[233:234], v[146:147]
	s_delay_alu instid0(VALU_DEP_1) | instskip(SKIP_4) | instid1(VALU_DEP_1)
	v_add_f64_e32 v[185:186], v[146:147], v[237:238]
	s_wait_loadcnt 0x0
	v_add_f64_e32 v[247:248], v[148:149], v[247:248]
	scratch_load_b64 v[148:149], off, off offset:304 th:TH_LOAD_LU ; 8-byte Folded Reload
	v_add_f64_e32 v[144:145], v[144:145], v[247:248]
	v_add_f64_e32 v[187:188], v[48:49], v[144:145]
	s_wait_loadcnt 0x0
	v_add_f64_e32 v[249:250], v[249:250], v[148:149]
	scratch_load_b64 v[148:149], off, off offset:312 th:TH_LOAD_LU ; 8-byte Folded Reload
	v_add_f64_e32 v[142:143], v[249:250], v[142:143]
	s_wait_loadcnt 0x0
	v_add_f64_e32 v[148:149], v[148:149], v[206:207]
	s_delay_alu instid0(VALU_DEP_2) | instskip(NEXT) | instid1(VALU_DEP_2)
	v_add_f64_e32 v[206:207], v[142:143], v[52:53]
	v_add_f64_e32 v[140:141], v[140:141], v[148:149]
	s_delay_alu instid0(VALU_DEP_1)
	v_add_f64_e32 v[251:252], v[54:55], v[140:141]
	scratch_load_b32 v140, off, off offset:324 ; 4-byte Folded Reload
	v_add_f64_e32 v[141:142], v[231:232], v[92:93]
	s_wait_loadcnt 0x0
	s_wait_storecnt 0x0
	s_barrier_signal -1
	s_barrier_wait -1
	global_inv scope:SCOPE_SE
	s_wait_alu 0xfffe
	s_cbranch_vccnz .LBB264_5
; %bb.6:                                ;   in Loop: Header=BB264_3 Depth=1
	s_clause 0x1
	scratch_load_b64 v[167:168], off, off offset:328
	scratch_load_b64 v[36:37], off, off offset:336
	v_mov_b32_e32 v138, 0
	s_branch .LBB264_8
.LBB264_7:                              ;   in Loop: Header=BB264_3 Depth=1
	v_mov_b32_e32 v28, 0
	v_dual_mov_b32 v32, 0 :: v_dual_mov_b32 v153, 0
	v_dual_mov_b32 v34, 0 :: v_dual_mov_b32 v29, 0
	v_dual_mov_b32 v30, 0 :: v_dual_mov_b32 v33, 0
	v_dual_mov_b32 v154, 0 :: v_dual_mov_b32 v35, 0
	v_dual_mov_b32 v38, 0 :: v_dual_mov_b32 v185, 0
	v_mov_b32_e32 v0, 0
	v_mov_b32_e32 v4, 0
	;; [unrolled: 1-line block ×8, first 2 shown]
	v_dual_mov_b32 v44, 0 :: v_dual_mov_b32 v183, 0
	v_dual_mov_b32 v211, 0 :: v_dual_mov_b32 v186, 0
	;; [unrolled: 1-line block ×3, first 2 shown]
	v_mov_b32_e32 v251, 0
	v_dual_mov_b32 v1, 0 :: v_dual_mov_b32 v2, 0
	v_dual_mov_b32 v5, 0 :: v_dual_mov_b32 v6, 0
	;; [unrolled: 1-line block ×13, first 2 shown]
	v_mov_b32_e32 v7, 0
	v_mov_b32_e32 v11, 0
	;; [unrolled: 1-line block ×6, first 2 shown]
	s_clause 0x2
	scratch_store_b64 off, v[28:29], off offset:16
	scratch_store_b64 off, v[32:33], off offset:8
	scratch_store_b64 off, v[34:35], off
	v_mov_b32_e32 v31, 0
	v_mov_b32_e32 v39, 0
	;; [unrolled: 1-line block ×3, first 2 shown]
	v_dual_mov_b32 v47, 0 :: v_dual_mov_b32 v254, 0
	v_mov_b32_e32 v142, 0
.LBB264_8:                              ;   in Loop: Header=BB264_3 Depth=1
	s_wait_loadcnt 0x0
	v_add_co_u32 v76, vcc_lo, v36, s4
	v_dual_mov_b32 v160, v23 :: v_dual_mov_b32 v159, v22
	v_dual_mov_b32 v158, v27 :: v_dual_mov_b32 v157, v26
	;; [unrolled: 1-line block ×15, first 2 shown]
	s_wait_alu 0xfffd
	v_add_co_ci_u32_e64 v77, null, s5, v37, vcc_lo
	s_and_not1_b32 vcc_lo, exec_lo, s23
	s_mov_b32 s1, -1
                                        ; implicit-def: $vgpr72_vgpr73
                                        ; implicit-def: $vgpr74_vgpr75
	s_wait_alu 0xfffe
	s_cbranch_vccz .LBB264_10
; %bb.9:                                ;   in Loop: Header=BB264_3 Depth=1
	s_and_not1_b32 vcc_lo, exec_lo, s1
	s_wait_alu 0xfffe
	s_cbranch_vccnz .LBB264_2
	s_branch .LBB264_11
.LBB264_10:                             ;   in Loop: Header=BB264_3 Depth=1
	v_mul_f64_e32 v[0:1], s[40:41], v[187:188]
	v_dual_mov_b32 v10, v179 :: v_dual_mov_b32 v11, v180
	v_dual_mov_b32 v14, v175 :: v_dual_mov_b32 v15, v176
	;; [unrolled: 1-line block ×3, first 2 shown]
	s_delay_alu instid0(VALU_DEP_3) | instskip(SKIP_1) | instid1(VALU_DEP_4)
	v_mul_f64_e32 v[8:9], s[40:41], v[10:11]
	v_mul_f64_e32 v[10:11], s[38:39], v[10:11]
	;; [unrolled: 1-line block ×4, first 2 shown]
	v_dual_mov_b32 v75, v17 :: v_dual_mov_b32 v74, v16
	v_mul_f64_e32 v[16:17], s[40:41], v[18:19]
	v_mul_f64_e32 v[18:19], s[38:39], v[18:19]
	v_dual_mov_b32 v22, v165 :: v_dual_mov_b32 v23, v166
	v_dual_mov_b32 v73, v21 :: v_dual_mov_b32 v72, v20
	s_clause 0x1
	scratch_load_b64 v[32:33], off, off offset:352
	scratch_load_b64 v[34:35], off, off offset:344
	v_mul_f64_e32 v[20:21], s[40:41], v[22:23]
	v_mul_f64_e32 v[22:23], s[38:39], v[22:23]
	v_mul_f64_e32 v[2:3], s[38:39], v[187:188]
	v_mul_f64_e32 v[4:5], s[40:41], v[251:252]
	v_mul_f64_e32 v[6:7], s[38:39], v[251:252]
	v_dual_mov_b32 v26, v161 :: v_dual_mov_b32 v27, v162
	v_dual_mov_b32 v42, v155 :: v_dual_mov_b32 v43, v156
	;; [unrolled: 1-line block ×3, first 2 shown]
	s_delay_alu instid0(VALU_DEP_3)
	v_mul_f64_e32 v[24:25], s[40:41], v[26:27]
	v_dual_mov_b32 v38, v157 :: v_dual_mov_b32 v39, v158
	v_dual_mov_b32 v63, v41 :: v_dual_mov_b32 v62, v40
	v_mul_f64_e32 v[40:41], s[40:41], v[42:43]
	v_fma_f64 v[78:79], s[38:39], v[185:186], -v[0:1]
	v_dual_mov_b32 v0, v177 :: v_dual_mov_b32 v1, v178
	v_dual_mov_b32 v54, v149 :: v_dual_mov_b32 v55, v150
	;; [unrolled: 1-line block ×4, first 2 shown]
	s_delay_alu instid0(VALU_DEP_4) | instskip(SKIP_4) | instid1(VALU_DEP_4)
	v_fma_f64 v[88:89], s[40:41], v[0:1], v[10:11]
	v_dual_mov_b32 v10, v173 :: v_dual_mov_b32 v11, v174
	v_mul_f64_e32 v[44:45], s[40:41], v[153:154]
	v_dual_mov_b32 v50, v151 :: v_dual_mov_b32 v51, v152
	v_dual_mov_b32 v60, v147 :: v_dual_mov_b32 v61, v148
	v_fma_f64 v[90:91], s[38:39], v[10:11], -v[12:13]
	v_fma_f64 v[92:93], s[40:41], v[10:11], v[14:15]
	v_dual_mov_b32 v10, v169 :: v_dual_mov_b32 v11, v170
	scratch_load_b64 v[12:13], off, off     ; 8-byte Folded Reload
	v_mul_f64_e32 v[26:27], s[38:39], v[26:27]
	v_mul_f64_e32 v[36:37], s[40:41], v[38:39]
	;; [unrolled: 1-line block ×3, first 2 shown]
	v_fma_f64 v[94:95], s[38:39], v[10:11], -v[16:17]
	v_fma_f64 v[96:97], s[40:41], v[10:11], v[18:19]
	v_dual_mov_b32 v10, v163 :: v_dual_mov_b32 v11, v164
	scratch_load_b64 v[18:19], off, off offset:8 ; 8-byte Folded Reload
	v_mul_f64_e32 v[46:47], s[38:39], v[153:154]
	v_mul_f64_e32 v[52:53], s[40:41], v[54:55]
	;; [unrolled: 1-line block ×3, first 2 shown]
	v_fma_f64 v[100:101], s[40:41], v[10:11], v[22:23]
	scratch_load_b64 v[22:23], off, off offset:16 ; 8-byte Folded Reload
	v_fma_f64 v[80:81], s[40:41], v[185:186], v[2:3]
	v_fma_f64 v[82:83], s[38:39], v[206:207], -v[4:5]
	v_fma_f64 v[86:87], s[38:39], v[0:1], -v[8:9]
	v_mul_f64_e32 v[2:3], s[40:41], v[253:254]
	v_mul_f64_e32 v[4:5], s[38:39], v[253:254]
	v_mul_f64_e32 v[8:9], s[38:39], v[141:142]
	v_mul_f64_e32 v[28:29], s[40:41], v[30:31]
	v_mul_f64_e32 v[30:31], s[38:39], v[30:31]
	v_mul_f64_e32 v[42:43], s[38:39], v[42:43]
	v_mul_f64_e32 v[48:49], s[40:41], v[50:51]
	v_mul_f64_e32 v[50:51], s[38:39], v[50:51]
	v_mul_f64_e32 v[56:57], s[40:41], v[60:61]
	v_fma_f64 v[84:85], s[40:41], v[206:207], v[6:7]
	v_mul_f64_e32 v[0:1], s[38:39], v[60:61]
	v_mul_f64_e32 v[6:7], s[40:41], v[141:142]
	v_dual_mov_b32 v16, v74 :: v_dual_mov_b32 v17, v75
	v_fma_f64 v[98:99], s[38:39], v[10:11], -v[20:21]
	v_dual_mov_b32 v20, v72 :: v_dual_mov_b32 v21, v73
	s_delay_alu instid0(VALU_DEP_3) | instskip(SKIP_2) | instid1(VALU_DEP_2)
	v_fma_f64 v[102:103], s[38:39], v[16:17], -v[24:25]
	v_dual_mov_b32 v24, v70 :: v_dual_mov_b32 v25, v71
	v_fma_f64 v[104:105], s[40:41], v[16:17], v[26:27]
	v_fma_f64 v[110:111], s[38:39], v[24:25], -v[36:37]
	v_fma_f64 v[112:113], s[40:41], v[24:25], v[38:39]
	v_fma_f64 v[134:135], s[38:39], v[183:184], -v[2:3]
	v_fma_f64 v[136:137], s[40:41], v[183:184], v[4:5]
	v_fma_f64 v[72:73], s[40:41], v[211:212], v[8:9]
	v_fma_f64 v[106:107], s[38:39], v[20:21], -v[28:29]
	v_fma_f64 v[108:109], s[40:41], v[20:21], v[30:31]
	s_wait_loadcnt 0x4
	v_lshlrev_b64_e32 v[32:33], 4, v[32:33]
	s_wait_loadcnt 0x3
	v_lshlrev_b64_e32 v[34:35], 4, v[34:35]
	s_delay_alu instid0(VALU_DEP_2) | instskip(SKIP_1) | instid1(VALU_DEP_3)
	v_add_co_u32 v32, vcc_lo, v76, v32
	s_wait_alu 0xfffd
	v_add_co_ci_u32_e64 v33, null, v77, v33, vcc_lo
	s_delay_alu instid0(VALU_DEP_2) | instskip(SKIP_1) | instid1(VALU_DEP_2)
	v_add_co_u32 v10, vcc_lo, v32, v34
	s_wait_alu 0xfffd
	v_add_co_ci_u32_e64 v11, null, v33, v35, vcc_lo
	v_add_co_u32 v14, vcc_lo, v32, s18
	s_wait_alu 0xfffd
	v_add_co_ci_u32_e64 v15, null, s19, v33, vcc_lo
	s_wait_loadcnt 0x2
	v_fma_f64 v[122:123], s[38:39], v[12:13], -v[48:49]
	v_fma_f64 v[124:125], s[40:41], v[12:13], v[50:51]
	v_add_co_u32 v12, vcc_lo, v14, v34
	s_wait_alu 0xfffd
	v_add_co_ci_u32_e64 v13, null, v15, v35, vcc_lo
	v_add_co_u32 v4, vcc_lo, v14, s18
	s_wait_loadcnt 0x1
	v_fma_f64 v[118:119], s[38:39], v[18:19], -v[44:45]
	v_dual_mov_b32 v44, v58 :: v_dual_mov_b32 v45, v59
	v_fma_f64 v[120:121], s[40:41], v[18:19], v[46:47]
	s_wait_alu 0xfffd
	v_add_co_ci_u32_e64 v5, null, s19, v15, vcc_lo
	s_wait_loadcnt 0x0
	v_fma_f64 v[114:115], s[38:39], v[22:23], -v[40:41]
	v_dual_mov_b32 v40, v62 :: v_dual_mov_b32 v41, v63
	v_fma_f64 v[116:117], s[40:41], v[22:23], v[42:43]
	v_fma_f64 v[130:131], s[38:39], v[44:45], -v[56:57]
	v_fma_f64 v[132:133], s[40:41], v[44:45], v[0:1]
	v_fma_f64 v[0:1], s[38:39], v[211:212], -v[6:7]
	v_fma_f64 v[126:127], s[38:39], v[40:41], -v[52:53]
	v_fma_f64 v[128:129], s[40:41], v[40:41], v[54:55]
	v_add_co_u32 v2, vcc_lo, v4, v34
	s_wait_alu 0xfffd
	v_add_co_ci_u32_e64 v3, null, v5, v35, vcc_lo
	v_add_co_u32 v4, vcc_lo, v4, s18
	s_wait_alu 0xfffd
	v_add_co_ci_u32_e64 v5, null, s19, v5, vcc_lo
	s_clause 0x5
	flat_store_b128 v[10:11], v[78:81]
	flat_store_b128 v[10:11], v[82:85] offset:256
	flat_store_b128 v[10:11], v[86:89] offset:512
	;; [unrolled: 1-line block ×3, first 2 shown]
	flat_store_b128 v[12:13], v[94:97]
	flat_store_b128 v[12:13], v[98:101] offset:256
	v_add_co_u32 v4, vcc_lo, v4, v34
	s_wait_alu 0xfffd
	v_add_co_ci_u32_e64 v5, null, v5, v35, vcc_lo
	s_clause 0x1
	flat_store_b128 v[12:13], v[102:105] offset:512
	flat_store_b128 v[12:13], v[106:109] offset:768
	v_add_co_u32 v74, vcc_lo, 0x300, v4
	s_wait_alu 0xfffd
	v_add_co_ci_u32_e64 v75, null, 0, v5, vcc_lo
	s_clause 0x7
	flat_store_b128 v[2:3], v[110:113]
	flat_store_b128 v[2:3], v[114:117] offset:256
	flat_store_b128 v[2:3], v[118:121] offset:512
	;; [unrolled: 1-line block ×3, first 2 shown]
	flat_store_b128 v[4:5], v[126:129]
	flat_store_b128 v[4:5], v[130:133] offset:256
	flat_store_b128 v[4:5], v[134:137] offset:512
	flat_store_b64 v[4:5], v[0:1] offset:768
	s_cbranch_execnz .LBB264_2
.LBB264_11:                             ;   in Loop: Header=BB264_3 Depth=1
	s_clause 0x2
	scratch_load_b64 v[0:1], off, off offset:344
	scratch_load_b64 v[4:5], off, off offset:376
	scratch_load_b64 v[22:23], off, off offset:16 th:TH_LOAD_LU
	v_add_co_u32 v2, vcc_lo, v167, s12
	s_wait_alu 0xfffd
	v_add_co_ci_u32_e64 v3, null, s13, v168, vcc_lo
	v_mul_f64_e32 v[6:7], s[38:39], v[187:188]
	v_dual_mov_b32 v19, v17 :: v_dual_mov_b32 v18, v16
	s_delay_alu instid0(VALU_DEP_2)
	v_fma_f64 v[6:7], s[40:41], v[185:186], v[6:7]
	s_wait_loadcnt 0x2
	v_lshlrev_b64_e32 v[0:1], 4, v[0:1]
	s_wait_loadcnt 0x1
	v_add_co_u32 v14, vcc_lo, v2, v4
	s_wait_alu 0xfffd
	v_add_co_ci_u32_e64 v15, null, v3, v5, vcc_lo
	v_mul_f64_e32 v[4:5], s[40:41], v[187:188]
	s_delay_alu instid0(VALU_DEP_3) | instskip(SKIP_1) | instid1(VALU_DEP_3)
	v_add_co_u32 v2, vcc_lo, v14, v0
	s_wait_alu 0xfffd
	v_add_co_ci_u32_e64 v3, null, v15, v1, vcc_lo
	flat_load_b128 v[72:75], v[2:3]
	v_fma_f64 v[4:5], s[38:39], v[185:186], -v[4:5]
	s_wait_loadcnt_dscnt 0x0
	v_mul_f64_e32 v[8:9], s[8:9], v[74:75]
	v_mul_f64_e32 v[10:11], s[6:7], v[74:75]
	s_delay_alu instid0(VALU_DEP_2) | instskip(NEXT) | instid1(VALU_DEP_2)
	v_fma_f64 v[8:9], s[6:7], v[72:73], -v[8:9]
	v_fma_f64 v[10:11], s[8:9], v[72:73], v[10:11]
	s_delay_alu instid0(VALU_DEP_2) | instskip(SKIP_4) | instid1(VALU_DEP_2)
	v_add_f64_e32 v[68:69], v[4:5], v[8:9]
	scratch_load_b64 v[4:5], off, off offset:352 ; 8-byte Folded Reload
	v_add_f64_e32 v[70:71], v[6:7], v[10:11]
	v_mul_f64_e32 v[6:7], s[40:41], v[251:252]
	v_mul_f64_e32 v[8:9], s[38:39], v[251:252]
	v_fma_f64 v[6:7], s[38:39], v[206:207], -v[6:7]
	s_delay_alu instid0(VALU_DEP_2) | instskip(SKIP_2) | instid1(VALU_DEP_1)
	v_fma_f64 v[8:9], s[40:41], v[206:207], v[8:9]
	s_wait_loadcnt 0x0
	v_lshlrev_b64_e32 v[4:5], 4, v[4:5]
	v_add_co_u32 v16, vcc_lo, v76, v4
	s_wait_alu 0xfffd
	s_delay_alu instid0(VALU_DEP_2) | instskip(NEXT) | instid1(VALU_DEP_2)
	v_add_co_ci_u32_e64 v17, null, v77, v5, vcc_lo
	v_add_co_u32 v4, vcc_lo, v16, v0
	s_wait_alu 0xfffd
	s_delay_alu instid0(VALU_DEP_2)
	v_add_co_ci_u32_e64 v5, null, v17, v1, vcc_lo
	v_add_co_u32 v14, vcc_lo, v14, s14
	s_wait_alu 0xfffd
	v_add_co_ci_u32_e64 v15, null, s15, v15, vcc_lo
	flat_store_b128 v[4:5], v[68:71]
	flat_load_b128 v[68:71], v[2:3] offset:256
	s_wait_loadcnt_dscnt 0x0
	v_mul_f64_e32 v[10:11], s[8:9], v[70:71]
	v_mul_f64_e32 v[12:13], s[6:7], v[70:71]
	s_delay_alu instid0(VALU_DEP_2) | instskip(NEXT) | instid1(VALU_DEP_2)
	v_fma_f64 v[10:11], s[6:7], v[68:69], -v[10:11]
	v_fma_f64 v[12:13], s[8:9], v[68:69], v[12:13]
	s_delay_alu instid0(VALU_DEP_2) | instskip(NEXT) | instid1(VALU_DEP_2)
	v_add_f64_e32 v[64:65], v[6:7], v[10:11]
	v_add_f64_e32 v[66:67], v[8:9], v[12:13]
	v_mul_f64_e32 v[6:7], s[40:41], v[179:180]
	v_mul_f64_e32 v[8:9], s[38:39], v[179:180]
	flat_store_b128 v[4:5], v[64:67] offset:256
	flat_load_b128 v[64:67], v[2:3] offset:512
	v_fma_f64 v[6:7], s[38:39], v[177:178], -v[6:7]
	v_fma_f64 v[8:9], s[40:41], v[177:178], v[8:9]
	s_wait_loadcnt_dscnt 0x0
	v_mul_f64_e32 v[10:11], s[8:9], v[66:67]
	v_mul_f64_e32 v[12:13], s[6:7], v[66:67]
	s_delay_alu instid0(VALU_DEP_2) | instskip(NEXT) | instid1(VALU_DEP_2)
	v_fma_f64 v[10:11], s[6:7], v[64:65], -v[10:11]
	v_fma_f64 v[12:13], s[8:9], v[64:65], v[12:13]
	s_delay_alu instid0(VALU_DEP_2) | instskip(NEXT) | instid1(VALU_DEP_2)
	v_add_f64_e32 v[60:61], v[6:7], v[10:11]
	v_add_f64_e32 v[62:63], v[8:9], v[12:13]
	v_mul_f64_e32 v[6:7], s[38:39], v[175:176]
	flat_store_b128 v[4:5], v[60:63] offset:512
	flat_load_b128 v[60:63], v[2:3] offset:768
	v_mul_f64_e32 v[2:3], s[40:41], v[175:176]
	v_fma_f64 v[6:7], s[40:41], v[173:174], v[6:7]
	s_delay_alu instid0(VALU_DEP_2) | instskip(SKIP_3) | instid1(VALU_DEP_2)
	v_fma_f64 v[2:3], s[38:39], v[173:174], -v[2:3]
	s_wait_loadcnt_dscnt 0x0
	v_mul_f64_e32 v[8:9], s[8:9], v[62:63]
	v_mul_f64_e32 v[10:11], s[6:7], v[62:63]
	v_fma_f64 v[8:9], s[6:7], v[60:61], -v[8:9]
	s_delay_alu instid0(VALU_DEP_2) | instskip(NEXT) | instid1(VALU_DEP_2)
	v_fma_f64 v[10:11], s[8:9], v[60:61], v[10:11]
	v_add_f64_e32 v[56:57], v[2:3], v[8:9]
	s_delay_alu instid0(VALU_DEP_2)
	v_add_f64_e32 v[58:59], v[6:7], v[10:11]
	v_add_co_u32 v2, vcc_lo, v14, v0
	s_wait_alu 0xfffd
	v_add_co_ci_u32_e64 v3, null, v15, v1, vcc_lo
	v_mul_f64_e32 v[6:7], s[38:39], v[171:172]
	v_add_co_u32 v16, vcc_lo, v16, s18
	s_wait_alu 0xfffd
	v_add_co_ci_u32_e64 v17, null, s19, v17, vcc_lo
	flat_store_b128 v[4:5], v[56:59] offset:768
	flat_load_b128 v[56:59], v[2:3]
	v_mul_f64_e32 v[4:5], s[40:41], v[171:172]
	v_fma_f64 v[6:7], s[40:41], v[169:170], v[6:7]
	s_delay_alu instid0(VALU_DEP_2) | instskip(SKIP_3) | instid1(VALU_DEP_2)
	v_fma_f64 v[4:5], s[38:39], v[169:170], -v[4:5]
	s_wait_loadcnt_dscnt 0x0
	v_mul_f64_e32 v[8:9], s[8:9], v[58:59]
	v_mul_f64_e32 v[10:11], s[6:7], v[58:59]
	v_fma_f64 v[8:9], s[6:7], v[56:57], -v[8:9]
	s_delay_alu instid0(VALU_DEP_2) | instskip(NEXT) | instid1(VALU_DEP_2)
	v_fma_f64 v[10:11], s[8:9], v[56:57], v[10:11]
	v_add_f64_e32 v[50:51], v[4:5], v[8:9]
	s_delay_alu instid0(VALU_DEP_2)
	v_add_f64_e32 v[52:53], v[6:7], v[10:11]
	v_add_co_u32 v4, vcc_lo, v16, v0
	s_wait_alu 0xfffd
	v_add_co_ci_u32_e64 v5, null, v17, v1, vcc_lo
	v_mul_f64_e32 v[6:7], s[40:41], v[165:166]
	v_mul_f64_e32 v[8:9], s[38:39], v[165:166]
	v_add_co_u32 v14, vcc_lo, v14, s14
	s_wait_alu 0xfffd
	v_add_co_ci_u32_e64 v15, null, s15, v15, vcc_lo
	flat_store_b128 v[4:5], v[50:53]
	flat_load_b128 v[50:53], v[2:3] offset:256
	v_fma_f64 v[6:7], s[38:39], v[163:164], -v[6:7]
	v_fma_f64 v[8:9], s[40:41], v[163:164], v[8:9]
	s_wait_loadcnt_dscnt 0x0
	v_mul_f64_e32 v[10:11], s[8:9], v[52:53]
	v_mul_f64_e32 v[12:13], s[6:7], v[52:53]
	s_delay_alu instid0(VALU_DEP_2) | instskip(NEXT) | instid1(VALU_DEP_2)
	v_fma_f64 v[10:11], s[6:7], v[50:51], -v[10:11]
	v_fma_f64 v[12:13], s[8:9], v[50:51], v[12:13]
	s_delay_alu instid0(VALU_DEP_2) | instskip(NEXT) | instid1(VALU_DEP_2)
	v_add_f64_e32 v[46:47], v[6:7], v[10:11]
	v_add_f64_e32 v[48:49], v[8:9], v[12:13]
	v_mul_f64_e32 v[6:7], s[40:41], v[161:162]
	v_mul_f64_e32 v[8:9], s[38:39], v[161:162]
	flat_store_b128 v[4:5], v[46:49] offset:256
	flat_load_b128 v[46:49], v[2:3] offset:512
	v_fma_f64 v[6:7], s[38:39], v[18:19], -v[6:7]
	v_fma_f64 v[8:9], s[40:41], v[18:19], v[8:9]
	v_dual_mov_b32 v18, v40 :: v_dual_mov_b32 v19, v41
	s_wait_loadcnt_dscnt 0x0
	v_mul_f64_e32 v[10:11], s[8:9], v[48:49]
	v_mul_f64_e32 v[12:13], s[6:7], v[48:49]
	s_delay_alu instid0(VALU_DEP_2) | instskip(NEXT) | instid1(VALU_DEP_2)
	v_fma_f64 v[10:11], s[6:7], v[46:47], -v[10:11]
	v_fma_f64 v[12:13], s[8:9], v[46:47], v[12:13]
	v_dual_mov_b32 v47, v45 :: v_dual_mov_b32 v46, v44
	s_delay_alu instid0(VALU_DEP_3) | instskip(NEXT) | instid1(VALU_DEP_3)
	v_add_f64_e32 v[42:43], v[6:7], v[10:11]
	v_add_f64_e32 v[44:45], v[8:9], v[12:13]
	v_mul_f64_e32 v[6:7], s[38:39], v[159:160]
	flat_store_b128 v[4:5], v[42:45] offset:512
	flat_load_b128 v[42:45], v[2:3] offset:768
	v_mul_f64_e32 v[2:3], s[40:41], v[159:160]
	v_fma_f64 v[6:7], s[40:41], v[20:21], v[6:7]
	s_delay_alu instid0(VALU_DEP_2) | instskip(SKIP_4) | instid1(VALU_DEP_2)
	v_fma_f64 v[2:3], s[38:39], v[20:21], -v[2:3]
	scratch_load_b64 v[20:21], off, off th:TH_LOAD_LU ; 8-byte Folded Reload
	s_wait_loadcnt_dscnt 0x100
	v_mul_f64_e32 v[8:9], s[8:9], v[44:45]
	v_mul_f64_e32 v[10:11], s[6:7], v[44:45]
	v_fma_f64 v[8:9], s[6:7], v[42:43], -v[8:9]
	s_delay_alu instid0(VALU_DEP_2) | instskip(NEXT) | instid1(VALU_DEP_2)
	v_fma_f64 v[10:11], s[8:9], v[42:43], v[10:11]
	v_add_f64_e32 v[38:39], v[2:3], v[8:9]
	s_delay_alu instid0(VALU_DEP_2)
	v_add_f64_e32 v[40:41], v[6:7], v[10:11]
	v_add_co_u32 v2, vcc_lo, v14, v0
	s_wait_alu 0xfffd
	v_add_co_ci_u32_e64 v3, null, v15, v1, vcc_lo
	v_mul_f64_e32 v[6:7], s[38:39], v[157:158]
	v_add_co_u32 v16, vcc_lo, v16, s18
	s_wait_alu 0xfffd
	v_add_co_ci_u32_e64 v17, null, s19, v17, vcc_lo
	flat_store_b128 v[4:5], v[38:41] offset:768
	flat_load_b128 v[38:41], v[2:3]
	v_mul_f64_e32 v[4:5], s[40:41], v[157:158]
	v_fma_f64 v[6:7], s[40:41], v[24:25], v[6:7]
	s_delay_alu instid0(VALU_DEP_2) | instskip(SKIP_3) | instid1(VALU_DEP_2)
	v_fma_f64 v[4:5], s[38:39], v[24:25], -v[4:5]
	s_wait_loadcnt_dscnt 0x0
	v_mul_f64_e32 v[8:9], s[8:9], v[40:41]
	v_mul_f64_e32 v[10:11], s[6:7], v[40:41]
	v_fma_f64 v[8:9], s[6:7], v[38:39], -v[8:9]
	s_delay_alu instid0(VALU_DEP_2) | instskip(NEXT) | instid1(VALU_DEP_2)
	v_fma_f64 v[10:11], s[8:9], v[38:39], v[10:11]
	v_add_f64_e32 v[34:35], v[4:5], v[8:9]
	s_delay_alu instid0(VALU_DEP_2)
	v_add_f64_e32 v[36:37], v[6:7], v[10:11]
	v_add_co_u32 v4, vcc_lo, v16, v0
	s_wait_alu 0xfffd
	v_add_co_ci_u32_e64 v5, null, v17, v1, vcc_lo
	v_mul_f64_e32 v[6:7], s[40:41], v[155:156]
	v_mul_f64_e32 v[8:9], s[38:39], v[155:156]
	flat_store_b128 v[4:5], v[34:37]
	flat_load_b128 v[34:37], v[2:3] offset:256
	v_fma_f64 v[6:7], s[38:39], v[22:23], -v[6:7]
	v_fma_f64 v[8:9], s[40:41], v[22:23], v[8:9]
	scratch_load_b64 v[22:23], off, off offset:8 th:TH_LOAD_LU ; 8-byte Folded Reload
	s_wait_loadcnt_dscnt 0x100
	v_mul_f64_e32 v[10:11], s[8:9], v[36:37]
	v_mul_f64_e32 v[12:13], s[6:7], v[36:37]
	s_delay_alu instid0(VALU_DEP_2) | instskip(NEXT) | instid1(VALU_DEP_2)
	v_fma_f64 v[10:11], s[6:7], v[34:35], -v[10:11]
	v_fma_f64 v[12:13], s[8:9], v[34:35], v[12:13]
	s_delay_alu instid0(VALU_DEP_2) | instskip(NEXT) | instid1(VALU_DEP_2)
	v_add_f64_e32 v[30:31], v[6:7], v[10:11]
	v_add_f64_e32 v[32:33], v[8:9], v[12:13]
	v_mul_f64_e32 v[6:7], s[40:41], v[153:154]
	v_mul_f64_e32 v[8:9], s[38:39], v[153:154]
	flat_store_b128 v[4:5], v[30:33] offset:256
	flat_load_b128 v[30:33], v[2:3] offset:512
	s_wait_loadcnt 0x1
	v_fma_f64 v[6:7], s[38:39], v[22:23], -v[6:7]
	v_fma_f64 v[8:9], s[40:41], v[22:23], v[8:9]
	s_wait_loadcnt_dscnt 0x0
	v_mul_f64_e32 v[10:11], s[8:9], v[32:33]
	v_mul_f64_e32 v[12:13], s[6:7], v[32:33]
	s_delay_alu instid0(VALU_DEP_2) | instskip(NEXT) | instid1(VALU_DEP_2)
	v_fma_f64 v[10:11], s[6:7], v[30:31], -v[10:11]
	v_fma_f64 v[12:13], s[8:9], v[30:31], v[12:13]
	s_delay_alu instid0(VALU_DEP_2) | instskip(NEXT) | instid1(VALU_DEP_2)
	v_add_f64_e32 v[26:27], v[6:7], v[10:11]
	v_add_f64_e32 v[28:29], v[8:9], v[12:13]
	v_mul_f64_e32 v[6:7], s[38:39], v[151:152]
	flat_store_b128 v[4:5], v[26:29] offset:512
	flat_load_b128 v[26:29], v[2:3] offset:768
	v_mul_f64_e32 v[2:3], s[40:41], v[151:152]
	v_fma_f64 v[6:7], s[40:41], v[20:21], v[6:7]
	s_delay_alu instid0(VALU_DEP_2) | instskip(SKIP_3) | instid1(VALU_DEP_2)
	v_fma_f64 v[2:3], s[38:39], v[20:21], -v[2:3]
	s_wait_loadcnt_dscnt 0x0
	v_mul_f64_e32 v[8:9], s[8:9], v[28:29]
	v_mul_f64_e32 v[10:11], s[6:7], v[28:29]
	v_fma_f64 v[8:9], s[6:7], v[26:27], -v[8:9]
	s_delay_alu instid0(VALU_DEP_2) | instskip(NEXT) | instid1(VALU_DEP_2)
	v_fma_f64 v[10:11], s[8:9], v[26:27], v[10:11]
	v_add_f64_e32 v[22:23], v[2:3], v[8:9]
	s_delay_alu instid0(VALU_DEP_2) | instskip(SKIP_4) | instid1(VALU_DEP_3)
	v_add_f64_e32 v[24:25], v[6:7], v[10:11]
	v_add_co_u32 v2, vcc_lo, v14, s14
	s_wait_alu 0xfffd
	v_add_co_ci_u32_e64 v3, null, s15, v15, vcc_lo
	v_mul_f64_e32 v[6:7], s[38:39], v[149:150]
	v_add_co_u32 v2, vcc_lo, v2, v0
	s_wait_alu 0xfffd
	s_delay_alu instid0(VALU_DEP_3) | instskip(SKIP_4) | instid1(VALU_DEP_2)
	v_add_co_ci_u32_e64 v3, null, v3, v1, vcc_lo
	flat_store_b128 v[4:5], v[22:25] offset:768
	flat_load_b128 v[22:25], v[2:3]
	v_mul_f64_e32 v[4:5], s[40:41], v[149:150]
	v_fma_f64 v[6:7], s[40:41], v[18:19], v[6:7]
	v_fma_f64 v[4:5], s[38:39], v[18:19], -v[4:5]
	s_wait_loadcnt_dscnt 0x0
	v_mul_f64_e32 v[8:9], s[8:9], v[24:25]
	v_mul_f64_e32 v[10:11], s[6:7], v[24:25]
	s_delay_alu instid0(VALU_DEP_2) | instskip(NEXT) | instid1(VALU_DEP_2)
	v_fma_f64 v[8:9], s[6:7], v[22:23], -v[8:9]
	v_fma_f64 v[10:11], s[8:9], v[22:23], v[10:11]
	s_delay_alu instid0(VALU_DEP_2) | instskip(NEXT) | instid1(VALU_DEP_2)
	v_add_f64_e32 v[18:19], v[4:5], v[8:9]
	v_add_f64_e32 v[20:21], v[6:7], v[10:11]
	v_add_co_u32 v4, vcc_lo, v16, s18
	s_wait_alu 0xfffd
	v_add_co_ci_u32_e64 v5, null, s19, v17, vcc_lo
	v_mul_f64_e32 v[6:7], s[38:39], v[147:148]
	s_delay_alu instid0(VALU_DEP_3) | instskip(SKIP_1) | instid1(VALU_DEP_3)
	v_add_co_u32 v0, vcc_lo, v4, v0
	s_wait_alu 0xfffd
	v_add_co_ci_u32_e64 v1, null, v5, v1, vcc_lo
	v_mul_f64_e32 v[4:5], s[40:41], v[147:148]
	s_delay_alu instid0(VALU_DEP_3) | instskip(SKIP_1) | instid1(VALU_DEP_3)
	v_add_co_u32 v74, vcc_lo, 0x300, v0
	s_wait_alu 0xfffd
	v_add_co_ci_u32_e64 v75, null, 0, v1, vcc_lo
	flat_store_b128 v[0:1], v[18:21]
	flat_load_b128 v[18:21], v[2:3] offset:256
	v_fma_f64 v[6:7], s[40:41], v[46:47], v[6:7]
	v_fma_f64 v[4:5], s[38:39], v[46:47], -v[4:5]
	s_wait_loadcnt_dscnt 0x0
	v_mul_f64_e32 v[8:9], s[8:9], v[20:21]
	v_mul_f64_e32 v[10:11], s[6:7], v[20:21]
	s_delay_alu instid0(VALU_DEP_2) | instskip(NEXT) | instid1(VALU_DEP_2)
	v_fma_f64 v[8:9], s[6:7], v[18:19], -v[8:9]
	v_fma_f64 v[10:11], s[8:9], v[18:19], v[10:11]
	s_delay_alu instid0(VALU_DEP_2) | instskip(NEXT) | instid1(VALU_DEP_2)
	v_add_f64_e32 v[14:15], v[4:5], v[8:9]
	v_add_f64_e32 v[16:17], v[6:7], v[10:11]
	v_mul_f64_e32 v[4:5], s[40:41], v[253:254]
	v_mul_f64_e32 v[6:7], s[38:39], v[253:254]
	flat_store_b128 v[0:1], v[14:17] offset:256
	flat_load_b128 v[14:17], v[2:3] offset:512
	v_fma_f64 v[4:5], s[38:39], v[183:184], -v[4:5]
	v_fma_f64 v[6:7], s[40:41], v[183:184], v[6:7]
	s_wait_loadcnt_dscnt 0x0
	v_mul_f64_e32 v[8:9], s[8:9], v[16:17]
	v_mul_f64_e32 v[10:11], s[6:7], v[16:17]
	s_delay_alu instid0(VALU_DEP_2) | instskip(NEXT) | instid1(VALU_DEP_2)
	v_fma_f64 v[8:9], s[6:7], v[14:15], -v[8:9]
	v_fma_f64 v[12:13], s[8:9], v[14:15], v[10:11]
	s_delay_alu instid0(VALU_DEP_2) | instskip(NEXT) | instid1(VALU_DEP_2)
	v_add_f64_e32 v[10:11], v[4:5], v[8:9]
	v_add_f64_e32 v[12:13], v[6:7], v[12:13]
	v_mul_f64_e32 v[4:5], s[38:39], v[141:142]
	flat_store_b128 v[0:1], v[10:13] offset:512
	flat_load_b128 v[10:13], v[2:3] offset:768
	v_mul_f64_e32 v[2:3], s[40:41], v[141:142]
	v_fma_f64 v[4:5], s[40:41], v[211:212], v[4:5]
	s_delay_alu instid0(VALU_DEP_2) | instskip(SKIP_3) | instid1(VALU_DEP_2)
	v_fma_f64 v[2:3], s[38:39], v[211:212], -v[2:3]
	s_wait_loadcnt_dscnt 0x0
	v_mul_f64_e32 v[6:7], s[8:9], v[12:13]
	v_mul_f64_e32 v[8:9], s[6:7], v[12:13]
	v_fma_f64 v[6:7], s[6:7], v[10:11], -v[6:7]
	s_delay_alu instid0(VALU_DEP_2) | instskip(NEXT) | instid1(VALU_DEP_2)
	v_fma_f64 v[8:9], s[8:9], v[10:11], v[8:9]
	v_add_f64_e32 v[2:3], v[2:3], v[6:7]
	s_delay_alu instid0(VALU_DEP_2)
	v_add_f64_e32 v[72:73], v[4:5], v[8:9]
	flat_store_b64 v[0:1], v[2:3] offset:768
	s_branch .LBB264_2
.LBB264_12:
	s_nop 0
	s_sendmsg sendmsg(MSG_DEALLOC_VGPRS)
	s_endpgm
	.section	.rodata,"a",@progbits
	.p2align	6, 0x0
	.amdhsa_kernel _ZN12_GLOBAL__N_127rocblas_gemm_batched_kernelI19rocblas_complex_numIdELi16ELi16ELi64ELi64ELi4ELi64ELi4ELi4ELi64ELc84ELc78EKPKS2_S5_KPS2_EEvlllT_PT11_llSA_llS8_PT12_llPT13_lli
		.amdhsa_group_segment_fixed_size 8192
		.amdhsa_private_segment_fixed_size 388
		.amdhsa_kernarg_size 156
		.amdhsa_user_sgpr_count 2
		.amdhsa_user_sgpr_dispatch_ptr 0
		.amdhsa_user_sgpr_queue_ptr 0
		.amdhsa_user_sgpr_kernarg_segment_ptr 1
		.amdhsa_user_sgpr_dispatch_id 0
		.amdhsa_user_sgpr_private_segment_size 0
		.amdhsa_wavefront_size32 1
		.amdhsa_uses_dynamic_stack 0
		.amdhsa_enable_private_segment 1
		.amdhsa_system_sgpr_workgroup_id_x 1
		.amdhsa_system_sgpr_workgroup_id_y 1
		.amdhsa_system_sgpr_workgroup_id_z 1
		.amdhsa_system_sgpr_workgroup_info 0
		.amdhsa_system_vgpr_workitem_id 1
		.amdhsa_next_free_vgpr 256
		.amdhsa_next_free_sgpr 52
		.amdhsa_reserve_vcc 1
		.amdhsa_float_round_mode_32 0
		.amdhsa_float_round_mode_16_64 0
		.amdhsa_float_denorm_mode_32 3
		.amdhsa_float_denorm_mode_16_64 3
		.amdhsa_fp16_overflow 0
		.amdhsa_workgroup_processor_mode 1
		.amdhsa_memory_ordered 1
		.amdhsa_forward_progress 1
		.amdhsa_inst_pref_size 69
		.amdhsa_round_robin_scheduling 0
		.amdhsa_exception_fp_ieee_invalid_op 0
		.amdhsa_exception_fp_denorm_src 0
		.amdhsa_exception_fp_ieee_div_zero 0
		.amdhsa_exception_fp_ieee_overflow 0
		.amdhsa_exception_fp_ieee_underflow 0
		.amdhsa_exception_fp_ieee_inexact 0
		.amdhsa_exception_int_div_zero 0
	.end_amdhsa_kernel
	.section	.text._ZN12_GLOBAL__N_127rocblas_gemm_batched_kernelI19rocblas_complex_numIdELi16ELi16ELi64ELi64ELi4ELi64ELi4ELi4ELi64ELc84ELc78EKPKS2_S5_KPS2_EEvlllT_PT11_llSA_llS8_PT12_llPT13_lli,"axG",@progbits,_ZN12_GLOBAL__N_127rocblas_gemm_batched_kernelI19rocblas_complex_numIdELi16ELi16ELi64ELi64ELi4ELi64ELi4ELi4ELi64ELc84ELc78EKPKS2_S5_KPS2_EEvlllT_PT11_llSA_llS8_PT12_llPT13_lli,comdat
.Lfunc_end264:
	.size	_ZN12_GLOBAL__N_127rocblas_gemm_batched_kernelI19rocblas_complex_numIdELi16ELi16ELi64ELi64ELi4ELi64ELi4ELi4ELi64ELc84ELc78EKPKS2_S5_KPS2_EEvlllT_PT11_llSA_llS8_PT12_llPT13_lli, .Lfunc_end264-_ZN12_GLOBAL__N_127rocblas_gemm_batched_kernelI19rocblas_complex_numIdELi16ELi16ELi64ELi64ELi4ELi64ELi4ELi4ELi64ELc84ELc78EKPKS2_S5_KPS2_EEvlllT_PT11_llSA_llS8_PT12_llPT13_lli
                                        ; -- End function
	.set _ZN12_GLOBAL__N_127rocblas_gemm_batched_kernelI19rocblas_complex_numIdELi16ELi16ELi64ELi64ELi4ELi64ELi4ELi4ELi64ELc84ELc78EKPKS2_S5_KPS2_EEvlllT_PT11_llSA_llS8_PT12_llPT13_lli.num_vgpr, 256
	.set _ZN12_GLOBAL__N_127rocblas_gemm_batched_kernelI19rocblas_complex_numIdELi16ELi16ELi64ELi64ELi4ELi64ELi4ELi4ELi64ELc84ELc78EKPKS2_S5_KPS2_EEvlllT_PT11_llSA_llS8_PT12_llPT13_lli.num_agpr, 0
	.set _ZN12_GLOBAL__N_127rocblas_gemm_batched_kernelI19rocblas_complex_numIdELi16ELi16ELi64ELi64ELi4ELi64ELi4ELi4ELi64ELc84ELc78EKPKS2_S5_KPS2_EEvlllT_PT11_llSA_llS8_PT12_llPT13_lli.numbered_sgpr, 52
	.set _ZN12_GLOBAL__N_127rocblas_gemm_batched_kernelI19rocblas_complex_numIdELi16ELi16ELi64ELi64ELi4ELi64ELi4ELi4ELi64ELc84ELc78EKPKS2_S5_KPS2_EEvlllT_PT11_llSA_llS8_PT12_llPT13_lli.num_named_barrier, 0
	.set _ZN12_GLOBAL__N_127rocblas_gemm_batched_kernelI19rocblas_complex_numIdELi16ELi16ELi64ELi64ELi4ELi64ELi4ELi4ELi64ELc84ELc78EKPKS2_S5_KPS2_EEvlllT_PT11_llSA_llS8_PT12_llPT13_lli.private_seg_size, 388
	.set _ZN12_GLOBAL__N_127rocblas_gemm_batched_kernelI19rocblas_complex_numIdELi16ELi16ELi64ELi64ELi4ELi64ELi4ELi4ELi64ELc84ELc78EKPKS2_S5_KPS2_EEvlllT_PT11_llSA_llS8_PT12_llPT13_lli.uses_vcc, 1
	.set _ZN12_GLOBAL__N_127rocblas_gemm_batched_kernelI19rocblas_complex_numIdELi16ELi16ELi64ELi64ELi4ELi64ELi4ELi4ELi64ELc84ELc78EKPKS2_S5_KPS2_EEvlllT_PT11_llSA_llS8_PT12_llPT13_lli.uses_flat_scratch, 1
	.set _ZN12_GLOBAL__N_127rocblas_gemm_batched_kernelI19rocblas_complex_numIdELi16ELi16ELi64ELi64ELi4ELi64ELi4ELi4ELi64ELc84ELc78EKPKS2_S5_KPS2_EEvlllT_PT11_llSA_llS8_PT12_llPT13_lli.has_dyn_sized_stack, 0
	.set _ZN12_GLOBAL__N_127rocblas_gemm_batched_kernelI19rocblas_complex_numIdELi16ELi16ELi64ELi64ELi4ELi64ELi4ELi4ELi64ELc84ELc78EKPKS2_S5_KPS2_EEvlllT_PT11_llSA_llS8_PT12_llPT13_lli.has_recursion, 0
	.set _ZN12_GLOBAL__N_127rocblas_gemm_batched_kernelI19rocblas_complex_numIdELi16ELi16ELi64ELi64ELi4ELi64ELi4ELi4ELi64ELc84ELc78EKPKS2_S5_KPS2_EEvlllT_PT11_llSA_llS8_PT12_llPT13_lli.has_indirect_call, 0
	.section	.AMDGPU.csdata,"",@progbits
; Kernel info:
; codeLenInByte = 8788
; TotalNumSgprs: 54
; NumVgprs: 256
; ScratchSize: 388
; MemoryBound: 0
; FloatMode: 240
; IeeeMode: 1
; LDSByteSize: 8192 bytes/workgroup (compile time only)
; SGPRBlocks: 0
; VGPRBlocks: 31
; NumSGPRsForWavesPerEU: 54
; NumVGPRsForWavesPerEU: 256
; Occupancy: 5
; WaveLimiterHint : 1
; COMPUTE_PGM_RSRC2:SCRATCH_EN: 1
; COMPUTE_PGM_RSRC2:USER_SGPR: 2
; COMPUTE_PGM_RSRC2:TRAP_HANDLER: 0
; COMPUTE_PGM_RSRC2:TGID_X_EN: 1
; COMPUTE_PGM_RSRC2:TGID_Y_EN: 1
; COMPUTE_PGM_RSRC2:TGID_Z_EN: 1
; COMPUTE_PGM_RSRC2:TIDIG_COMP_CNT: 1
	.section	.text._ZN12_GLOBAL__N_127rocblas_gemm_batched_kernelI19rocblas_complex_numIdELi16ELi16ELi64ELi64ELi4ELi64ELi4ELi4ELi64ELc78ELc84EKPKS2_S5_KPS2_EEvlllT_PT11_llSA_llS8_PT12_llPT13_lli,"axG",@progbits,_ZN12_GLOBAL__N_127rocblas_gemm_batched_kernelI19rocblas_complex_numIdELi16ELi16ELi64ELi64ELi4ELi64ELi4ELi4ELi64ELc78ELc84EKPKS2_S5_KPS2_EEvlllT_PT11_llSA_llS8_PT12_llPT13_lli,comdat
	.globl	_ZN12_GLOBAL__N_127rocblas_gemm_batched_kernelI19rocblas_complex_numIdELi16ELi16ELi64ELi64ELi4ELi64ELi4ELi4ELi64ELc78ELc84EKPKS2_S5_KPS2_EEvlllT_PT11_llSA_llS8_PT12_llPT13_lli ; -- Begin function _ZN12_GLOBAL__N_127rocblas_gemm_batched_kernelI19rocblas_complex_numIdELi16ELi16ELi64ELi64ELi4ELi64ELi4ELi4ELi64ELc78ELc84EKPKS2_S5_KPS2_EEvlllT_PT11_llSA_llS8_PT12_llPT13_lli
	.p2align	8
	.type	_ZN12_GLOBAL__N_127rocblas_gemm_batched_kernelI19rocblas_complex_numIdELi16ELi16ELi64ELi64ELi4ELi64ELi4ELi4ELi64ELc78ELc84EKPKS2_S5_KPS2_EEvlllT_PT11_llSA_llS8_PT12_llPT13_lli,@function
_ZN12_GLOBAL__N_127rocblas_gemm_batched_kernelI19rocblas_complex_numIdELi16ELi16ELi64ELi64ELi4ELi64ELi4ELi4ELi64ELc78ELc84EKPKS2_S5_KPS2_EEvlllT_PT11_llSA_llS8_PT12_llPT13_lli: ; @_ZN12_GLOBAL__N_127rocblas_gemm_batched_kernelI19rocblas_complex_numIdELi16ELi16ELi64ELi64ELi4ELi64ELi4ELi4ELi64ELc78ELc84EKPKS2_S5_KPS2_EEvlllT_PT11_llSA_llS8_PT12_llPT13_lli
; %bb.0:
	s_load_b32 s26, s[0:1], 0x98
	s_lshr_b32 s2, ttmp7, 16
	s_wait_kmcnt 0x0
	s_cmp_ge_i32 s2, s26
	s_cbranch_scc1 .LBB265_12
; %bb.1:
	s_clause 0x2
	s_load_b512 s[4:19], s[0:1], 0x50
	s_load_b512 s[36:51], s[0:1], 0x10
	s_load_b64 s[20:21], s[0:1], 0x90
	v_dual_mov_b32 v138, 0 :: v_dual_and_b32 v13, 0x3ff, v0
	v_bfe_u32 v2, v0, 10, 10
	s_mov_b32 s22, ttmp9
	s_ashr_i32 s23, ttmp9, 31
	s_lshl_b32 s24, ttmp7, 6
	s_lshl_b64 s[0:1], s[22:23], 6
	v_lshl_add_u32 v3, v2, 4, v13
	s_and_b32 s22, s24, 0x3fffc0
	v_lshl_add_u32 v208, v2, 6, 0x1000
	v_add_nc_u32_e32 v12, s22, v2
	s_mov_b32 s3, 0
	v_lshrrev_b32_e32 v7, 2, v3
	v_lshrrev_b32_e32 v10, 6, v3
	v_and_b32_e32 v14, 63, v3
	s_wait_kmcnt 0x0
	v_mad_co_u64_u32 v[15:16], null, v12, s18, 0
	v_and_b32_e32 v8, 3, v0
	v_add_co_u32 v0, s25, v7, s22
	s_delay_alu instid0(VALU_DEP_1) | instskip(SKIP_2) | instid1(VALU_DEP_3)
	v_add_co_ci_u32_e64 v1, null, 0, 0, s25
	v_mad_co_u64_u32 v[2:3], null, s44, v10, s[0:1]
	v_lshlrev_b32_e32 v9, 4, v14
	v_mad_co_u64_u32 v[4:5], null, s50, v8, v[0:1]
	v_dual_mov_b32 v1, v16 :: v_dual_lshlrev_b32 v6, 4, v8
	s_delay_alu instid0(VALU_DEP_3)
	v_lshl_or_b32 v139, v10, 10, v9
	v_cmp_eq_f64_e64 s23, s[6:7], 0
	v_cmp_eq_f64_e64 s24, s[8:9], 0
	s_lshl_b64 s[14:15], s[14:15], 4
	v_lshl_or_b32 v0, v7, 6, v6
	v_mad_co_u64_u32 v[6:7], null, v12, s12, 0
	s_delay_alu instid0(VALU_DEP_2) | instskip(SKIP_1) | instid1(VALU_DEP_3)
	v_add_nc_u32_e32 v140, 0x1000, v0
	v_add_co_u32 v0, s0, s0, v13
	v_mad_co_u64_u32 v[8:9], null, s51, v8, v[5:6]
	v_mad_co_u64_u32 v[9:10], null, s45, v10, v[3:4]
	v_mov_b32_e32 v5, v7
	v_mad_co_u64_u32 v[10:11], null, v12, s19, v[1:2]
	s_wait_alu 0xf1ff
	v_add_co_ci_u32_e64 v1, null, s1, 0, s0
	s_delay_alu instid0(VALU_DEP_3) | instskip(SKIP_2) | instid1(VALU_DEP_1)
	v_mad_co_u64_u32 v[11:12], null, v12, s13, v[5:6]
	v_mov_b32_e32 v5, v8
	v_add_co_u32 v7, vcc_lo, v2, v14
	v_add_co_ci_u32_e64 v8, null, 0, v9, vcc_lo
	s_lshl_b64 s[0:1], s[46:47], 4
	v_dual_mov_b32 v16, v10 :: v_dual_lshlrev_b32 v255, 4, v13
	v_lshlrev_b64_e32 v[8:9], 4, v[7:8]
	scratch_store_b64 off, v[0:1], off offset:352 ; 8-byte Folded Spill
	v_lshlrev_b64_e32 v[4:5], 4, v[4:5]
	v_mov_b32_e32 v7, v11
	scratch_store_b64 off, v[15:16], off offset:344 ; 8-byte Folded Spill
	s_wait_alu 0xfffe
	v_add_co_u32 v0, vcc_lo, s0, v8
	s_and_b32 s27, s23, s24
	s_lshl_b64 s[22:23], s[18:19], 4
	s_lshl_b64 s[24:25], s[12:13], 4
	scratch_store_b32 off, v0, off offset:360 ; 4-byte Folded Spill
	s_wait_alu 0xfffd
	v_add_co_ci_u32_e64 v0, null, s1, v9, vcc_lo
	s_lshl_b64 s[0:1], s[4:5], 4
	v_cmp_gt_i64_e64 s4, s[36:37], 0
	s_wait_alu 0xfffe
	v_add_co_u32 v1, vcc_lo, s0, v4
	scratch_store_b32 off, v0, off offset:364 ; 4-byte Folded Spill
	s_lshl_b64 s[12:13], s[44:45], 6
	s_lshl_b64 s[18:19], s[20:21], 4
	v_cndmask_b32_e64 v0, 0, 1, s4
	scratch_store_b32 off, v1, off offset:368 ; 4-byte Folded Spill
	s_wait_alu 0xfffd
	v_add_co_ci_u32_e64 v1, null, s1, v5, vcc_lo
	s_lshl_b64 s[4:5], s[50:51], 6
	v_cmp_ne_u32_e64 s0, 1, v0
	s_lshl_b64 s[20:21], s[24:25], 4
	scratch_store_b32 off, v1, off offset:372 ; 4-byte Folded Spill
	v_lshlrev_b64_e32 v[0:1], 4, v[6:7]
	s_lshl_b64 s[22:23], s[22:23], 4
	s_clause 0x2
	scratch_store_b64 off, v[0:1], off offset:376
	scratch_store_b32 off, v139, off offset:320
	scratch_store_b32 off, v140, off offset:324
	s_branch .LBB265_3
.LBB265_2:                              ;   in Loop: Header=BB265_3 Depth=1
	s_add_co_i32 s2, s2, 0x10000
	flat_store_b64 v[74:75], v[72:73] offset:8
	s_cmp_lt_i32 s2, s26
	s_cbranch_scc0 .LBB265_12
.LBB265_3:                              ; =>This Loop Header: Depth=1
                                        ;     Child Loop BB265_5 Depth 2
	s_lshl_b64 s[24:25], s[2:3], 3
	s_and_b32 vcc_lo, exec_lo, s0
	s_wait_alu 0xfffe
	s_add_nc_u64 s[28:29], s[10:11], s[24:25]
	s_add_nc_u64 s[30:31], s[16:17], s[24:25]
	s_clause 0x1
	global_load_b64 v[167:168], v138, s[28:29]
	global_load_b64 v[36:37], v138, s[30:31]
	s_cbranch_vccnz .LBB265_7
; %bb.4:                                ;   in Loop: Header=BB265_3 Depth=1
	v_mov_b32_e32 v38, 0
	v_dual_mov_b32 v39, 0 :: v_dual_mov_b32 v0, 0
	v_mov_b32_e32 v1, 0
	s_wait_loadcnt 0x0
	s_clause 0x1
	scratch_store_b64 off, v[36:37], off offset:336
	scratch_store_b64 off, v[167:168], off offset:328
	v_mov_b32_e32 v153, 0
	v_mov_b32_e32 v154, 0
	;; [unrolled: 1-line block ×3, first 2 shown]
	scratch_store_b64 off, v[0:1], off      ; 8-byte Folded Spill
	v_mov_b32_e32 v0, 0
	v_mov_b32_e32 v1, 0
	;; [unrolled: 1-line block ×3, first 2 shown]
	s_add_nc_u64 s[28:29], s[42:43], s[24:25]
	s_add_nc_u64 s[24:25], s[48:49], s[24:25]
	s_clause 0x1
	global_load_b64 v[74:75], v138, s[28:29]
	global_load_b64 v[76:77], v138, s[24:25]
	scratch_store_b64 off, v[0:1], off offset:8 ; 8-byte Folded Spill
	v_mov_b32_e32 v0, 0
	v_mov_b32_e32 v1, 0
	;; [unrolled: 1-line block ×3, first 2 shown]
	v_dual_mov_b32 v253, 0 :: v_dual_mov_b32 v46, 0
	v_mov_b32_e32 v42, 0
	scratch_store_b64 off, v[0:1], off offset:16 ; 8-byte Folded Spill
	scratch_load_b32 v0, off, off offset:360 ; 4-byte Folded Reload
	v_mov_b32_e32 v26, 0
	v_mov_b32_e32 v22, 0
	;; [unrolled: 1-line block ×6, first 2 shown]
	v_dual_mov_b32 v142, 0 :: v_dual_mov_b32 v211, 0
	v_dual_mov_b32 v254, 0 :: v_dual_mov_b32 v183, 0
	;; [unrolled: 1-line block ×14, first 2 shown]
	v_mov_b32_e32 v41, 0
	v_mov_b32_e32 v25, 0
	;; [unrolled: 1-line block ×7, first 2 shown]
	v_dual_mov_b32 v3, 0 :: v_dual_mov_b32 v252, 0
	v_dual_mov_b32 v207, 0 :: v_dual_mov_b32 v188, 0
	v_mov_b32_e32 v186, 0
	s_mov_b64 s[24:25], 0
	s_wait_loadcnt 0x0
	v_add_co_u32 v213, vcc_lo, v74, v0
	scratch_load_b32 v0, off, off offset:364 ; 4-byte Folded Reload
	s_wait_loadcnt 0x0
	s_wait_alu 0xfffd
	v_add_co_ci_u32_e64 v214, null, v75, v0, vcc_lo
	scratch_load_b32 v0, off, off offset:368 ; 4-byte Folded Reload
	s_wait_loadcnt 0x0
	v_add_co_u32 v76, vcc_lo, v76, v0
	scratch_load_b32 v0, off, off offset:372 ; 4-byte Folded Reload
	s_wait_loadcnt 0x0
	s_wait_alu 0xfffd
	v_add_co_ci_u32_e64 v77, null, v77, v0, vcc_lo
	v_mov_b32_e32 v0, 0
	v_mov_b32_e32 v1, 0
.LBB265_5:                              ;   Parent Loop BB265_3 Depth=1
                                        ; =>  This Inner Loop Header: Depth=2
	scratch_store_b64 off, v[141:142], off offset:24 ; 8-byte Folded Spill
	flat_load_b128 v[78:81], v[213:214]
	flat_load_b128 v[82:85], v[76:77]
	v_dual_mov_b32 v36, v153 :: v_dual_mov_b32 v37, v154
	v_dual_mov_b32 v74, v183 :: v_dual_mov_b32 v75, v184
	s_wait_alu 0xfffe
	s_add_nc_u64 s[24:25], s[24:25], 4
	v_add_co_u32 v213, s1, v213, s12
	s_wait_alu 0xf1ff
	v_add_co_ci_u32_e64 v214, null, s13, v214, s1
	s_wait_alu 0xfffe
	v_cmp_lt_i64_e64 s1, s[24:25], s[36:37]
	v_add_co_u32 v76, vcc_lo, v76, s4
	s_wait_alu 0xfffd
	v_add_co_ci_u32_e64 v77, null, s5, v77, vcc_lo
	s_wait_loadcnt_dscnt 0x101
	ds_store_2addr_b64 v139, v[78:79], v[80:81] offset1:1
	s_wait_loadcnt_dscnt 0x1
	ds_store_2addr_b64 v140, v[82:83], v[84:85] offset1:1
	s_wait_storecnt_dscnt 0x0
	s_barrier_signal -1
	s_barrier_wait -1
	global_inv scope:SCOPE_SE
	ds_load_b128 v[92:95], v208
	ds_load_b128 v[128:131], v255
	ds_load_b128 v[132:135], v255 offset:256
	ds_load_b128 v[156:159], v208 offset:16
	s_and_b32 vcc_lo, exec_lo, s1
	s_wait_dscnt 0x2
	v_mul_f64_e32 v[78:79], v[94:95], v[130:131]
	v_mul_f64_e32 v[80:81], v[92:93], v[130:131]
	s_wait_dscnt 0x1
	v_mul_f64_e32 v[82:83], v[94:95], v[134:135]
	v_mul_f64_e32 v[84:85], v[92:93], v[134:135]
	s_delay_alu instid0(VALU_DEP_4)
	v_fma_f64 v[28:29], v[92:93], v[128:129], -v[78:79]
	scratch_store_b64 off, v[28:29], off offset:32 ; 8-byte Folded Spill
	v_fma_f64 v[28:29], v[94:95], v[128:129], v[80:81]
	scratch_store_b64 off, v[28:29], off offset:40 ; 8-byte Folded Spill
	v_fma_f64 v[28:29], v[92:93], v[132:133], -v[82:83]
	scratch_store_b64 off, v[28:29], off offset:48 ; 8-byte Folded Spill
	v_fma_f64 v[28:29], v[94:95], v[132:133], v[84:85]
	scratch_store_b64 off, v[28:29], off offset:56 ; 8-byte Folded Spill
	ds_load_b128 v[136:139], v255 offset:512
	ds_load_b128 v[140:143], v255 offset:768
	s_wait_dscnt 0x1
	v_mul_f64_e32 v[86:87], v[94:95], v[138:139]
	v_mul_f64_e32 v[88:89], v[92:93], v[138:139]
	s_wait_dscnt 0x0
	v_mul_f64_e32 v[90:91], v[94:95], v[142:143]
	s_delay_alu instid0(VALU_DEP_3)
	v_fma_f64 v[28:29], v[92:93], v[136:137], -v[86:87]
	scratch_store_b64 off, v[28:29], off offset:64 ; 8-byte Folded Spill
	v_fma_f64 v[28:29], v[94:95], v[136:137], v[88:89]
	scratch_store_b64 off, v[28:29], off offset:72 ; 8-byte Folded Spill
	v_fma_f64 v[28:29], v[92:93], v[140:141], -v[90:91]
	v_mul_f64_e32 v[92:93], v[92:93], v[142:143]
	scratch_store_b64 off, v[28:29], off offset:80 ; 8-byte Folded Spill
	v_fma_f64 v[28:29], v[94:95], v[140:141], v[92:93]
	scratch_store_b64 off, v[28:29], off offset:88 ; 8-byte Folded Spill
	ds_load_b128 v[108:111], v208 offset:1024
	ds_load_b128 v[172:175], v208 offset:1040
	;; [unrolled: 1-line block ×3, first 2 shown]
	s_wait_dscnt 0x2
	v_mul_f64_e32 v[94:95], v[110:111], v[130:131]
	v_mul_f64_e32 v[96:97], v[108:109], v[130:131]
	v_mul_f64_e32 v[98:99], v[110:111], v[134:135]
	v_mul_f64_e32 v[100:101], v[108:109], v[134:135]
	v_mul_f64_e32 v[102:103], v[110:111], v[138:139]
	v_mul_f64_e32 v[104:105], v[108:109], v[138:139]
	v_mul_f64_e32 v[106:107], v[110:111], v[142:143]
	v_fma_f64 v[28:29], v[108:109], v[128:129], -v[94:95]
	scratch_store_b64 off, v[28:29], off offset:96 ; 8-byte Folded Spill
	v_fma_f64 v[28:29], v[110:111], v[128:129], v[96:97]
	scratch_store_b64 off, v[28:29], off offset:104 ; 8-byte Folded Spill
	v_fma_f64 v[28:29], v[108:109], v[132:133], -v[98:99]
	scratch_store_b64 off, v[28:29], off offset:112 ; 8-byte Folded Spill
	v_fma_f64 v[28:29], v[110:111], v[132:133], v[100:101]
	scratch_store_b64 off, v[28:29], off offset:120 ; 8-byte Folded Spill
	;; [unrolled: 4-line block ×3, first 2 shown]
	v_fma_f64 v[28:29], v[108:109], v[140:141], -v[106:107]
	v_mul_f64_e32 v[108:109], v[108:109], v[142:143]
	scratch_store_b64 off, v[28:29], off offset:144 ; 8-byte Folded Spill
	v_fma_f64 v[28:29], v[110:111], v[140:141], v[108:109]
	scratch_store_b64 off, v[28:29], off offset:152 ; 8-byte Folded Spill
	v_dual_mov_b32 v28, v187 :: v_dual_mov_b32 v29, v188
	ds_load_b128 v[188:191], v208 offset:2064
	s_wait_dscnt 0x1
	v_mul_f64_e32 v[110:111], v[126:127], v[130:131]
	v_mul_f64_e32 v[112:113], v[124:125], v[130:131]
	;; [unrolled: 1-line block ×7, first 2 shown]
	v_fma_f64 v[32:33], v[124:125], v[128:129], -v[110:111]
	scratch_store_b64 off, v[32:33], off offset:160 ; 8-byte Folded Spill
	v_fma_f64 v[32:33], v[126:127], v[128:129], v[112:113]
	scratch_store_b64 off, v[32:33], off offset:168 ; 8-byte Folded Spill
	v_fma_f64 v[32:33], v[124:125], v[132:133], -v[114:115]
	scratch_store_b64 off, v[32:33], off offset:176 ; 8-byte Folded Spill
	v_fma_f64 v[32:33], v[126:127], v[132:133], v[116:117]
	scratch_store_b64 off, v[32:33], off offset:184 ; 8-byte Folded Spill
	;; [unrolled: 4-line block ×3, first 2 shown]
	v_fma_f64 v[32:33], v[124:125], v[140:141], -v[122:123]
	v_mul_f64_e32 v[124:125], v[124:125], v[142:143]
	scratch_store_b64 off, v[32:33], off offset:208 ; 8-byte Folded Spill
	v_fma_f64 v[32:33], v[126:127], v[140:141], v[124:125]
	scratch_store_b64 off, v[32:33], off offset:216 ; 8-byte Folded Spill
	ds_load_b128 v[144:147], v208 offset:3072
	ds_load_b128 v[215:218], v208 offset:3088
	s_wait_dscnt 0x1
	v_mul_f64_e32 v[126:127], v[146:147], v[130:131]
	v_mul_f64_e32 v[130:131], v[144:145], v[130:131]
	s_delay_alu instid0(VALU_DEP_2)
	v_fma_f64 v[32:33], v[144:145], v[128:129], -v[126:127]
	scratch_store_b64 off, v[32:33], off offset:224 ; 8-byte Folded Spill
	v_fma_f64 v[32:33], v[146:147], v[128:129], v[130:131]
	v_mul_f64_e32 v[130:131], v[146:147], v[134:135]
	v_mul_f64_e32 v[134:135], v[144:145], v[134:135]
	scratch_store_b64 off, v[32:33], off offset:232 ; 8-byte Folded Spill
	v_fma_f64 v[32:33], v[144:145], v[132:133], -v[130:131]
	scratch_store_b64 off, v[32:33], off offset:240 ; 8-byte Folded Spill
	v_fma_f64 v[32:33], v[146:147], v[132:133], v[134:135]
	v_mul_f64_e32 v[134:135], v[146:147], v[138:139]
	v_mul_f64_e32 v[138:139], v[144:145], v[138:139]
	scratch_store_b64 off, v[32:33], off offset:248 ; 8-byte Folded Spill
	;; [unrolled: 6-line block ×3, first 2 shown]
	v_fma_f64 v[32:33], v[144:145], v[140:141], -v[138:139]
	scratch_store_b64 off, v[32:33], off offset:272 ; 8-byte Folded Spill
	v_fma_f64 v[32:33], v[146:147], v[140:141], v[142:143]
	scratch_store_b64 off, v[32:33], off offset:280 ; 8-byte Folded Spill
	ds_load_b128 v[192:195], v255 offset:1024
	ds_load_b128 v[196:199], v255 offset:1280
	s_wait_dscnt 0x1
	v_mul_f64_e32 v[142:143], v[158:159], v[194:195]
	v_mul_f64_e32 v[144:145], v[156:157], v[194:195]
	s_wait_dscnt 0x0
	v_mul_f64_e32 v[146:147], v[158:159], v[198:199]
	v_mul_f64_e32 v[148:149], v[156:157], v[198:199]
	;; [unrolled: 1-line block ×8, first 2 shown]
	v_fma_f64 v[32:33], v[156:157], v[192:193], -v[142:143]
	v_fma_f64 v[162:163], v[172:173], v[196:197], -v[162:163]
	v_fma_f64 v[160:161], v[174:175], v[192:193], v[160:161]
	v_fma_f64 v[164:165], v[174:175], v[196:197], v[164:165]
	v_fma_f64 v[178:179], v[188:189], v[196:197], -v[178:179]
	v_fma_f64 v[176:177], v[190:191], v[192:193], v[176:177]
	v_fma_f64 v[180:181], v[190:191], v[196:197], v[180:181]
	scratch_store_b64 off, v[32:33], off offset:288 ; 8-byte Folded Spill
	v_fma_f64 v[32:33], v[158:159], v[192:193], v[144:145]
	scratch_store_b64 off, v[32:33], off offset:296 ; 8-byte Folded Spill
	v_fma_f64 v[32:33], v[156:157], v[196:197], -v[146:147]
	scratch_store_b64 off, v[32:33], off offset:304 ; 8-byte Folded Spill
	v_fma_f64 v[32:33], v[158:159], v[196:197], v[148:149]
	scratch_store_b64 off, v[32:33], off offset:312 ; 8-byte Folded Spill
	ds_load_b128 v[200:203], v255 offset:1536
	ds_load_b128 v[219:222], v255 offset:1792
	v_dual_mov_b32 v32, v185 :: v_dual_mov_b32 v33, v186
	s_wait_dscnt 0x1
	v_mul_f64_e32 v[150:151], v[158:159], v[202:203]
	s_wait_dscnt 0x0
	v_mul_f64_e32 v[154:155], v[158:159], v[221:222]
	v_mul_f64_e32 v[152:153], v[156:157], v[202:203]
	;; [unrolled: 1-line block ×9, first 2 shown]
	v_fma_f64 v[150:151], v[156:157], v[200:201], -v[150:151]
	v_fma_f64 v[154:155], v[156:157], v[219:220], -v[154:155]
	v_mul_f64_e32 v[156:157], v[156:157], v[221:222]
	v_fma_f64 v[152:153], v[158:159], v[200:201], v[152:153]
	v_fma_f64 v[166:167], v[172:173], v[200:201], -v[166:167]
	v_fma_f64 v[170:171], v[172:173], v[219:220], -v[170:171]
	v_fma_f64 v[168:169], v[174:175], v[200:201], v[168:169]
	v_fma_f64 v[182:183], v[188:189], v[200:201], -v[182:183]
	v_fma_f64 v[186:187], v[188:189], v[219:220], -v[186:187]
	v_fma_f64 v[184:185], v[190:191], v[200:201], v[184:185]
	v_fma_f64 v[204:205], v[217:218], v[219:220], v[204:205]
	;; [unrolled: 1-line block ×3, first 2 shown]
	v_mul_f64_e32 v[158:159], v[174:175], v[194:195]
	s_delay_alu instid0(VALU_DEP_1) | instskip(SKIP_1) | instid1(VALU_DEP_1)
	v_fma_f64 v[158:159], v[172:173], v[192:193], -v[158:159]
	v_mul_f64_e32 v[172:173], v[172:173], v[221:222]
	v_fma_f64 v[172:173], v[174:175], v[219:220], v[172:173]
	v_mul_f64_e32 v[174:175], v[190:191], v[194:195]
	s_delay_alu instid0(VALU_DEP_1) | instskip(SKIP_1) | instid1(VALU_DEP_1)
	v_fma_f64 v[174:175], v[188:189], v[192:193], -v[174:175]
	v_mul_f64_e32 v[188:189], v[188:189], v[221:222]
	v_fma_f64 v[188:189], v[190:191], v[219:220], v[188:189]
	v_mul_f64_e32 v[190:191], v[217:218], v[194:195]
	v_mul_f64_e32 v[194:195], v[215:216], v[194:195]
	s_delay_alu instid0(VALU_DEP_2) | instskip(NEXT) | instid1(VALU_DEP_2)
	v_fma_f64 v[190:191], v[215:216], v[192:193], -v[190:191]
	v_fma_f64 v[192:193], v[217:218], v[192:193], v[194:195]
	v_mul_f64_e32 v[194:195], v[217:218], v[198:199]
	v_mul_f64_e32 v[198:199], v[215:216], v[198:199]
	s_delay_alu instid0(VALU_DEP_2) | instskip(NEXT) | instid1(VALU_DEP_2)
	v_fma_f64 v[194:195], v[215:216], v[196:197], -v[194:195]
	v_fma_f64 v[196:197], v[217:218], v[196:197], v[198:199]
	v_mul_f64_e32 v[198:199], v[217:218], v[202:203]
	v_mul_f64_e32 v[202:203], v[215:216], v[202:203]
	s_delay_alu instid0(VALU_DEP_2) | instskip(NEXT) | instid1(VALU_DEP_2)
	v_fma_f64 v[198:199], v[215:216], v[200:201], -v[198:199]
	v_fma_f64 v[200:201], v[217:218], v[200:201], v[202:203]
	v_mul_f64_e32 v[202:203], v[217:218], v[221:222]
	s_delay_alu instid0(VALU_DEP_1)
	v_fma_f64 v[202:203], v[215:216], v[219:220], -v[202:203]
	ds_load_b128 v[215:218], v208 offset:32
	ds_load_b128 v[219:222], v255 offset:2048
	;; [unrolled: 1-line block ×4, first 2 shown]
	s_wait_dscnt 0x2
	v_mul_f64_e32 v[231:232], v[217:218], v[221:222]
	s_delay_alu instid0(VALU_DEP_1) | instskip(SKIP_1) | instid1(VALU_DEP_1)
	v_fma_f64 v[146:147], v[215:216], v[219:220], -v[231:232]
	v_mul_f64_e32 v[231:232], v[215:216], v[221:222]
	v_fma_f64 v[144:145], v[217:218], v[219:220], v[231:232]
	s_wait_dscnt 0x1
	v_mul_f64_e32 v[231:232], v[217:218], v[225:226]
	s_delay_alu instid0(VALU_DEP_1) | instskip(SKIP_1) | instid1(VALU_DEP_1)
	v_fma_f64 v[142:143], v[215:216], v[223:224], -v[231:232]
	v_mul_f64_e32 v[231:232], v[215:216], v[225:226]
	v_fma_f64 v[140:141], v[217:218], v[223:224], v[231:232]
	ds_load_b128 v[231:234], v255 offset:2560
	ds_load_b128 v[235:238], v255 offset:2816
	s_wait_dscnt 0x1
	v_mul_f64_e32 v[239:240], v[217:218], v[233:234]
	s_delay_alu instid0(VALU_DEP_1) | instskip(SKIP_1) | instid1(VALU_DEP_1)
	v_fma_f64 v[138:139], v[215:216], v[231:232], -v[239:240]
	v_mul_f64_e32 v[239:240], v[215:216], v[233:234]
	v_fma_f64 v[136:137], v[217:218], v[231:232], v[239:240]
	s_wait_dscnt 0x0
	v_mul_f64_e32 v[239:240], v[217:218], v[237:238]
	s_delay_alu instid0(VALU_DEP_1) | instskip(SKIP_1) | instid1(VALU_DEP_1)
	v_fma_f64 v[134:135], v[215:216], v[235:236], -v[239:240]
	v_mul_f64_e32 v[215:216], v[215:216], v[237:238]
	v_fma_f64 v[132:133], v[217:218], v[235:236], v[215:216]
	ds_load_b128 v[215:218], v208 offset:1056
	ds_load_b128 v[239:242], v208 offset:1072
	s_wait_dscnt 0x1
	v_mul_f64_e32 v[243:244], v[217:218], v[221:222]
	s_delay_alu instid0(VALU_DEP_1) | instskip(SKIP_1) | instid1(VALU_DEP_1)
	v_fma_f64 v[130:131], v[215:216], v[219:220], -v[243:244]
	v_mul_f64_e32 v[243:244], v[215:216], v[221:222]
	v_fma_f64 v[209:210], v[217:218], v[219:220], v[243:244]
	v_mul_f64_e32 v[243:244], v[217:218], v[225:226]
	s_delay_alu instid0(VALU_DEP_1) | instskip(SKIP_1) | instid1(VALU_DEP_1)
	v_fma_f64 v[128:129], v[215:216], v[223:224], -v[243:244]
	v_mul_f64_e32 v[243:244], v[215:216], v[225:226]
	v_fma_f64 v[126:127], v[217:218], v[223:224], v[243:244]
	;; [unrolled: 5-line block ×4, first 2 shown]
	ds_load_b128 v[215:218], v208 offset:2080
	ds_load_b128 v[243:246], v208 offset:2096
	s_wait_dscnt 0x1
	v_mul_f64_e32 v[247:248], v[217:218], v[221:222]
	s_delay_alu instid0(VALU_DEP_1) | instskip(SKIP_1) | instid1(VALU_DEP_1)
	v_fma_f64 v[116:117], v[215:216], v[219:220], -v[247:248]
	v_mul_f64_e32 v[247:248], v[215:216], v[221:222]
	v_fma_f64 v[114:115], v[217:218], v[219:220], v[247:248]
	v_mul_f64_e32 v[247:248], v[217:218], v[225:226]
	s_delay_alu instid0(VALU_DEP_1) | instskip(SKIP_1) | instid1(VALU_DEP_1)
	v_fma_f64 v[112:113], v[215:216], v[223:224], -v[247:248]
	v_mul_f64_e32 v[247:248], v[215:216], v[225:226]
	v_fma_f64 v[110:111], v[217:218], v[223:224], v[247:248]
	;; [unrolled: 5-line block ×4, first 2 shown]
	ds_load_b128 v[215:218], v208 offset:3104
	ds_load_b128 v[247:250], v208 offset:3120
	s_wait_dscnt 0x1
	v_mul_f64_e32 v[34:35], v[217:218], v[221:222]
	v_mul_f64_e32 v[221:222], v[215:216], v[221:222]
	s_delay_alu instid0(VALU_DEP_2) | instskip(NEXT) | instid1(VALU_DEP_2)
	v_fma_f64 v[100:101], v[215:216], v[219:220], -v[34:35]
	v_fma_f64 v[98:99], v[217:218], v[219:220], v[221:222]
	v_mul_f64_e32 v[219:220], v[217:218], v[225:226]
	s_delay_alu instid0(VALU_DEP_1) | instskip(SKIP_1) | instid1(VALU_DEP_1)
	v_fma_f64 v[96:97], v[215:216], v[223:224], -v[219:220]
	v_mul_f64_e32 v[219:220], v[215:216], v[225:226]
	v_fma_f64 v[94:95], v[217:218], v[223:224], v[219:220]
	v_mul_f64_e32 v[219:220], v[217:218], v[233:234]
	s_delay_alu instid0(VALU_DEP_1) | instskip(SKIP_1) | instid1(VALU_DEP_1)
	v_fma_f64 v[92:93], v[215:216], v[231:232], -v[219:220]
	v_mul_f64_e32 v[219:220], v[215:216], v[233:234]
	;; [unrolled: 5-line block ×3, first 2 shown]
	v_fma_f64 v[235:236], v[217:218], v[235:236], v[215:216]
	ds_load_b128 v[215:218], v255 offset:3072
	ds_load_b128 v[219:222], v255 offset:3328
	s_wait_dscnt 0x1
	v_mul_f64_e32 v[223:224], v[229:230], v[217:218]
	s_wait_dscnt 0x0
	v_mul_f64_e32 v[64:65], v[241:242], v[221:222]
	v_mul_f64_e32 v[62:63], v[239:240], v[217:218]
	;; [unrolled: 1-line block ×6, first 2 shown]
	v_fma_f64 v[237:238], v[227:228], v[215:216], -v[223:224]
	v_mul_f64_e32 v[223:224], v[227:228], v[217:218]
	v_fma_f64 v[64:65], v[239:240], v[219:220], -v[64:65]
	v_fma_f64 v[62:63], v[241:242], v[215:216], v[62:63]
	v_fma_f64 v[66:67], v[241:242], v[219:220], v[66:67]
	v_fma_f64 v[82:83], v[243:244], v[219:220], -v[82:83]
	v_fma_f64 v[80:81], v[245:246], v[215:216], v[80:81]
	v_fma_f64 v[84:85], v[245:246], v[219:220], v[84:85]
	;; [unrolled: 1-line block ×3, first 2 shown]
	v_mul_f64_e32 v[223:224], v[229:230], v[221:222]
	s_delay_alu instid0(VALU_DEP_1) | instskip(SKIP_1) | instid1(VALU_DEP_1)
	v_fma_f64 v[52:53], v[227:228], v[219:220], -v[223:224]
	v_mul_f64_e32 v[223:224], v[227:228], v[221:222]
	v_fma_f64 v[54:55], v[229:230], v[219:220], v[223:224]
	ds_load_b128 v[223:226], v255 offset:3584
	ds_load_b128 v[231:234], v255 offset:3840
	scratch_load_b64 v[34:35], off, off offset:32 th:TH_LOAD_LU ; 8-byte Folded Reload
	s_wait_dscnt 0x1
	v_mul_f64_e32 v[56:57], v[229:230], v[225:226]
	s_wait_dscnt 0x0
	v_mul_f64_e32 v[60:61], v[229:230], v[233:234]
	v_mul_f64_e32 v[58:59], v[227:228], v[225:226]
	;; [unrolled: 1-line block ×8, first 2 shown]
	v_fma_f64 v[56:57], v[227:228], v[223:224], -v[56:57]
	v_fma_f64 v[60:61], v[227:228], v[231:232], -v[60:61]
	v_mul_f64_e32 v[227:228], v[227:228], v[233:234]
	v_fma_f64 v[58:59], v[229:230], v[223:224], v[58:59]
	v_fma_f64 v[68:69], v[239:240], v[223:224], -v[68:69]
	v_fma_f64 v[78:79], v[239:240], v[231:232], -v[78:79]
	v_fma_f64 v[70:71], v[241:242], v[223:224], v[70:71]
	v_fma_f64 v[86:87], v[243:244], v[223:224], -v[86:87]
	v_fma_f64 v[90:91], v[243:244], v[231:232], -v[90:91]
	v_fma_f64 v[88:89], v[245:246], v[223:224], v[88:89]
	v_fma_f64 v[227:228], v[229:230], v[231:232], v[227:228]
	v_mul_f64_e32 v[229:230], v[241:242], v[217:218]
	s_delay_alu instid0(VALU_DEP_1) | instskip(SKIP_1) | instid1(VALU_DEP_1)
	v_fma_f64 v[229:230], v[239:240], v[215:216], -v[229:230]
	v_mul_f64_e32 v[239:240], v[239:240], v[233:234]
	v_fma_f64 v[239:240], v[241:242], v[231:232], v[239:240]
	v_mul_f64_e32 v[241:242], v[245:246], v[217:218]
	s_delay_alu instid0(VALU_DEP_1) | instskip(SKIP_1) | instid1(VALU_DEP_1)
	v_fma_f64 v[241:242], v[243:244], v[215:216], -v[241:242]
	v_mul_f64_e32 v[243:244], v[243:244], v[233:234]
	v_fma_f64 v[243:244], v[245:246], v[231:232], v[243:244]
	v_mul_f64_e32 v[245:246], v[249:250], v[217:218]
	v_mul_f64_e32 v[217:218], v[247:248], v[217:218]
	s_delay_alu instid0(VALU_DEP_2) | instskip(NEXT) | instid1(VALU_DEP_2)
	v_fma_f64 v[245:246], v[247:248], v[215:216], -v[245:246]
	v_fma_f64 v[215:216], v[249:250], v[215:216], v[217:218]
	v_mul_f64_e32 v[217:218], v[249:250], v[221:222]
	v_mul_f64_e32 v[221:222], v[247:248], v[221:222]
	s_delay_alu instid0(VALU_DEP_2) | instskip(NEXT) | instid1(VALU_DEP_2)
	v_fma_f64 v[217:218], v[247:248], v[219:220], -v[217:218]
	;; [unrolled: 5-line block ×4, first 2 shown]
	v_fma_f64 v[231:232], v[249:250], v[231:232], v[233:234]
	s_wait_loadcnt 0x0
	v_add_f64_e32 v[233:234], v[32:33], v[34:35]
	scratch_load_b64 v[32:33], off, off offset:40 th:TH_LOAD_LU ; 8-byte Folded Reload
	s_wait_loadcnt 0x0
	v_add_f64_e32 v[247:248], v[32:33], v[28:29]
	scratch_load_b64 v[28:29], off, off offset:48 th:TH_LOAD_LU ; 8-byte Folded Reload
	;; [unrolled: 3-line block ×5, first 2 shown]
	v_add_f64_e32 v[0:1], v[0:1], v[150:151]
	s_delay_alu instid0(VALU_DEP_1) | instskip(NEXT) | instid1(VALU_DEP_1)
	v_add_f64_e32 v[0:1], v[0:1], v[138:139]
	v_add_f64_e32 v[0:1], v[0:1], v[56:57]
	s_wait_loadcnt 0x0
	v_add_f64_e32 v[2:3], v[28:29], v[2:3]
	scratch_load_b64 v[28:29], off, off offset:80 th:TH_LOAD_LU ; 8-byte Folded Reload
	v_add_f64_e32 v[2:3], v[152:153], v[2:3]
	s_delay_alu instid0(VALU_DEP_1) | instskip(NEXT) | instid1(VALU_DEP_1)
	v_add_f64_e32 v[2:3], v[136:137], v[2:3]
	v_add_f64_e32 v[2:3], v[58:59], v[2:3]
	s_wait_loadcnt 0x0
	v_add_f64_e32 v[4:5], v[4:5], v[28:29]
	scratch_load_b64 v[28:29], off, off offset:88 th:TH_LOAD_LU ; 8-byte Folded Reload
	;; [unrolled: 7-line block ×12, first 2 shown]
	v_add_f64_e32 v[24:25], v[24:25], v[174:175]
	s_delay_alu instid0(VALU_DEP_1) | instskip(NEXT) | instid1(VALU_DEP_1)
	v_add_f64_e32 v[24:25], v[24:25], v[116:117]
	v_add_f64_e32 v[24:25], v[24:25], v[241:242]
	s_wait_loadcnt 0x0
	v_add_f64_e32 v[26:27], v[28:29], v[26:27]
	s_clause 0x1
	scratch_load_b64 v[28:29], off, off offset:16 th:TH_LOAD_LU
	scratch_load_b64 v[32:33], off, off offset:176 th:TH_LOAD_LU
	v_add_f64_e32 v[26:27], v[176:177], v[26:27]
	s_delay_alu instid0(VALU_DEP_1) | instskip(NEXT) | instid1(VALU_DEP_1)
	v_add_f64_e32 v[26:27], v[114:115], v[26:27]
	v_add_f64_e32 v[26:27], v[80:81], v[26:27]
	s_wait_loadcnt 0x0
	v_add_f64_e32 v[28:29], v[28:29], v[32:33]
	scratch_load_b64 v[32:33], off, off offset:184 th:TH_LOAD_LU ; 8-byte Folded Reload
	v_add_f64_e32 v[28:29], v[28:29], v[178:179]
	s_delay_alu instid0(VALU_DEP_1) | instskip(NEXT) | instid1(VALU_DEP_1)
	v_add_f64_e32 v[28:29], v[28:29], v[112:113]
	v_add_f64_e32 v[28:29], v[28:29], v[82:83]
	s_wait_loadcnt 0x0
	v_add_f64_e32 v[30:31], v[32:33], v[30:31]
	s_clause 0x1
	scratch_load_b64 v[32:33], off, off offset:8 th:TH_LOAD_LU
	scratch_load_b64 v[34:35], off, off offset:192 th:TH_LOAD_LU
	v_add_f64_e32 v[30:31], v[180:181], v[30:31]
	s_delay_alu instid0(VALU_DEP_1) | instskip(NEXT) | instid1(VALU_DEP_1)
	v_add_f64_e32 v[30:31], v[110:111], v[30:31]
	v_add_f64_e32 v[30:31], v[84:85], v[30:31]
	s_wait_loadcnt 0x0
	v_add_f64_e32 v[32:33], v[32:33], v[34:35]
	scratch_load_b64 v[34:35], off, off offset:200 th:TH_LOAD_LU ; 8-byte Folded Reload
	v_add_f64_e32 v[32:33], v[32:33], v[182:183]
	s_delay_alu instid0(VALU_DEP_1) | instskip(NEXT) | instid1(VALU_DEP_1)
	v_add_f64_e32 v[32:33], v[32:33], v[108:109]
	v_add_f64_e32 v[32:33], v[32:33], v[86:87]
	s_wait_loadcnt 0x0
	v_add_f64_e32 v[34:35], v[34:35], v[36:37]
	s_clause 0x1
	scratch_load_b64 v[36:37], off, off th:TH_LOAD_LU
	scratch_load_b64 v[251:252], off, off offset:208 th:TH_LOAD_LU
	v_add_f64_e32 v[34:35], v[184:185], v[34:35]
	s_delay_alu instid0(VALU_DEP_1) | instskip(SKIP_4) | instid1(VALU_DEP_1)
	v_add_f64_e32 v[34:35], v[106:107], v[34:35]
	s_wait_loadcnt 0x0
	v_add_f64_e32 v[36:37], v[36:37], v[251:252]
	scratch_load_b64 v[251:252], off, off offset:216 th:TH_LOAD_LU ; 8-byte Folded Reload
	v_add_f64_e32 v[36:37], v[36:37], v[186:187]
	v_add_f64_e32 v[36:37], v[36:37], v[104:105]
	s_wait_loadcnt 0x0
	v_add_f64_e32 v[38:39], v[251:252], v[38:39]
	scratch_load_b64 v[251:252], off, off offset:224 th:TH_LOAD_LU ; 8-byte Folded Reload
	v_add_f64_e32 v[38:39], v[188:189], v[38:39]
	s_delay_alu instid0(VALU_DEP_1) | instskip(NEXT) | instid1(VALU_DEP_1)
	v_add_f64_e32 v[38:39], v[102:103], v[38:39]
	v_add_f64_e32 v[38:39], v[243:244], v[38:39]
	s_wait_loadcnt 0x0
	v_add_f64_e32 v[40:41], v[40:41], v[251:252]
	scratch_load_b64 v[251:252], off, off offset:232 th:TH_LOAD_LU ; 8-byte Folded Reload
	v_add_f64_e32 v[40:41], v[40:41], v[190:191]
	s_delay_alu instid0(VALU_DEP_1) | instskip(NEXT) | instid1(VALU_DEP_1)
	;; [unrolled: 7-line block ×6, first 2 shown]
	v_add_f64_e32 v[74:75], v[74:75], v[92:93]
	v_add_f64_e32 v[183:184], v[74:75], v[221:222]
	s_wait_loadcnt 0x0
	v_add_f64_e32 v[251:252], v[251:252], v[253:254]
	scratch_load_b64 v[253:254], off, off offset:272 th:TH_LOAD_LU ; 8-byte Folded Reload
	v_add_f64_e32 v[150:151], v[200:201], v[251:252]
	s_delay_alu instid0(VALU_DEP_1)
	v_add_f64_e32 v[72:73], v[72:73], v[150:151]
	s_wait_loadcnt 0x0
	v_add_f64_e32 v[253:254], v[211:212], v[253:254]
	s_clause 0x2
	scratch_load_b64 v[211:212], off, off offset:24 th:TH_LOAD_LU
	scratch_load_b64 v[148:149], off, off offset:280 th:TH_LOAD_LU
	scratch_load_b32 v139, off, off offset:320
	v_add_f64_e32 v[152:153], v[253:254], v[202:203]
	v_add_f64_e32 v[253:254], v[223:224], v[72:73]
	s_delay_alu instid0(VALU_DEP_2)
	v_add_f64_e32 v[50:51], v[152:153], v[50:51]
	s_wait_loadcnt 0x1
	v_add_f64_e32 v[211:212], v[148:149], v[211:212]
	scratch_load_b64 v[148:149], off, off offset:288 th:TH_LOAD_LU ; 8-byte Folded Reload
	v_add_f64_e32 v[154:155], v[204:205], v[211:212]
	v_add_f64_e32 v[211:212], v[50:51], v[225:226]
	s_delay_alu instid0(VALU_DEP_2)
	v_add_f64_e32 v[92:93], v[235:236], v[154:155]
	v_add_f64_e32 v[153:154], v[88:89], v[34:35]
	;; [unrolled: 1-line block ×3, first 2 shown]
	s_clause 0x2
	scratch_store_b64 off, v[28:29], off offset:16
	scratch_store_b64 off, v[32:33], off offset:8
	scratch_store_b64 off, v[34:35], off
	s_wait_loadcnt 0x0
	v_add_f64_e32 v[233:234], v[233:234], v[148:149]
	scratch_load_b64 v[148:149], off, off offset:296 th:TH_LOAD_LU ; 8-byte Folded Reload
	v_add_f64_e32 v[146:147], v[233:234], v[146:147]
	s_delay_alu instid0(VALU_DEP_1) | instskip(SKIP_4) | instid1(VALU_DEP_1)
	v_add_f64_e32 v[185:186], v[146:147], v[237:238]
	s_wait_loadcnt 0x0
	v_add_f64_e32 v[247:248], v[148:149], v[247:248]
	scratch_load_b64 v[148:149], off, off offset:304 th:TH_LOAD_LU ; 8-byte Folded Reload
	v_add_f64_e32 v[144:145], v[144:145], v[247:248]
	v_add_f64_e32 v[187:188], v[48:49], v[144:145]
	s_wait_loadcnt 0x0
	v_add_f64_e32 v[249:250], v[249:250], v[148:149]
	scratch_load_b64 v[148:149], off, off offset:312 th:TH_LOAD_LU ; 8-byte Folded Reload
	v_add_f64_e32 v[142:143], v[249:250], v[142:143]
	s_wait_loadcnt 0x0
	v_add_f64_e32 v[148:149], v[148:149], v[206:207]
	s_delay_alu instid0(VALU_DEP_2) | instskip(NEXT) | instid1(VALU_DEP_2)
	v_add_f64_e32 v[206:207], v[142:143], v[52:53]
	v_add_f64_e32 v[140:141], v[140:141], v[148:149]
	s_delay_alu instid0(VALU_DEP_1)
	v_add_f64_e32 v[251:252], v[54:55], v[140:141]
	scratch_load_b32 v140, off, off offset:324 ; 4-byte Folded Reload
	v_add_f64_e32 v[141:142], v[231:232], v[92:93]
	s_wait_loadcnt 0x0
	s_wait_storecnt 0x0
	s_barrier_signal -1
	s_barrier_wait -1
	global_inv scope:SCOPE_SE
	s_wait_alu 0xfffe
	s_cbranch_vccnz .LBB265_5
; %bb.6:                                ;   in Loop: Header=BB265_3 Depth=1
	s_clause 0x1
	scratch_load_b64 v[167:168], off, off offset:328
	scratch_load_b64 v[36:37], off, off offset:336
	v_mov_b32_e32 v138, 0
	s_branch .LBB265_8
.LBB265_7:                              ;   in Loop: Header=BB265_3 Depth=1
	v_mov_b32_e32 v28, 0
	v_dual_mov_b32 v32, 0 :: v_dual_mov_b32 v153, 0
	v_dual_mov_b32 v34, 0 :: v_dual_mov_b32 v29, 0
	;; [unrolled: 1-line block ×5, first 2 shown]
	v_mov_b32_e32 v0, 0
	v_mov_b32_e32 v4, 0
	;; [unrolled: 1-line block ×8, first 2 shown]
	v_dual_mov_b32 v44, 0 :: v_dual_mov_b32 v183, 0
	v_dual_mov_b32 v211, 0 :: v_dual_mov_b32 v186, 0
	;; [unrolled: 1-line block ×3, first 2 shown]
	v_mov_b32_e32 v251, 0
	v_dual_mov_b32 v1, 0 :: v_dual_mov_b32 v2, 0
	v_dual_mov_b32 v5, 0 :: v_dual_mov_b32 v6, 0
	v_dual_mov_b32 v9, 0 :: v_dual_mov_b32 v10, 0
	v_dual_mov_b32 v13, 0 :: v_dual_mov_b32 v14, 0
	v_dual_mov_b32 v17, 0 :: v_dual_mov_b32 v18, 0
	v_dual_mov_b32 v21, 0 :: v_dual_mov_b32 v22, 0
	v_dual_mov_b32 v25, 0 :: v_dual_mov_b32 v26, 0
	v_dual_mov_b32 v41, 0 :: v_dual_mov_b32 v42, 0
	v_dual_mov_b32 v45, 0 :: v_dual_mov_b32 v46, 0
	v_dual_mov_b32 v184, 0 :: v_dual_mov_b32 v253, 0
	v_dual_mov_b32 v212, 0 :: v_dual_mov_b32 v141, 0
	v_dual_mov_b32 v188, 0 :: v_dual_mov_b32 v207, 0
	v_dual_mov_b32 v252, 0 :: v_dual_mov_b32 v3, 0
	v_mov_b32_e32 v7, 0
	v_mov_b32_e32 v11, 0
	;; [unrolled: 1-line block ×6, first 2 shown]
	s_clause 0x2
	scratch_store_b64 off, v[28:29], off offset:16
	scratch_store_b64 off, v[32:33], off offset:8
	scratch_store_b64 off, v[34:35], off
	v_mov_b32_e32 v31, 0
	v_mov_b32_e32 v39, 0
	;; [unrolled: 1-line block ×3, first 2 shown]
	v_dual_mov_b32 v47, 0 :: v_dual_mov_b32 v254, 0
	v_mov_b32_e32 v142, 0
.LBB265_8:                              ;   in Loop: Header=BB265_3 Depth=1
	s_wait_loadcnt 0x0
	v_add_co_u32 v76, vcc_lo, v36, s18
	v_dual_mov_b32 v160, v23 :: v_dual_mov_b32 v159, v22
	v_dual_mov_b32 v158, v27 :: v_dual_mov_b32 v157, v26
	;; [unrolled: 1-line block ×15, first 2 shown]
	s_wait_alu 0xfffd
	v_add_co_ci_u32_e64 v77, null, s19, v37, vcc_lo
	s_and_not1_b32 vcc_lo, exec_lo, s27
	s_mov_b32 s1, -1
                                        ; implicit-def: $vgpr72_vgpr73
                                        ; implicit-def: $vgpr74_vgpr75
	s_wait_alu 0xfffe
	s_cbranch_vccz .LBB265_10
; %bb.9:                                ;   in Loop: Header=BB265_3 Depth=1
	s_and_not1_b32 vcc_lo, exec_lo, s1
	s_wait_alu 0xfffe
	s_cbranch_vccnz .LBB265_2
	s_branch .LBB265_11
.LBB265_10:                             ;   in Loop: Header=BB265_3 Depth=1
	v_mul_f64_e32 v[0:1], s[40:41], v[187:188]
	v_dual_mov_b32 v10, v179 :: v_dual_mov_b32 v11, v180
	v_dual_mov_b32 v14, v175 :: v_dual_mov_b32 v15, v176
	;; [unrolled: 1-line block ×3, first 2 shown]
	s_delay_alu instid0(VALU_DEP_3) | instskip(SKIP_1) | instid1(VALU_DEP_4)
	v_mul_f64_e32 v[8:9], s[40:41], v[10:11]
	v_mul_f64_e32 v[10:11], s[38:39], v[10:11]
	;; [unrolled: 1-line block ×4, first 2 shown]
	v_dual_mov_b32 v75, v17 :: v_dual_mov_b32 v74, v16
	v_mul_f64_e32 v[16:17], s[40:41], v[18:19]
	v_mul_f64_e32 v[18:19], s[38:39], v[18:19]
	v_dual_mov_b32 v22, v165 :: v_dual_mov_b32 v23, v166
	v_dual_mov_b32 v73, v21 :: v_dual_mov_b32 v72, v20
	s_clause 0x1
	scratch_load_b64 v[32:33], off, off offset:344
	scratch_load_b64 v[34:35], off, off offset:352
	v_mul_f64_e32 v[20:21], s[40:41], v[22:23]
	v_mul_f64_e32 v[22:23], s[38:39], v[22:23]
	;; [unrolled: 1-line block ×5, first 2 shown]
	v_dual_mov_b32 v26, v161 :: v_dual_mov_b32 v27, v162
	v_dual_mov_b32 v42, v155 :: v_dual_mov_b32 v43, v156
	;; [unrolled: 1-line block ×3, first 2 shown]
	s_delay_alu instid0(VALU_DEP_3)
	v_mul_f64_e32 v[24:25], s[40:41], v[26:27]
	v_dual_mov_b32 v38, v157 :: v_dual_mov_b32 v39, v158
	v_dual_mov_b32 v63, v41 :: v_dual_mov_b32 v62, v40
	v_mul_f64_e32 v[40:41], s[40:41], v[42:43]
	v_fma_f64 v[78:79], s[38:39], v[185:186], -v[0:1]
	v_dual_mov_b32 v0, v177 :: v_dual_mov_b32 v1, v178
	v_dual_mov_b32 v54, v149 :: v_dual_mov_b32 v55, v150
	;; [unrolled: 1-line block ×4, first 2 shown]
	s_delay_alu instid0(VALU_DEP_4) | instskip(SKIP_4) | instid1(VALU_DEP_4)
	v_fma_f64 v[88:89], s[40:41], v[0:1], v[10:11]
	v_dual_mov_b32 v10, v173 :: v_dual_mov_b32 v11, v174
	v_mul_f64_e32 v[44:45], s[40:41], v[153:154]
	v_dual_mov_b32 v50, v151 :: v_dual_mov_b32 v51, v152
	v_dual_mov_b32 v60, v147 :: v_dual_mov_b32 v61, v148
	v_fma_f64 v[90:91], s[38:39], v[10:11], -v[12:13]
	v_fma_f64 v[92:93], s[40:41], v[10:11], v[14:15]
	v_dual_mov_b32 v10, v169 :: v_dual_mov_b32 v11, v170
	scratch_load_b64 v[12:13], off, off     ; 8-byte Folded Reload
	v_mul_f64_e32 v[26:27], s[38:39], v[26:27]
	v_mul_f64_e32 v[36:37], s[40:41], v[38:39]
	;; [unrolled: 1-line block ×3, first 2 shown]
	v_fma_f64 v[94:95], s[38:39], v[10:11], -v[16:17]
	v_fma_f64 v[96:97], s[40:41], v[10:11], v[18:19]
	v_dual_mov_b32 v10, v163 :: v_dual_mov_b32 v11, v164
	scratch_load_b64 v[18:19], off, off offset:8 ; 8-byte Folded Reload
	v_mul_f64_e32 v[46:47], s[38:39], v[153:154]
	v_mul_f64_e32 v[52:53], s[40:41], v[54:55]
	;; [unrolled: 1-line block ×3, first 2 shown]
	v_fma_f64 v[100:101], s[40:41], v[10:11], v[22:23]
	scratch_load_b64 v[22:23], off, off offset:16 ; 8-byte Folded Reload
	v_fma_f64 v[80:81], s[40:41], v[185:186], v[2:3]
	v_fma_f64 v[82:83], s[38:39], v[206:207], -v[4:5]
	v_fma_f64 v[86:87], s[38:39], v[0:1], -v[8:9]
	v_mul_f64_e32 v[2:3], s[40:41], v[253:254]
	v_mul_f64_e32 v[4:5], s[38:39], v[253:254]
	;; [unrolled: 1-line block ×9, first 2 shown]
	v_fma_f64 v[84:85], s[40:41], v[206:207], v[6:7]
	v_mul_f64_e32 v[0:1], s[38:39], v[60:61]
	v_mul_f64_e32 v[6:7], s[40:41], v[141:142]
	v_dual_mov_b32 v16, v74 :: v_dual_mov_b32 v17, v75
	v_fma_f64 v[98:99], s[38:39], v[10:11], -v[20:21]
	v_dual_mov_b32 v20, v72 :: v_dual_mov_b32 v21, v73
	s_delay_alu instid0(VALU_DEP_3) | instskip(SKIP_2) | instid1(VALU_DEP_2)
	v_fma_f64 v[102:103], s[38:39], v[16:17], -v[24:25]
	v_dual_mov_b32 v24, v70 :: v_dual_mov_b32 v25, v71
	v_fma_f64 v[104:105], s[40:41], v[16:17], v[26:27]
	v_fma_f64 v[110:111], s[38:39], v[24:25], -v[36:37]
	v_fma_f64 v[112:113], s[40:41], v[24:25], v[38:39]
	v_fma_f64 v[134:135], s[38:39], v[183:184], -v[2:3]
	v_fma_f64 v[136:137], s[40:41], v[183:184], v[4:5]
	v_fma_f64 v[72:73], s[40:41], v[211:212], v[8:9]
	v_fma_f64 v[106:107], s[38:39], v[20:21], -v[28:29]
	v_fma_f64 v[108:109], s[40:41], v[20:21], v[30:31]
	s_wait_loadcnt 0x4
	v_lshlrev_b64_e32 v[32:33], 4, v[32:33]
	s_wait_loadcnt 0x3
	v_lshlrev_b64_e32 v[34:35], 4, v[34:35]
	s_delay_alu instid0(VALU_DEP_2) | instskip(SKIP_1) | instid1(VALU_DEP_3)
	v_add_co_u32 v32, vcc_lo, v76, v32
	s_wait_alu 0xfffd
	v_add_co_ci_u32_e64 v33, null, v77, v33, vcc_lo
	s_delay_alu instid0(VALU_DEP_2) | instskip(SKIP_1) | instid1(VALU_DEP_2)
	v_add_co_u32 v10, vcc_lo, v32, v34
	s_wait_alu 0xfffd
	v_add_co_ci_u32_e64 v11, null, v33, v35, vcc_lo
	v_add_co_u32 v14, vcc_lo, v32, s22
	s_wait_alu 0xfffd
	v_add_co_ci_u32_e64 v15, null, s23, v33, vcc_lo
	s_wait_loadcnt 0x2
	v_fma_f64 v[122:123], s[38:39], v[12:13], -v[48:49]
	v_fma_f64 v[124:125], s[40:41], v[12:13], v[50:51]
	v_add_co_u32 v12, vcc_lo, v14, v34
	s_wait_alu 0xfffd
	v_add_co_ci_u32_e64 v13, null, v15, v35, vcc_lo
	v_add_co_u32 v4, vcc_lo, v14, s22
	s_wait_loadcnt 0x1
	v_fma_f64 v[118:119], s[38:39], v[18:19], -v[44:45]
	v_dual_mov_b32 v44, v58 :: v_dual_mov_b32 v45, v59
	v_fma_f64 v[120:121], s[40:41], v[18:19], v[46:47]
	s_wait_alu 0xfffd
	v_add_co_ci_u32_e64 v5, null, s23, v15, vcc_lo
	s_wait_loadcnt 0x0
	v_fma_f64 v[114:115], s[38:39], v[22:23], -v[40:41]
	v_dual_mov_b32 v40, v62 :: v_dual_mov_b32 v41, v63
	v_fma_f64 v[116:117], s[40:41], v[22:23], v[42:43]
	v_fma_f64 v[130:131], s[38:39], v[44:45], -v[56:57]
	v_fma_f64 v[132:133], s[40:41], v[44:45], v[0:1]
	v_fma_f64 v[0:1], s[38:39], v[211:212], -v[6:7]
	v_fma_f64 v[126:127], s[38:39], v[40:41], -v[52:53]
	v_fma_f64 v[128:129], s[40:41], v[40:41], v[54:55]
	v_add_co_u32 v2, vcc_lo, v4, v34
	s_wait_alu 0xfffd
	v_add_co_ci_u32_e64 v3, null, v5, v35, vcc_lo
	v_add_co_u32 v4, vcc_lo, v4, s22
	s_wait_alu 0xfffd
	v_add_co_ci_u32_e64 v5, null, s23, v5, vcc_lo
	s_clause 0x5
	flat_store_b128 v[10:11], v[78:81]
	flat_store_b128 v[10:11], v[82:85] offset:256
	flat_store_b128 v[10:11], v[86:89] offset:512
	;; [unrolled: 1-line block ×3, first 2 shown]
	flat_store_b128 v[12:13], v[94:97]
	flat_store_b128 v[12:13], v[98:101] offset:256
	v_add_co_u32 v4, vcc_lo, v4, v34
	s_wait_alu 0xfffd
	v_add_co_ci_u32_e64 v5, null, v5, v35, vcc_lo
	s_clause 0x1
	flat_store_b128 v[12:13], v[102:105] offset:512
	flat_store_b128 v[12:13], v[106:109] offset:768
	v_add_co_u32 v74, vcc_lo, 0x300, v4
	s_wait_alu 0xfffd
	v_add_co_ci_u32_e64 v75, null, 0, v5, vcc_lo
	s_clause 0x7
	flat_store_b128 v[2:3], v[110:113]
	flat_store_b128 v[2:3], v[114:117] offset:256
	flat_store_b128 v[2:3], v[118:121] offset:512
	flat_store_b128 v[2:3], v[122:125] offset:768
	flat_store_b128 v[4:5], v[126:129]
	flat_store_b128 v[4:5], v[130:133] offset:256
	flat_store_b128 v[4:5], v[134:137] offset:512
	flat_store_b64 v[4:5], v[0:1] offset:768
	s_cbranch_execnz .LBB265_2
.LBB265_11:                             ;   in Loop: Header=BB265_3 Depth=1
	s_clause 0x1
	scratch_load_b64 v[0:1], off, off offset:352
	scratch_load_b64 v[4:5], off, off offset:376
	v_add_co_u32 v2, vcc_lo, v167, s14
	s_wait_alu 0xfffd
	v_add_co_ci_u32_e64 v3, null, s15, v168, vcc_lo
	v_mul_f64_e32 v[6:7], s[38:39], v[187:188]
	v_dual_mov_b32 v19, v17 :: v_dual_mov_b32 v18, v16
	scratch_load_b64 v[22:23], off, off offset:16 th:TH_LOAD_LU ; 8-byte Folded Reload
	v_fma_f64 v[6:7], s[40:41], v[185:186], v[6:7]
	s_wait_loadcnt 0x2
	v_lshlrev_b64_e32 v[0:1], 4, v[0:1]
	s_wait_loadcnt 0x1
	v_add_co_u32 v14, vcc_lo, v2, v4
	s_wait_alu 0xfffd
	v_add_co_ci_u32_e64 v15, null, v3, v5, vcc_lo
	v_mul_f64_e32 v[4:5], s[40:41], v[187:188]
	s_delay_alu instid0(VALU_DEP_3) | instskip(SKIP_1) | instid1(VALU_DEP_3)
	v_add_co_u32 v2, vcc_lo, v14, v0
	s_wait_alu 0xfffd
	v_add_co_ci_u32_e64 v3, null, v15, v1, vcc_lo
	flat_load_b128 v[72:75], v[2:3]
	v_fma_f64 v[4:5], s[38:39], v[185:186], -v[4:5]
	s_wait_loadcnt_dscnt 0x0
	v_mul_f64_e32 v[8:9], s[8:9], v[74:75]
	v_mul_f64_e32 v[10:11], s[6:7], v[74:75]
	s_delay_alu instid0(VALU_DEP_2) | instskip(NEXT) | instid1(VALU_DEP_2)
	v_fma_f64 v[8:9], s[6:7], v[72:73], -v[8:9]
	v_fma_f64 v[10:11], s[8:9], v[72:73], v[10:11]
	s_delay_alu instid0(VALU_DEP_2) | instskip(SKIP_4) | instid1(VALU_DEP_2)
	v_add_f64_e32 v[68:69], v[4:5], v[8:9]
	scratch_load_b64 v[4:5], off, off offset:344 ; 8-byte Folded Reload
	v_add_f64_e32 v[70:71], v[6:7], v[10:11]
	v_mul_f64_e32 v[6:7], s[40:41], v[251:252]
	v_mul_f64_e32 v[8:9], s[38:39], v[251:252]
	v_fma_f64 v[6:7], s[38:39], v[206:207], -v[6:7]
	s_delay_alu instid0(VALU_DEP_2) | instskip(SKIP_2) | instid1(VALU_DEP_1)
	v_fma_f64 v[8:9], s[40:41], v[206:207], v[8:9]
	s_wait_loadcnt 0x0
	v_lshlrev_b64_e32 v[4:5], 4, v[4:5]
	v_add_co_u32 v16, vcc_lo, v76, v4
	s_wait_alu 0xfffd
	s_delay_alu instid0(VALU_DEP_2) | instskip(NEXT) | instid1(VALU_DEP_2)
	v_add_co_ci_u32_e64 v17, null, v77, v5, vcc_lo
	v_add_co_u32 v4, vcc_lo, v16, v0
	s_wait_alu 0xfffd
	s_delay_alu instid0(VALU_DEP_2)
	v_add_co_ci_u32_e64 v5, null, v17, v1, vcc_lo
	v_add_co_u32 v14, vcc_lo, v14, s20
	s_wait_alu 0xfffd
	v_add_co_ci_u32_e64 v15, null, s21, v15, vcc_lo
	flat_store_b128 v[4:5], v[68:71]
	flat_load_b128 v[68:71], v[2:3] offset:256
	s_wait_loadcnt_dscnt 0x0
	v_mul_f64_e32 v[10:11], s[8:9], v[70:71]
	v_mul_f64_e32 v[12:13], s[6:7], v[70:71]
	s_delay_alu instid0(VALU_DEP_2) | instskip(NEXT) | instid1(VALU_DEP_2)
	v_fma_f64 v[10:11], s[6:7], v[68:69], -v[10:11]
	v_fma_f64 v[12:13], s[8:9], v[68:69], v[12:13]
	s_delay_alu instid0(VALU_DEP_2) | instskip(NEXT) | instid1(VALU_DEP_2)
	v_add_f64_e32 v[64:65], v[6:7], v[10:11]
	v_add_f64_e32 v[66:67], v[8:9], v[12:13]
	v_mul_f64_e32 v[6:7], s[40:41], v[179:180]
	v_mul_f64_e32 v[8:9], s[38:39], v[179:180]
	flat_store_b128 v[4:5], v[64:67] offset:256
	flat_load_b128 v[64:67], v[2:3] offset:512
	v_fma_f64 v[6:7], s[38:39], v[177:178], -v[6:7]
	v_fma_f64 v[8:9], s[40:41], v[177:178], v[8:9]
	s_wait_loadcnt_dscnt 0x0
	v_mul_f64_e32 v[10:11], s[8:9], v[66:67]
	v_mul_f64_e32 v[12:13], s[6:7], v[66:67]
	s_delay_alu instid0(VALU_DEP_2) | instskip(NEXT) | instid1(VALU_DEP_2)
	v_fma_f64 v[10:11], s[6:7], v[64:65], -v[10:11]
	v_fma_f64 v[12:13], s[8:9], v[64:65], v[12:13]
	s_delay_alu instid0(VALU_DEP_2) | instskip(NEXT) | instid1(VALU_DEP_2)
	v_add_f64_e32 v[60:61], v[6:7], v[10:11]
	v_add_f64_e32 v[62:63], v[8:9], v[12:13]
	v_mul_f64_e32 v[6:7], s[38:39], v[175:176]
	flat_store_b128 v[4:5], v[60:63] offset:512
	flat_load_b128 v[60:63], v[2:3] offset:768
	v_mul_f64_e32 v[2:3], s[40:41], v[175:176]
	v_fma_f64 v[6:7], s[40:41], v[173:174], v[6:7]
	s_delay_alu instid0(VALU_DEP_2) | instskip(SKIP_3) | instid1(VALU_DEP_2)
	v_fma_f64 v[2:3], s[38:39], v[173:174], -v[2:3]
	s_wait_loadcnt_dscnt 0x0
	v_mul_f64_e32 v[8:9], s[8:9], v[62:63]
	v_mul_f64_e32 v[10:11], s[6:7], v[62:63]
	v_fma_f64 v[8:9], s[6:7], v[60:61], -v[8:9]
	s_delay_alu instid0(VALU_DEP_2) | instskip(NEXT) | instid1(VALU_DEP_2)
	v_fma_f64 v[10:11], s[8:9], v[60:61], v[10:11]
	v_add_f64_e32 v[56:57], v[2:3], v[8:9]
	s_delay_alu instid0(VALU_DEP_2)
	v_add_f64_e32 v[58:59], v[6:7], v[10:11]
	v_add_co_u32 v2, vcc_lo, v14, v0
	s_wait_alu 0xfffd
	v_add_co_ci_u32_e64 v3, null, v15, v1, vcc_lo
	v_mul_f64_e32 v[6:7], s[38:39], v[171:172]
	v_add_co_u32 v16, vcc_lo, v16, s22
	s_wait_alu 0xfffd
	v_add_co_ci_u32_e64 v17, null, s23, v17, vcc_lo
	flat_store_b128 v[4:5], v[56:59] offset:768
	flat_load_b128 v[56:59], v[2:3]
	v_mul_f64_e32 v[4:5], s[40:41], v[171:172]
	v_fma_f64 v[6:7], s[40:41], v[169:170], v[6:7]
	s_delay_alu instid0(VALU_DEP_2) | instskip(SKIP_3) | instid1(VALU_DEP_2)
	v_fma_f64 v[4:5], s[38:39], v[169:170], -v[4:5]
	s_wait_loadcnt_dscnt 0x0
	v_mul_f64_e32 v[8:9], s[8:9], v[58:59]
	v_mul_f64_e32 v[10:11], s[6:7], v[58:59]
	v_fma_f64 v[8:9], s[6:7], v[56:57], -v[8:9]
	s_delay_alu instid0(VALU_DEP_2) | instskip(NEXT) | instid1(VALU_DEP_2)
	v_fma_f64 v[10:11], s[8:9], v[56:57], v[10:11]
	v_add_f64_e32 v[50:51], v[4:5], v[8:9]
	s_delay_alu instid0(VALU_DEP_2)
	v_add_f64_e32 v[52:53], v[6:7], v[10:11]
	v_add_co_u32 v4, vcc_lo, v16, v0
	s_wait_alu 0xfffd
	v_add_co_ci_u32_e64 v5, null, v17, v1, vcc_lo
	v_mul_f64_e32 v[6:7], s[40:41], v[165:166]
	v_mul_f64_e32 v[8:9], s[38:39], v[165:166]
	v_add_co_u32 v14, vcc_lo, v14, s20
	s_wait_alu 0xfffd
	v_add_co_ci_u32_e64 v15, null, s21, v15, vcc_lo
	flat_store_b128 v[4:5], v[50:53]
	flat_load_b128 v[50:53], v[2:3] offset:256
	v_fma_f64 v[6:7], s[38:39], v[163:164], -v[6:7]
	v_fma_f64 v[8:9], s[40:41], v[163:164], v[8:9]
	s_wait_loadcnt_dscnt 0x0
	v_mul_f64_e32 v[10:11], s[8:9], v[52:53]
	v_mul_f64_e32 v[12:13], s[6:7], v[52:53]
	s_delay_alu instid0(VALU_DEP_2) | instskip(NEXT) | instid1(VALU_DEP_2)
	v_fma_f64 v[10:11], s[6:7], v[50:51], -v[10:11]
	v_fma_f64 v[12:13], s[8:9], v[50:51], v[12:13]
	s_delay_alu instid0(VALU_DEP_2) | instskip(NEXT) | instid1(VALU_DEP_2)
	v_add_f64_e32 v[46:47], v[6:7], v[10:11]
	v_add_f64_e32 v[48:49], v[8:9], v[12:13]
	v_mul_f64_e32 v[6:7], s[40:41], v[161:162]
	v_mul_f64_e32 v[8:9], s[38:39], v[161:162]
	flat_store_b128 v[4:5], v[46:49] offset:256
	flat_load_b128 v[46:49], v[2:3] offset:512
	v_fma_f64 v[6:7], s[38:39], v[18:19], -v[6:7]
	v_fma_f64 v[8:9], s[40:41], v[18:19], v[8:9]
	v_dual_mov_b32 v18, v40 :: v_dual_mov_b32 v19, v41
	s_wait_loadcnt_dscnt 0x0
	v_mul_f64_e32 v[10:11], s[8:9], v[48:49]
	v_mul_f64_e32 v[12:13], s[6:7], v[48:49]
	s_delay_alu instid0(VALU_DEP_2) | instskip(NEXT) | instid1(VALU_DEP_2)
	v_fma_f64 v[10:11], s[6:7], v[46:47], -v[10:11]
	v_fma_f64 v[12:13], s[8:9], v[46:47], v[12:13]
	v_dual_mov_b32 v47, v45 :: v_dual_mov_b32 v46, v44
	s_delay_alu instid0(VALU_DEP_3) | instskip(NEXT) | instid1(VALU_DEP_3)
	v_add_f64_e32 v[42:43], v[6:7], v[10:11]
	v_add_f64_e32 v[44:45], v[8:9], v[12:13]
	v_mul_f64_e32 v[6:7], s[38:39], v[159:160]
	flat_store_b128 v[4:5], v[42:45] offset:512
	flat_load_b128 v[42:45], v[2:3] offset:768
	v_mul_f64_e32 v[2:3], s[40:41], v[159:160]
	v_fma_f64 v[6:7], s[40:41], v[20:21], v[6:7]
	s_delay_alu instid0(VALU_DEP_2) | instskip(SKIP_4) | instid1(VALU_DEP_2)
	v_fma_f64 v[2:3], s[38:39], v[20:21], -v[2:3]
	scratch_load_b64 v[20:21], off, off th:TH_LOAD_LU ; 8-byte Folded Reload
	s_wait_loadcnt_dscnt 0x100
	v_mul_f64_e32 v[8:9], s[8:9], v[44:45]
	v_mul_f64_e32 v[10:11], s[6:7], v[44:45]
	v_fma_f64 v[8:9], s[6:7], v[42:43], -v[8:9]
	s_delay_alu instid0(VALU_DEP_2) | instskip(NEXT) | instid1(VALU_DEP_2)
	v_fma_f64 v[10:11], s[8:9], v[42:43], v[10:11]
	v_add_f64_e32 v[38:39], v[2:3], v[8:9]
	s_delay_alu instid0(VALU_DEP_2)
	v_add_f64_e32 v[40:41], v[6:7], v[10:11]
	v_add_co_u32 v2, vcc_lo, v14, v0
	s_wait_alu 0xfffd
	v_add_co_ci_u32_e64 v3, null, v15, v1, vcc_lo
	v_mul_f64_e32 v[6:7], s[38:39], v[157:158]
	v_add_co_u32 v16, vcc_lo, v16, s22
	s_wait_alu 0xfffd
	v_add_co_ci_u32_e64 v17, null, s23, v17, vcc_lo
	flat_store_b128 v[4:5], v[38:41] offset:768
	flat_load_b128 v[38:41], v[2:3]
	v_mul_f64_e32 v[4:5], s[40:41], v[157:158]
	v_fma_f64 v[6:7], s[40:41], v[24:25], v[6:7]
	s_delay_alu instid0(VALU_DEP_2) | instskip(SKIP_3) | instid1(VALU_DEP_2)
	v_fma_f64 v[4:5], s[38:39], v[24:25], -v[4:5]
	s_wait_loadcnt_dscnt 0x0
	v_mul_f64_e32 v[8:9], s[8:9], v[40:41]
	v_mul_f64_e32 v[10:11], s[6:7], v[40:41]
	v_fma_f64 v[8:9], s[6:7], v[38:39], -v[8:9]
	s_delay_alu instid0(VALU_DEP_2) | instskip(NEXT) | instid1(VALU_DEP_2)
	v_fma_f64 v[10:11], s[8:9], v[38:39], v[10:11]
	v_add_f64_e32 v[34:35], v[4:5], v[8:9]
	s_delay_alu instid0(VALU_DEP_2)
	v_add_f64_e32 v[36:37], v[6:7], v[10:11]
	v_add_co_u32 v4, vcc_lo, v16, v0
	s_wait_alu 0xfffd
	v_add_co_ci_u32_e64 v5, null, v17, v1, vcc_lo
	v_mul_f64_e32 v[6:7], s[40:41], v[155:156]
	v_mul_f64_e32 v[8:9], s[38:39], v[155:156]
	flat_store_b128 v[4:5], v[34:37]
	flat_load_b128 v[34:37], v[2:3] offset:256
	v_fma_f64 v[6:7], s[38:39], v[22:23], -v[6:7]
	v_fma_f64 v[8:9], s[40:41], v[22:23], v[8:9]
	scratch_load_b64 v[22:23], off, off offset:8 th:TH_LOAD_LU ; 8-byte Folded Reload
	s_wait_loadcnt_dscnt 0x100
	v_mul_f64_e32 v[10:11], s[8:9], v[36:37]
	v_mul_f64_e32 v[12:13], s[6:7], v[36:37]
	s_delay_alu instid0(VALU_DEP_2) | instskip(NEXT) | instid1(VALU_DEP_2)
	v_fma_f64 v[10:11], s[6:7], v[34:35], -v[10:11]
	v_fma_f64 v[12:13], s[8:9], v[34:35], v[12:13]
	s_delay_alu instid0(VALU_DEP_2) | instskip(NEXT) | instid1(VALU_DEP_2)
	v_add_f64_e32 v[30:31], v[6:7], v[10:11]
	v_add_f64_e32 v[32:33], v[8:9], v[12:13]
	v_mul_f64_e32 v[6:7], s[40:41], v[153:154]
	v_mul_f64_e32 v[8:9], s[38:39], v[153:154]
	flat_store_b128 v[4:5], v[30:33] offset:256
	flat_load_b128 v[30:33], v[2:3] offset:512
	s_wait_loadcnt 0x1
	v_fma_f64 v[6:7], s[38:39], v[22:23], -v[6:7]
	v_fma_f64 v[8:9], s[40:41], v[22:23], v[8:9]
	s_wait_loadcnt_dscnt 0x0
	v_mul_f64_e32 v[10:11], s[8:9], v[32:33]
	v_mul_f64_e32 v[12:13], s[6:7], v[32:33]
	s_delay_alu instid0(VALU_DEP_2) | instskip(NEXT) | instid1(VALU_DEP_2)
	v_fma_f64 v[10:11], s[6:7], v[30:31], -v[10:11]
	v_fma_f64 v[12:13], s[8:9], v[30:31], v[12:13]
	s_delay_alu instid0(VALU_DEP_2) | instskip(NEXT) | instid1(VALU_DEP_2)
	v_add_f64_e32 v[26:27], v[6:7], v[10:11]
	v_add_f64_e32 v[28:29], v[8:9], v[12:13]
	v_mul_f64_e32 v[6:7], s[38:39], v[151:152]
	flat_store_b128 v[4:5], v[26:29] offset:512
	flat_load_b128 v[26:29], v[2:3] offset:768
	v_mul_f64_e32 v[2:3], s[40:41], v[151:152]
	v_fma_f64 v[6:7], s[40:41], v[20:21], v[6:7]
	s_delay_alu instid0(VALU_DEP_2) | instskip(SKIP_3) | instid1(VALU_DEP_2)
	v_fma_f64 v[2:3], s[38:39], v[20:21], -v[2:3]
	s_wait_loadcnt_dscnt 0x0
	v_mul_f64_e32 v[8:9], s[8:9], v[28:29]
	v_mul_f64_e32 v[10:11], s[6:7], v[28:29]
	v_fma_f64 v[8:9], s[6:7], v[26:27], -v[8:9]
	s_delay_alu instid0(VALU_DEP_2) | instskip(NEXT) | instid1(VALU_DEP_2)
	v_fma_f64 v[10:11], s[8:9], v[26:27], v[10:11]
	v_add_f64_e32 v[22:23], v[2:3], v[8:9]
	s_delay_alu instid0(VALU_DEP_2) | instskip(SKIP_4) | instid1(VALU_DEP_3)
	v_add_f64_e32 v[24:25], v[6:7], v[10:11]
	v_add_co_u32 v2, vcc_lo, v14, s20
	s_wait_alu 0xfffd
	v_add_co_ci_u32_e64 v3, null, s21, v15, vcc_lo
	v_mul_f64_e32 v[6:7], s[38:39], v[149:150]
	v_add_co_u32 v2, vcc_lo, v2, v0
	s_wait_alu 0xfffd
	s_delay_alu instid0(VALU_DEP_3) | instskip(SKIP_4) | instid1(VALU_DEP_2)
	v_add_co_ci_u32_e64 v3, null, v3, v1, vcc_lo
	flat_store_b128 v[4:5], v[22:25] offset:768
	flat_load_b128 v[22:25], v[2:3]
	v_mul_f64_e32 v[4:5], s[40:41], v[149:150]
	v_fma_f64 v[6:7], s[40:41], v[18:19], v[6:7]
	v_fma_f64 v[4:5], s[38:39], v[18:19], -v[4:5]
	s_wait_loadcnt_dscnt 0x0
	v_mul_f64_e32 v[8:9], s[8:9], v[24:25]
	v_mul_f64_e32 v[10:11], s[6:7], v[24:25]
	s_delay_alu instid0(VALU_DEP_2) | instskip(NEXT) | instid1(VALU_DEP_2)
	v_fma_f64 v[8:9], s[6:7], v[22:23], -v[8:9]
	v_fma_f64 v[10:11], s[8:9], v[22:23], v[10:11]
	s_delay_alu instid0(VALU_DEP_2) | instskip(NEXT) | instid1(VALU_DEP_2)
	v_add_f64_e32 v[18:19], v[4:5], v[8:9]
	v_add_f64_e32 v[20:21], v[6:7], v[10:11]
	v_add_co_u32 v4, vcc_lo, v16, s22
	s_wait_alu 0xfffd
	v_add_co_ci_u32_e64 v5, null, s23, v17, vcc_lo
	v_mul_f64_e32 v[6:7], s[38:39], v[147:148]
	s_delay_alu instid0(VALU_DEP_3) | instskip(SKIP_1) | instid1(VALU_DEP_3)
	v_add_co_u32 v0, vcc_lo, v4, v0
	s_wait_alu 0xfffd
	v_add_co_ci_u32_e64 v1, null, v5, v1, vcc_lo
	v_mul_f64_e32 v[4:5], s[40:41], v[147:148]
	s_delay_alu instid0(VALU_DEP_3) | instskip(SKIP_1) | instid1(VALU_DEP_3)
	v_add_co_u32 v74, vcc_lo, 0x300, v0
	s_wait_alu 0xfffd
	v_add_co_ci_u32_e64 v75, null, 0, v1, vcc_lo
	flat_store_b128 v[0:1], v[18:21]
	flat_load_b128 v[18:21], v[2:3] offset:256
	v_fma_f64 v[6:7], s[40:41], v[46:47], v[6:7]
	v_fma_f64 v[4:5], s[38:39], v[46:47], -v[4:5]
	s_wait_loadcnt_dscnt 0x0
	v_mul_f64_e32 v[8:9], s[8:9], v[20:21]
	v_mul_f64_e32 v[10:11], s[6:7], v[20:21]
	s_delay_alu instid0(VALU_DEP_2) | instskip(NEXT) | instid1(VALU_DEP_2)
	v_fma_f64 v[8:9], s[6:7], v[18:19], -v[8:9]
	v_fma_f64 v[10:11], s[8:9], v[18:19], v[10:11]
	s_delay_alu instid0(VALU_DEP_2) | instskip(NEXT) | instid1(VALU_DEP_2)
	v_add_f64_e32 v[14:15], v[4:5], v[8:9]
	v_add_f64_e32 v[16:17], v[6:7], v[10:11]
	v_mul_f64_e32 v[4:5], s[40:41], v[253:254]
	v_mul_f64_e32 v[6:7], s[38:39], v[253:254]
	flat_store_b128 v[0:1], v[14:17] offset:256
	flat_load_b128 v[14:17], v[2:3] offset:512
	v_fma_f64 v[4:5], s[38:39], v[183:184], -v[4:5]
	v_fma_f64 v[6:7], s[40:41], v[183:184], v[6:7]
	s_wait_loadcnt_dscnt 0x0
	v_mul_f64_e32 v[8:9], s[8:9], v[16:17]
	v_mul_f64_e32 v[10:11], s[6:7], v[16:17]
	s_delay_alu instid0(VALU_DEP_2) | instskip(NEXT) | instid1(VALU_DEP_2)
	v_fma_f64 v[8:9], s[6:7], v[14:15], -v[8:9]
	v_fma_f64 v[12:13], s[8:9], v[14:15], v[10:11]
	s_delay_alu instid0(VALU_DEP_2) | instskip(NEXT) | instid1(VALU_DEP_2)
	v_add_f64_e32 v[10:11], v[4:5], v[8:9]
	v_add_f64_e32 v[12:13], v[6:7], v[12:13]
	v_mul_f64_e32 v[4:5], s[38:39], v[141:142]
	flat_store_b128 v[0:1], v[10:13] offset:512
	flat_load_b128 v[10:13], v[2:3] offset:768
	v_mul_f64_e32 v[2:3], s[40:41], v[141:142]
	v_fma_f64 v[4:5], s[40:41], v[211:212], v[4:5]
	s_delay_alu instid0(VALU_DEP_2) | instskip(SKIP_3) | instid1(VALU_DEP_2)
	v_fma_f64 v[2:3], s[38:39], v[211:212], -v[2:3]
	s_wait_loadcnt_dscnt 0x0
	v_mul_f64_e32 v[6:7], s[8:9], v[12:13]
	v_mul_f64_e32 v[8:9], s[6:7], v[12:13]
	v_fma_f64 v[6:7], s[6:7], v[10:11], -v[6:7]
	s_delay_alu instid0(VALU_DEP_2) | instskip(NEXT) | instid1(VALU_DEP_2)
	v_fma_f64 v[8:9], s[8:9], v[10:11], v[8:9]
	v_add_f64_e32 v[2:3], v[2:3], v[6:7]
	s_delay_alu instid0(VALU_DEP_2)
	v_add_f64_e32 v[72:73], v[4:5], v[8:9]
	flat_store_b64 v[0:1], v[2:3] offset:768
	s_branch .LBB265_2
.LBB265_12:
	s_nop 0
	s_sendmsg sendmsg(MSG_DEALLOC_VGPRS)
	s_endpgm
	.section	.rodata,"a",@progbits
	.p2align	6, 0x0
	.amdhsa_kernel _ZN12_GLOBAL__N_127rocblas_gemm_batched_kernelI19rocblas_complex_numIdELi16ELi16ELi64ELi64ELi4ELi64ELi4ELi4ELi64ELc78ELc84EKPKS2_S5_KPS2_EEvlllT_PT11_llSA_llS8_PT12_llPT13_lli
		.amdhsa_group_segment_fixed_size 8192
		.amdhsa_private_segment_fixed_size 388
		.amdhsa_kernarg_size 156
		.amdhsa_user_sgpr_count 2
		.amdhsa_user_sgpr_dispatch_ptr 0
		.amdhsa_user_sgpr_queue_ptr 0
		.amdhsa_user_sgpr_kernarg_segment_ptr 1
		.amdhsa_user_sgpr_dispatch_id 0
		.amdhsa_user_sgpr_private_segment_size 0
		.amdhsa_wavefront_size32 1
		.amdhsa_uses_dynamic_stack 0
		.amdhsa_enable_private_segment 1
		.amdhsa_system_sgpr_workgroup_id_x 1
		.amdhsa_system_sgpr_workgroup_id_y 1
		.amdhsa_system_sgpr_workgroup_id_z 1
		.amdhsa_system_sgpr_workgroup_info 0
		.amdhsa_system_vgpr_workitem_id 1
		.amdhsa_next_free_vgpr 256
		.amdhsa_next_free_sgpr 52
		.amdhsa_reserve_vcc 1
		.amdhsa_float_round_mode_32 0
		.amdhsa_float_round_mode_16_64 0
		.amdhsa_float_denorm_mode_32 3
		.amdhsa_float_denorm_mode_16_64 3
		.amdhsa_fp16_overflow 0
		.amdhsa_workgroup_processor_mode 1
		.amdhsa_memory_ordered 1
		.amdhsa_forward_progress 1
		.amdhsa_inst_pref_size 69
		.amdhsa_round_robin_scheduling 0
		.amdhsa_exception_fp_ieee_invalid_op 0
		.amdhsa_exception_fp_denorm_src 0
		.amdhsa_exception_fp_ieee_div_zero 0
		.amdhsa_exception_fp_ieee_overflow 0
		.amdhsa_exception_fp_ieee_underflow 0
		.amdhsa_exception_fp_ieee_inexact 0
		.amdhsa_exception_int_div_zero 0
	.end_amdhsa_kernel
	.section	.text._ZN12_GLOBAL__N_127rocblas_gemm_batched_kernelI19rocblas_complex_numIdELi16ELi16ELi64ELi64ELi4ELi64ELi4ELi4ELi64ELc78ELc84EKPKS2_S5_KPS2_EEvlllT_PT11_llSA_llS8_PT12_llPT13_lli,"axG",@progbits,_ZN12_GLOBAL__N_127rocblas_gemm_batched_kernelI19rocblas_complex_numIdELi16ELi16ELi64ELi64ELi4ELi64ELi4ELi4ELi64ELc78ELc84EKPKS2_S5_KPS2_EEvlllT_PT11_llSA_llS8_PT12_llPT13_lli,comdat
.Lfunc_end265:
	.size	_ZN12_GLOBAL__N_127rocblas_gemm_batched_kernelI19rocblas_complex_numIdELi16ELi16ELi64ELi64ELi4ELi64ELi4ELi4ELi64ELc78ELc84EKPKS2_S5_KPS2_EEvlllT_PT11_llSA_llS8_PT12_llPT13_lli, .Lfunc_end265-_ZN12_GLOBAL__N_127rocblas_gemm_batched_kernelI19rocblas_complex_numIdELi16ELi16ELi64ELi64ELi4ELi64ELi4ELi4ELi64ELc78ELc84EKPKS2_S5_KPS2_EEvlllT_PT11_llSA_llS8_PT12_llPT13_lli
                                        ; -- End function
	.set _ZN12_GLOBAL__N_127rocblas_gemm_batched_kernelI19rocblas_complex_numIdELi16ELi16ELi64ELi64ELi4ELi64ELi4ELi4ELi64ELc78ELc84EKPKS2_S5_KPS2_EEvlllT_PT11_llSA_llS8_PT12_llPT13_lli.num_vgpr, 256
	.set _ZN12_GLOBAL__N_127rocblas_gemm_batched_kernelI19rocblas_complex_numIdELi16ELi16ELi64ELi64ELi4ELi64ELi4ELi4ELi64ELc78ELc84EKPKS2_S5_KPS2_EEvlllT_PT11_llSA_llS8_PT12_llPT13_lli.num_agpr, 0
	.set _ZN12_GLOBAL__N_127rocblas_gemm_batched_kernelI19rocblas_complex_numIdELi16ELi16ELi64ELi64ELi4ELi64ELi4ELi4ELi64ELc78ELc84EKPKS2_S5_KPS2_EEvlllT_PT11_llSA_llS8_PT12_llPT13_lli.numbered_sgpr, 52
	.set _ZN12_GLOBAL__N_127rocblas_gemm_batched_kernelI19rocblas_complex_numIdELi16ELi16ELi64ELi64ELi4ELi64ELi4ELi4ELi64ELc78ELc84EKPKS2_S5_KPS2_EEvlllT_PT11_llSA_llS8_PT12_llPT13_lli.num_named_barrier, 0
	.set _ZN12_GLOBAL__N_127rocblas_gemm_batched_kernelI19rocblas_complex_numIdELi16ELi16ELi64ELi64ELi4ELi64ELi4ELi4ELi64ELc78ELc84EKPKS2_S5_KPS2_EEvlllT_PT11_llSA_llS8_PT12_llPT13_lli.private_seg_size, 388
	.set _ZN12_GLOBAL__N_127rocblas_gemm_batched_kernelI19rocblas_complex_numIdELi16ELi16ELi64ELi64ELi4ELi64ELi4ELi4ELi64ELc78ELc84EKPKS2_S5_KPS2_EEvlllT_PT11_llSA_llS8_PT12_llPT13_lli.uses_vcc, 1
	.set _ZN12_GLOBAL__N_127rocblas_gemm_batched_kernelI19rocblas_complex_numIdELi16ELi16ELi64ELi64ELi4ELi64ELi4ELi4ELi64ELc78ELc84EKPKS2_S5_KPS2_EEvlllT_PT11_llSA_llS8_PT12_llPT13_lli.uses_flat_scratch, 1
	.set _ZN12_GLOBAL__N_127rocblas_gemm_batched_kernelI19rocblas_complex_numIdELi16ELi16ELi64ELi64ELi4ELi64ELi4ELi4ELi64ELc78ELc84EKPKS2_S5_KPS2_EEvlllT_PT11_llSA_llS8_PT12_llPT13_lli.has_dyn_sized_stack, 0
	.set _ZN12_GLOBAL__N_127rocblas_gemm_batched_kernelI19rocblas_complex_numIdELi16ELi16ELi64ELi64ELi4ELi64ELi4ELi4ELi64ELc78ELc84EKPKS2_S5_KPS2_EEvlllT_PT11_llSA_llS8_PT12_llPT13_lli.has_recursion, 0
	.set _ZN12_GLOBAL__N_127rocblas_gemm_batched_kernelI19rocblas_complex_numIdELi16ELi16ELi64ELi64ELi4ELi64ELi4ELi4ELi64ELc78ELc84EKPKS2_S5_KPS2_EEvlllT_PT11_llSA_llS8_PT12_llPT13_lli.has_indirect_call, 0
	.section	.AMDGPU.csdata,"",@progbits
; Kernel info:
; codeLenInByte = 8760
; TotalNumSgprs: 54
; NumVgprs: 256
; ScratchSize: 388
; MemoryBound: 0
; FloatMode: 240
; IeeeMode: 1
; LDSByteSize: 8192 bytes/workgroup (compile time only)
; SGPRBlocks: 0
; VGPRBlocks: 31
; NumSGPRsForWavesPerEU: 54
; NumVGPRsForWavesPerEU: 256
; Occupancy: 5
; WaveLimiterHint : 1
; COMPUTE_PGM_RSRC2:SCRATCH_EN: 1
; COMPUTE_PGM_RSRC2:USER_SGPR: 2
; COMPUTE_PGM_RSRC2:TRAP_HANDLER: 0
; COMPUTE_PGM_RSRC2:TGID_X_EN: 1
; COMPUTE_PGM_RSRC2:TGID_Y_EN: 1
; COMPUTE_PGM_RSRC2:TGID_Z_EN: 1
; COMPUTE_PGM_RSRC2:TIDIG_COMP_CNT: 1
	.section	.text._ZN12_GLOBAL__N_127rocblas_gemm_batched_kernelI19rocblas_complex_numIdELi16ELi16ELi64ELi64ELi4ELi64ELi4ELi4ELi64ELc84ELc84EKPKS2_S5_KPS2_EEvlllT_PT11_llSA_llS8_PT12_llPT13_lli,"axG",@progbits,_ZN12_GLOBAL__N_127rocblas_gemm_batched_kernelI19rocblas_complex_numIdELi16ELi16ELi64ELi64ELi4ELi64ELi4ELi4ELi64ELc84ELc84EKPKS2_S5_KPS2_EEvlllT_PT11_llSA_llS8_PT12_llPT13_lli,comdat
	.globl	_ZN12_GLOBAL__N_127rocblas_gemm_batched_kernelI19rocblas_complex_numIdELi16ELi16ELi64ELi64ELi4ELi64ELi4ELi4ELi64ELc84ELc84EKPKS2_S5_KPS2_EEvlllT_PT11_llSA_llS8_PT12_llPT13_lli ; -- Begin function _ZN12_GLOBAL__N_127rocblas_gemm_batched_kernelI19rocblas_complex_numIdELi16ELi16ELi64ELi64ELi4ELi64ELi4ELi4ELi64ELc84ELc84EKPKS2_S5_KPS2_EEvlllT_PT11_llSA_llS8_PT12_llPT13_lli
	.p2align	8
	.type	_ZN12_GLOBAL__N_127rocblas_gemm_batched_kernelI19rocblas_complex_numIdELi16ELi16ELi64ELi64ELi4ELi64ELi4ELi4ELi64ELc84ELc84EKPKS2_S5_KPS2_EEvlllT_PT11_llSA_llS8_PT12_llPT13_lli,@function
_ZN12_GLOBAL__N_127rocblas_gemm_batched_kernelI19rocblas_complex_numIdELi16ELi16ELi64ELi64ELi4ELi64ELi4ELi4ELi64ELc84ELc84EKPKS2_S5_KPS2_EEvlllT_PT11_llSA_llS8_PT12_llPT13_lli: ; @_ZN12_GLOBAL__N_127rocblas_gemm_batched_kernelI19rocblas_complex_numIdELi16ELi16ELi64ELi64ELi4ELi64ELi4ELi4ELi64ELc84ELc84EKPKS2_S5_KPS2_EEvlllT_PT11_llSA_llS8_PT12_llPT13_lli
; %bb.0:
	s_load_b32 s24, s[0:1], 0x98
	s_lshr_b32 s2, ttmp7, 16
	s_wait_kmcnt 0x0
	s_cmp_ge_i32 s2, s24
	s_cbranch_scc1 .LBB266_12
; %bb.1:
	s_clause 0x2
	s_load_b512 s[4:19], s[0:1], 0x50
	s_load_b512 s[36:51], s[0:1], 0x10
	s_load_b64 s[20:21], s[0:1], 0x90
	v_dual_mov_b32 v138, 0 :: v_dual_and_b32 v1, 0x3ff, v0
	v_bfe_u32 v2, v0, 10, 10
	s_mov_b32 s22, ttmp9
	s_ashr_i32 s23, ttmp9, 31
	s_lshl_b32 s25, ttmp7, 6
	s_lshl_b64 s[0:1], s[22:23], 6
	v_lshl_add_u32 v4, v2, 4, v1
	s_and_b32 s22, s25, 0x3fffc0
	v_lshl_add_u32 v208, v2, 6, 0x1000
	v_add_nc_u32_e32 v13, s22, v2
	v_lshlrev_b32_e32 v255, 4, v1
	v_lshrrev_b32_e32 v9, 2, v4
	v_and_b32_e32 v10, 63, v4
	s_mov_b32 s3, 0
	s_delay_alu instid0(VALU_DEP_2)
	v_add_co_u32 v2, s22, v9, s22
	s_wait_kmcnt 0x0
	v_mad_co_u64_u32 v[16:17], null, v13, s18, 0
	s_wait_alu 0xf1ff
	v_add_co_ci_u32_e64 v3, null, 0, 0, s22
	v_add_co_u32 v5, s22, s0, v1
	v_and_b32_e32 v0, 3, v0
	s_wait_alu 0xf1ff
	v_add_co_ci_u32_e64 v6, null, s1, 0, s22
	v_lshrrev_b32_e32 v1, 6, v4
	v_or_b32_e32 v11, s0, v10
	v_cmp_eq_f64_e64 s23, s[6:7], 0
	scratch_store_b64 off, v[5:6], off offset:344 ; 8-byte Folded Spill
	v_mad_co_u64_u32 v[4:5], null, s50, v0, v[2:3]
	v_dual_mov_b32 v3, v17 :: v_dual_lshlrev_b32 v8, 4, v0
	v_mul_lo_u32 v15, s45, v11
	v_mad_co_u64_u32 v[6:7], null, v13, s12, 0
	v_cmp_eq_f64_e64 s25, s[8:9], 0
	s_delay_alu instid0(VALU_DEP_4)
	v_lshl_or_b32 v14, v9, 6, v8
	v_mad_co_u64_u32 v[8:9], null, s44, v11, 0
	s_mul_i32 s0, s44, s1
	v_lshlrev_b32_e32 v2, 4, v10
	v_mad_co_u64_u32 v[10:11], null, s51, v0, v[5:6]
	v_mad_co_u64_u32 v[11:12], null, v13, s19, v[3:4]
	s_wait_alu 0xfffe
	v_add3_u32 v9, v9, s0, v15
	v_mad_co_u64_u32 v[12:13], null, v13, s13, v[7:8]
	s_lshl_b64 s[0:1], s[46:47], 4
	v_mov_b32_e32 v5, v10
	v_lshlrev_b64_e32 v[8:9], 4, v[8:9]
	v_dual_mov_b32 v17, v11 :: v_dual_lshlrev_b32 v0, 4, v1
	v_dual_mov_b32 v7, v12 :: v_dual_add_nc_u32 v140, 0x1000, v14
	v_lshl_or_b32 v139, v1, 10, v2
	s_wait_alu 0xfffe
	s_delay_alu instid0(VALU_DEP_4) | instskip(SKIP_2) | instid1(VALU_DEP_3)
	v_add_co_u32 v1, vcc_lo, v8, s0
	v_lshlrev_b64_e32 v[4:5], 4, v[4:5]
	v_add_co_ci_u32_e64 v2, null, s1, v9, vcc_lo
	v_add_co_u32 v0, vcc_lo, v1, v0
	s_lshl_b64 s[0:1], s[4:5], 4
	v_cmp_gt_i64_e64 s4, s[36:37], 0
	s_clause 0x1
	scratch_store_b64 off, v[16:17], off offset:352
	scratch_store_b32 off, v0, off offset:360
	s_wait_alu 0xfffd
	v_add_co_ci_u32_e64 v0, null, 0, v2, vcc_lo
	s_wait_alu 0xfffe
	v_add_co_u32 v1, vcc_lo, s0, v4
	s_lshl_b64 s[14:15], s[14:15], 4
	scratch_store_b32 off, v0, off offset:364 ; 4-byte Folded Spill
	v_cndmask_b32_e64 v0, 0, 1, s4
	scratch_store_b32 off, v1, off offset:368 ; 4-byte Folded Spill
	s_wait_alu 0xfffd
	v_add_co_ci_u32_e64 v1, null, s1, v5, vcc_lo
	s_and_b32 s25, s23, s25
	v_cmp_ne_u32_e64 s0, 1, v0
	s_lshl_b64 s[22:23], s[18:19], 4
	scratch_store_b32 off, v1, off offset:372 ; 4-byte Folded Spill
	v_lshlrev_b64_e32 v[0:1], 4, v[6:7]
	s_lshl_b64 s[18:19], s[12:13], 4
	s_lshl_b64 s[4:5], s[50:51], 6
	;; [unrolled: 1-line block ×3, first 2 shown]
	s_wait_alu 0xfffe
	s_lshl_b64 s[18:19], s[18:19], 4
	s_lshl_b64 s[20:21], s[22:23], 4
	s_clause 0x2
	scratch_store_b64 off, v[0:1], off offset:376
	scratch_store_b32 off, v139, off offset:320
	scratch_store_b32 off, v140, off offset:324
	s_branch .LBB266_3
.LBB266_2:                              ;   in Loop: Header=BB266_3 Depth=1
	s_add_co_i32 s2, s2, 0x10000
	flat_store_b64 v[74:75], v[72:73] offset:8
	s_cmp_lt_i32 s2, s24
	s_cbranch_scc0 .LBB266_12
.LBB266_3:                              ; =>This Loop Header: Depth=1
                                        ;     Child Loop BB266_5 Depth 2
	s_lshl_b64 s[22:23], s[2:3], 3
	s_and_b32 vcc_lo, exec_lo, s0
	s_wait_alu 0xfffe
	s_add_nc_u64 s[26:27], s[10:11], s[22:23]
	s_add_nc_u64 s[28:29], s[16:17], s[22:23]
	s_clause 0x1
	global_load_b64 v[167:168], v138, s[26:27]
	global_load_b64 v[36:37], v138, s[28:29]
	s_cbranch_vccnz .LBB266_7
; %bb.4:                                ;   in Loop: Header=BB266_3 Depth=1
	v_mov_b32_e32 v38, 0
	v_dual_mov_b32 v39, 0 :: v_dual_mov_b32 v0, 0
	v_mov_b32_e32 v1, 0
	s_wait_loadcnt 0x0
	s_clause 0x1
	scratch_store_b64 off, v[36:37], off offset:336
	scratch_store_b64 off, v[167:168], off offset:328
	v_mov_b32_e32 v153, 0
	v_mov_b32_e32 v154, 0
	;; [unrolled: 1-line block ×3, first 2 shown]
	scratch_store_b64 off, v[0:1], off      ; 8-byte Folded Spill
	v_mov_b32_e32 v0, 0
	v_mov_b32_e32 v1, 0
	;; [unrolled: 1-line block ×3, first 2 shown]
	s_add_nc_u64 s[26:27], s[42:43], s[22:23]
	s_add_nc_u64 s[22:23], s[48:49], s[22:23]
	s_clause 0x1
	global_load_b64 v[74:75], v138, s[26:27]
	global_load_b64 v[76:77], v138, s[22:23]
	scratch_store_b64 off, v[0:1], off offset:8 ; 8-byte Folded Spill
	v_mov_b32_e32 v0, 0
	v_mov_b32_e32 v1, 0
	;; [unrolled: 1-line block ×3, first 2 shown]
	v_dual_mov_b32 v253, 0 :: v_dual_mov_b32 v46, 0
	v_mov_b32_e32 v42, 0
	scratch_store_b64 off, v[0:1], off offset:16 ; 8-byte Folded Spill
	scratch_load_b32 v0, off, off offset:360 ; 4-byte Folded Reload
	v_mov_b32_e32 v26, 0
	v_mov_b32_e32 v22, 0
	;; [unrolled: 1-line block ×6, first 2 shown]
	v_dual_mov_b32 v142, 0 :: v_dual_mov_b32 v211, 0
	v_dual_mov_b32 v254, 0 :: v_dual_mov_b32 v183, 0
	;; [unrolled: 1-line block ×14, first 2 shown]
	v_mov_b32_e32 v41, 0
	v_mov_b32_e32 v25, 0
	;; [unrolled: 1-line block ×7, first 2 shown]
	v_dual_mov_b32 v3, 0 :: v_dual_mov_b32 v252, 0
	v_dual_mov_b32 v207, 0 :: v_dual_mov_b32 v188, 0
	v_mov_b32_e32 v186, 0
	s_mov_b64 s[22:23], 0
	s_wait_loadcnt 0x0
	v_add_co_u32 v213, vcc_lo, v74, v0
	scratch_load_b32 v0, off, off offset:364 ; 4-byte Folded Reload
	s_wait_loadcnt 0x0
	s_wait_alu 0xfffd
	v_add_co_ci_u32_e64 v214, null, v75, v0, vcc_lo
	scratch_load_b32 v0, off, off offset:368 ; 4-byte Folded Reload
	s_wait_loadcnt 0x0
	v_add_co_u32 v76, vcc_lo, v76, v0
	scratch_load_b32 v0, off, off offset:372 ; 4-byte Folded Reload
	s_wait_loadcnt 0x0
	s_wait_alu 0xfffd
	v_add_co_ci_u32_e64 v77, null, v77, v0, vcc_lo
	v_mov_b32_e32 v0, 0
	v_mov_b32_e32 v1, 0
.LBB266_5:                              ;   Parent Loop BB266_3 Depth=1
                                        ; =>  This Inner Loop Header: Depth=2
	scratch_store_b64 off, v[141:142], off offset:24 ; 8-byte Folded Spill
	flat_load_b128 v[78:81], v[213:214]
	flat_load_b128 v[82:85], v[76:77]
	v_dual_mov_b32 v36, v153 :: v_dual_mov_b32 v37, v154
	v_dual_mov_b32 v74, v183 :: v_dual_mov_b32 v75, v184
	s_wait_alu 0xfffe
	s_add_nc_u64 s[22:23], s[22:23], 4
	v_add_co_u32 v213, s1, v213, 64
	s_wait_alu 0xf1ff
	v_add_co_ci_u32_e64 v214, null, 0, v214, s1
	s_wait_alu 0xfffe
	v_cmp_lt_i64_e64 s1, s[22:23], s[36:37]
	v_add_co_u32 v76, vcc_lo, v76, s4
	s_wait_alu 0xfffd
	v_add_co_ci_u32_e64 v77, null, s5, v77, vcc_lo
	s_wait_loadcnt_dscnt 0x101
	ds_store_2addr_b64 v139, v[78:79], v[80:81] offset1:1
	s_wait_loadcnt_dscnt 0x1
	ds_store_2addr_b64 v140, v[82:83], v[84:85] offset1:1
	s_wait_storecnt_dscnt 0x0
	s_barrier_signal -1
	s_barrier_wait -1
	global_inv scope:SCOPE_SE
	ds_load_b128 v[92:95], v208
	ds_load_b128 v[128:131], v255
	ds_load_b128 v[132:135], v255 offset:256
	ds_load_b128 v[156:159], v208 offset:16
	s_and_b32 vcc_lo, exec_lo, s1
	s_wait_dscnt 0x2
	v_mul_f64_e32 v[78:79], v[94:95], v[130:131]
	v_mul_f64_e32 v[80:81], v[92:93], v[130:131]
	s_wait_dscnt 0x1
	v_mul_f64_e32 v[82:83], v[94:95], v[134:135]
	v_mul_f64_e32 v[84:85], v[92:93], v[134:135]
	s_delay_alu instid0(VALU_DEP_4)
	v_fma_f64 v[28:29], v[92:93], v[128:129], -v[78:79]
	scratch_store_b64 off, v[28:29], off offset:32 ; 8-byte Folded Spill
	v_fma_f64 v[28:29], v[94:95], v[128:129], v[80:81]
	scratch_store_b64 off, v[28:29], off offset:40 ; 8-byte Folded Spill
	v_fma_f64 v[28:29], v[92:93], v[132:133], -v[82:83]
	scratch_store_b64 off, v[28:29], off offset:48 ; 8-byte Folded Spill
	v_fma_f64 v[28:29], v[94:95], v[132:133], v[84:85]
	scratch_store_b64 off, v[28:29], off offset:56 ; 8-byte Folded Spill
	ds_load_b128 v[136:139], v255 offset:512
	ds_load_b128 v[140:143], v255 offset:768
	s_wait_dscnt 0x1
	v_mul_f64_e32 v[86:87], v[94:95], v[138:139]
	v_mul_f64_e32 v[88:89], v[92:93], v[138:139]
	s_wait_dscnt 0x0
	v_mul_f64_e32 v[90:91], v[94:95], v[142:143]
	s_delay_alu instid0(VALU_DEP_3)
	v_fma_f64 v[28:29], v[92:93], v[136:137], -v[86:87]
	scratch_store_b64 off, v[28:29], off offset:64 ; 8-byte Folded Spill
	v_fma_f64 v[28:29], v[94:95], v[136:137], v[88:89]
	scratch_store_b64 off, v[28:29], off offset:72 ; 8-byte Folded Spill
	v_fma_f64 v[28:29], v[92:93], v[140:141], -v[90:91]
	v_mul_f64_e32 v[92:93], v[92:93], v[142:143]
	scratch_store_b64 off, v[28:29], off offset:80 ; 8-byte Folded Spill
	v_fma_f64 v[28:29], v[94:95], v[140:141], v[92:93]
	scratch_store_b64 off, v[28:29], off offset:88 ; 8-byte Folded Spill
	ds_load_b128 v[108:111], v208 offset:1024
	ds_load_b128 v[172:175], v208 offset:1040
	;; [unrolled: 1-line block ×3, first 2 shown]
	s_wait_dscnt 0x2
	v_mul_f64_e32 v[94:95], v[110:111], v[130:131]
	v_mul_f64_e32 v[96:97], v[108:109], v[130:131]
	;; [unrolled: 1-line block ×7, first 2 shown]
	v_fma_f64 v[28:29], v[108:109], v[128:129], -v[94:95]
	scratch_store_b64 off, v[28:29], off offset:96 ; 8-byte Folded Spill
	v_fma_f64 v[28:29], v[110:111], v[128:129], v[96:97]
	scratch_store_b64 off, v[28:29], off offset:104 ; 8-byte Folded Spill
	v_fma_f64 v[28:29], v[108:109], v[132:133], -v[98:99]
	scratch_store_b64 off, v[28:29], off offset:112 ; 8-byte Folded Spill
	v_fma_f64 v[28:29], v[110:111], v[132:133], v[100:101]
	scratch_store_b64 off, v[28:29], off offset:120 ; 8-byte Folded Spill
	;; [unrolled: 4-line block ×3, first 2 shown]
	v_fma_f64 v[28:29], v[108:109], v[140:141], -v[106:107]
	v_mul_f64_e32 v[108:109], v[108:109], v[142:143]
	scratch_store_b64 off, v[28:29], off offset:144 ; 8-byte Folded Spill
	v_fma_f64 v[28:29], v[110:111], v[140:141], v[108:109]
	scratch_store_b64 off, v[28:29], off offset:152 ; 8-byte Folded Spill
	v_dual_mov_b32 v28, v187 :: v_dual_mov_b32 v29, v188
	ds_load_b128 v[188:191], v208 offset:2064
	s_wait_dscnt 0x1
	v_mul_f64_e32 v[110:111], v[126:127], v[130:131]
	v_mul_f64_e32 v[112:113], v[124:125], v[130:131]
	;; [unrolled: 1-line block ×7, first 2 shown]
	v_fma_f64 v[32:33], v[124:125], v[128:129], -v[110:111]
	scratch_store_b64 off, v[32:33], off offset:160 ; 8-byte Folded Spill
	v_fma_f64 v[32:33], v[126:127], v[128:129], v[112:113]
	scratch_store_b64 off, v[32:33], off offset:168 ; 8-byte Folded Spill
	v_fma_f64 v[32:33], v[124:125], v[132:133], -v[114:115]
	scratch_store_b64 off, v[32:33], off offset:176 ; 8-byte Folded Spill
	v_fma_f64 v[32:33], v[126:127], v[132:133], v[116:117]
	scratch_store_b64 off, v[32:33], off offset:184 ; 8-byte Folded Spill
	;; [unrolled: 4-line block ×3, first 2 shown]
	v_fma_f64 v[32:33], v[124:125], v[140:141], -v[122:123]
	v_mul_f64_e32 v[124:125], v[124:125], v[142:143]
	scratch_store_b64 off, v[32:33], off offset:208 ; 8-byte Folded Spill
	v_fma_f64 v[32:33], v[126:127], v[140:141], v[124:125]
	scratch_store_b64 off, v[32:33], off offset:216 ; 8-byte Folded Spill
	ds_load_b128 v[144:147], v208 offset:3072
	ds_load_b128 v[215:218], v208 offset:3088
	s_wait_dscnt 0x1
	v_mul_f64_e32 v[126:127], v[146:147], v[130:131]
	v_mul_f64_e32 v[130:131], v[144:145], v[130:131]
	s_delay_alu instid0(VALU_DEP_2)
	v_fma_f64 v[32:33], v[144:145], v[128:129], -v[126:127]
	scratch_store_b64 off, v[32:33], off offset:224 ; 8-byte Folded Spill
	v_fma_f64 v[32:33], v[146:147], v[128:129], v[130:131]
	v_mul_f64_e32 v[130:131], v[146:147], v[134:135]
	v_mul_f64_e32 v[134:135], v[144:145], v[134:135]
	scratch_store_b64 off, v[32:33], off offset:232 ; 8-byte Folded Spill
	v_fma_f64 v[32:33], v[144:145], v[132:133], -v[130:131]
	scratch_store_b64 off, v[32:33], off offset:240 ; 8-byte Folded Spill
	v_fma_f64 v[32:33], v[146:147], v[132:133], v[134:135]
	v_mul_f64_e32 v[134:135], v[146:147], v[138:139]
	v_mul_f64_e32 v[138:139], v[144:145], v[138:139]
	scratch_store_b64 off, v[32:33], off offset:248 ; 8-byte Folded Spill
	v_fma_f64 v[32:33], v[144:145], v[136:137], -v[134:135]
	scratch_store_b64 off, v[32:33], off offset:256 ; 8-byte Folded Spill
	v_fma_f64 v[32:33], v[146:147], v[136:137], v[138:139]
	v_mul_f64_e32 v[138:139], v[146:147], v[142:143]
	v_mul_f64_e32 v[142:143], v[144:145], v[142:143]
	scratch_store_b64 off, v[32:33], off offset:264 ; 8-byte Folded Spill
	v_fma_f64 v[32:33], v[144:145], v[140:141], -v[138:139]
	scratch_store_b64 off, v[32:33], off offset:272 ; 8-byte Folded Spill
	v_fma_f64 v[32:33], v[146:147], v[140:141], v[142:143]
	scratch_store_b64 off, v[32:33], off offset:280 ; 8-byte Folded Spill
	ds_load_b128 v[192:195], v255 offset:1024
	ds_load_b128 v[196:199], v255 offset:1280
	s_wait_dscnt 0x1
	v_mul_f64_e32 v[142:143], v[158:159], v[194:195]
	v_mul_f64_e32 v[144:145], v[156:157], v[194:195]
	s_wait_dscnt 0x0
	v_mul_f64_e32 v[146:147], v[158:159], v[198:199]
	v_mul_f64_e32 v[148:149], v[156:157], v[198:199]
	;; [unrolled: 1-line block ×8, first 2 shown]
	v_fma_f64 v[32:33], v[156:157], v[192:193], -v[142:143]
	v_fma_f64 v[162:163], v[172:173], v[196:197], -v[162:163]
	v_fma_f64 v[160:161], v[174:175], v[192:193], v[160:161]
	v_fma_f64 v[164:165], v[174:175], v[196:197], v[164:165]
	v_fma_f64 v[178:179], v[188:189], v[196:197], -v[178:179]
	v_fma_f64 v[176:177], v[190:191], v[192:193], v[176:177]
	v_fma_f64 v[180:181], v[190:191], v[196:197], v[180:181]
	scratch_store_b64 off, v[32:33], off offset:288 ; 8-byte Folded Spill
	v_fma_f64 v[32:33], v[158:159], v[192:193], v[144:145]
	scratch_store_b64 off, v[32:33], off offset:296 ; 8-byte Folded Spill
	v_fma_f64 v[32:33], v[156:157], v[196:197], -v[146:147]
	scratch_store_b64 off, v[32:33], off offset:304 ; 8-byte Folded Spill
	v_fma_f64 v[32:33], v[158:159], v[196:197], v[148:149]
	scratch_store_b64 off, v[32:33], off offset:312 ; 8-byte Folded Spill
	ds_load_b128 v[200:203], v255 offset:1536
	ds_load_b128 v[219:222], v255 offset:1792
	v_dual_mov_b32 v32, v185 :: v_dual_mov_b32 v33, v186
	s_wait_dscnt 0x1
	v_mul_f64_e32 v[150:151], v[158:159], v[202:203]
	s_wait_dscnt 0x0
	v_mul_f64_e32 v[154:155], v[158:159], v[221:222]
	v_mul_f64_e32 v[152:153], v[156:157], v[202:203]
	;; [unrolled: 1-line block ×9, first 2 shown]
	v_fma_f64 v[150:151], v[156:157], v[200:201], -v[150:151]
	v_fma_f64 v[154:155], v[156:157], v[219:220], -v[154:155]
	v_mul_f64_e32 v[156:157], v[156:157], v[221:222]
	v_fma_f64 v[152:153], v[158:159], v[200:201], v[152:153]
	v_fma_f64 v[166:167], v[172:173], v[200:201], -v[166:167]
	v_fma_f64 v[170:171], v[172:173], v[219:220], -v[170:171]
	v_fma_f64 v[168:169], v[174:175], v[200:201], v[168:169]
	v_fma_f64 v[182:183], v[188:189], v[200:201], -v[182:183]
	v_fma_f64 v[186:187], v[188:189], v[219:220], -v[186:187]
	v_fma_f64 v[184:185], v[190:191], v[200:201], v[184:185]
	v_fma_f64 v[204:205], v[217:218], v[219:220], v[204:205]
	;; [unrolled: 1-line block ×3, first 2 shown]
	v_mul_f64_e32 v[158:159], v[174:175], v[194:195]
	s_delay_alu instid0(VALU_DEP_1) | instskip(SKIP_1) | instid1(VALU_DEP_1)
	v_fma_f64 v[158:159], v[172:173], v[192:193], -v[158:159]
	v_mul_f64_e32 v[172:173], v[172:173], v[221:222]
	v_fma_f64 v[172:173], v[174:175], v[219:220], v[172:173]
	v_mul_f64_e32 v[174:175], v[190:191], v[194:195]
	s_delay_alu instid0(VALU_DEP_1) | instskip(SKIP_1) | instid1(VALU_DEP_1)
	v_fma_f64 v[174:175], v[188:189], v[192:193], -v[174:175]
	v_mul_f64_e32 v[188:189], v[188:189], v[221:222]
	v_fma_f64 v[188:189], v[190:191], v[219:220], v[188:189]
	v_mul_f64_e32 v[190:191], v[217:218], v[194:195]
	v_mul_f64_e32 v[194:195], v[215:216], v[194:195]
	s_delay_alu instid0(VALU_DEP_2) | instskip(NEXT) | instid1(VALU_DEP_2)
	v_fma_f64 v[190:191], v[215:216], v[192:193], -v[190:191]
	v_fma_f64 v[192:193], v[217:218], v[192:193], v[194:195]
	v_mul_f64_e32 v[194:195], v[217:218], v[198:199]
	v_mul_f64_e32 v[198:199], v[215:216], v[198:199]
	s_delay_alu instid0(VALU_DEP_2) | instskip(NEXT) | instid1(VALU_DEP_2)
	v_fma_f64 v[194:195], v[215:216], v[196:197], -v[194:195]
	;; [unrolled: 5-line block ×3, first 2 shown]
	v_fma_f64 v[200:201], v[217:218], v[200:201], v[202:203]
	v_mul_f64_e32 v[202:203], v[217:218], v[221:222]
	s_delay_alu instid0(VALU_DEP_1)
	v_fma_f64 v[202:203], v[215:216], v[219:220], -v[202:203]
	ds_load_b128 v[215:218], v208 offset:32
	ds_load_b128 v[219:222], v255 offset:2048
	;; [unrolled: 1-line block ×4, first 2 shown]
	s_wait_dscnt 0x2
	v_mul_f64_e32 v[231:232], v[217:218], v[221:222]
	s_delay_alu instid0(VALU_DEP_1) | instskip(SKIP_1) | instid1(VALU_DEP_1)
	v_fma_f64 v[146:147], v[215:216], v[219:220], -v[231:232]
	v_mul_f64_e32 v[231:232], v[215:216], v[221:222]
	v_fma_f64 v[144:145], v[217:218], v[219:220], v[231:232]
	s_wait_dscnt 0x1
	v_mul_f64_e32 v[231:232], v[217:218], v[225:226]
	s_delay_alu instid0(VALU_DEP_1) | instskip(SKIP_1) | instid1(VALU_DEP_1)
	v_fma_f64 v[142:143], v[215:216], v[223:224], -v[231:232]
	v_mul_f64_e32 v[231:232], v[215:216], v[225:226]
	v_fma_f64 v[140:141], v[217:218], v[223:224], v[231:232]
	ds_load_b128 v[231:234], v255 offset:2560
	ds_load_b128 v[235:238], v255 offset:2816
	s_wait_dscnt 0x1
	v_mul_f64_e32 v[239:240], v[217:218], v[233:234]
	s_delay_alu instid0(VALU_DEP_1) | instskip(SKIP_1) | instid1(VALU_DEP_1)
	v_fma_f64 v[138:139], v[215:216], v[231:232], -v[239:240]
	v_mul_f64_e32 v[239:240], v[215:216], v[233:234]
	v_fma_f64 v[136:137], v[217:218], v[231:232], v[239:240]
	s_wait_dscnt 0x0
	v_mul_f64_e32 v[239:240], v[217:218], v[237:238]
	s_delay_alu instid0(VALU_DEP_1) | instskip(SKIP_1) | instid1(VALU_DEP_1)
	v_fma_f64 v[134:135], v[215:216], v[235:236], -v[239:240]
	v_mul_f64_e32 v[215:216], v[215:216], v[237:238]
	v_fma_f64 v[132:133], v[217:218], v[235:236], v[215:216]
	ds_load_b128 v[215:218], v208 offset:1056
	ds_load_b128 v[239:242], v208 offset:1072
	s_wait_dscnt 0x1
	v_mul_f64_e32 v[243:244], v[217:218], v[221:222]
	s_delay_alu instid0(VALU_DEP_1) | instskip(SKIP_1) | instid1(VALU_DEP_1)
	v_fma_f64 v[130:131], v[215:216], v[219:220], -v[243:244]
	v_mul_f64_e32 v[243:244], v[215:216], v[221:222]
	v_fma_f64 v[209:210], v[217:218], v[219:220], v[243:244]
	v_mul_f64_e32 v[243:244], v[217:218], v[225:226]
	s_delay_alu instid0(VALU_DEP_1) | instskip(SKIP_1) | instid1(VALU_DEP_1)
	v_fma_f64 v[128:129], v[215:216], v[223:224], -v[243:244]
	v_mul_f64_e32 v[243:244], v[215:216], v[225:226]
	v_fma_f64 v[126:127], v[217:218], v[223:224], v[243:244]
	;; [unrolled: 5-line block ×4, first 2 shown]
	ds_load_b128 v[215:218], v208 offset:2080
	ds_load_b128 v[243:246], v208 offset:2096
	s_wait_dscnt 0x1
	v_mul_f64_e32 v[247:248], v[217:218], v[221:222]
	s_delay_alu instid0(VALU_DEP_1) | instskip(SKIP_1) | instid1(VALU_DEP_1)
	v_fma_f64 v[116:117], v[215:216], v[219:220], -v[247:248]
	v_mul_f64_e32 v[247:248], v[215:216], v[221:222]
	v_fma_f64 v[114:115], v[217:218], v[219:220], v[247:248]
	v_mul_f64_e32 v[247:248], v[217:218], v[225:226]
	s_delay_alu instid0(VALU_DEP_1) | instskip(SKIP_1) | instid1(VALU_DEP_1)
	v_fma_f64 v[112:113], v[215:216], v[223:224], -v[247:248]
	v_mul_f64_e32 v[247:248], v[215:216], v[225:226]
	v_fma_f64 v[110:111], v[217:218], v[223:224], v[247:248]
	;; [unrolled: 5-line block ×4, first 2 shown]
	ds_load_b128 v[215:218], v208 offset:3104
	ds_load_b128 v[247:250], v208 offset:3120
	s_wait_dscnt 0x1
	v_mul_f64_e32 v[34:35], v[217:218], v[221:222]
	v_mul_f64_e32 v[221:222], v[215:216], v[221:222]
	s_delay_alu instid0(VALU_DEP_2) | instskip(NEXT) | instid1(VALU_DEP_2)
	v_fma_f64 v[100:101], v[215:216], v[219:220], -v[34:35]
	v_fma_f64 v[98:99], v[217:218], v[219:220], v[221:222]
	v_mul_f64_e32 v[219:220], v[217:218], v[225:226]
	s_delay_alu instid0(VALU_DEP_1) | instskip(SKIP_1) | instid1(VALU_DEP_1)
	v_fma_f64 v[96:97], v[215:216], v[223:224], -v[219:220]
	v_mul_f64_e32 v[219:220], v[215:216], v[225:226]
	v_fma_f64 v[94:95], v[217:218], v[223:224], v[219:220]
	v_mul_f64_e32 v[219:220], v[217:218], v[233:234]
	s_delay_alu instid0(VALU_DEP_1) | instskip(SKIP_1) | instid1(VALU_DEP_1)
	v_fma_f64 v[92:93], v[215:216], v[231:232], -v[219:220]
	v_mul_f64_e32 v[219:220], v[215:216], v[233:234]
	;; [unrolled: 5-line block ×3, first 2 shown]
	v_fma_f64 v[235:236], v[217:218], v[235:236], v[215:216]
	ds_load_b128 v[215:218], v255 offset:3072
	ds_load_b128 v[219:222], v255 offset:3328
	s_wait_dscnt 0x1
	v_mul_f64_e32 v[223:224], v[229:230], v[217:218]
	s_wait_dscnt 0x0
	v_mul_f64_e32 v[64:65], v[241:242], v[221:222]
	v_mul_f64_e32 v[62:63], v[239:240], v[217:218]
	;; [unrolled: 1-line block ×6, first 2 shown]
	v_fma_f64 v[237:238], v[227:228], v[215:216], -v[223:224]
	v_mul_f64_e32 v[223:224], v[227:228], v[217:218]
	v_fma_f64 v[64:65], v[239:240], v[219:220], -v[64:65]
	v_fma_f64 v[62:63], v[241:242], v[215:216], v[62:63]
	v_fma_f64 v[66:67], v[241:242], v[219:220], v[66:67]
	v_fma_f64 v[82:83], v[243:244], v[219:220], -v[82:83]
	v_fma_f64 v[80:81], v[245:246], v[215:216], v[80:81]
	v_fma_f64 v[84:85], v[245:246], v[219:220], v[84:85]
	;; [unrolled: 1-line block ×3, first 2 shown]
	v_mul_f64_e32 v[223:224], v[229:230], v[221:222]
	s_delay_alu instid0(VALU_DEP_1) | instskip(SKIP_1) | instid1(VALU_DEP_1)
	v_fma_f64 v[52:53], v[227:228], v[219:220], -v[223:224]
	v_mul_f64_e32 v[223:224], v[227:228], v[221:222]
	v_fma_f64 v[54:55], v[229:230], v[219:220], v[223:224]
	ds_load_b128 v[223:226], v255 offset:3584
	ds_load_b128 v[231:234], v255 offset:3840
	scratch_load_b64 v[34:35], off, off offset:32 th:TH_LOAD_LU ; 8-byte Folded Reload
	s_wait_dscnt 0x1
	v_mul_f64_e32 v[56:57], v[229:230], v[225:226]
	s_wait_dscnt 0x0
	v_mul_f64_e32 v[60:61], v[229:230], v[233:234]
	v_mul_f64_e32 v[58:59], v[227:228], v[225:226]
	;; [unrolled: 1-line block ×8, first 2 shown]
	v_fma_f64 v[56:57], v[227:228], v[223:224], -v[56:57]
	v_fma_f64 v[60:61], v[227:228], v[231:232], -v[60:61]
	v_mul_f64_e32 v[227:228], v[227:228], v[233:234]
	v_fma_f64 v[58:59], v[229:230], v[223:224], v[58:59]
	v_fma_f64 v[68:69], v[239:240], v[223:224], -v[68:69]
	v_fma_f64 v[78:79], v[239:240], v[231:232], -v[78:79]
	v_fma_f64 v[70:71], v[241:242], v[223:224], v[70:71]
	v_fma_f64 v[86:87], v[243:244], v[223:224], -v[86:87]
	v_fma_f64 v[90:91], v[243:244], v[231:232], -v[90:91]
	v_fma_f64 v[88:89], v[245:246], v[223:224], v[88:89]
	v_fma_f64 v[227:228], v[229:230], v[231:232], v[227:228]
	v_mul_f64_e32 v[229:230], v[241:242], v[217:218]
	s_delay_alu instid0(VALU_DEP_1) | instskip(SKIP_1) | instid1(VALU_DEP_1)
	v_fma_f64 v[229:230], v[239:240], v[215:216], -v[229:230]
	v_mul_f64_e32 v[239:240], v[239:240], v[233:234]
	v_fma_f64 v[239:240], v[241:242], v[231:232], v[239:240]
	v_mul_f64_e32 v[241:242], v[245:246], v[217:218]
	s_delay_alu instid0(VALU_DEP_1) | instskip(SKIP_1) | instid1(VALU_DEP_1)
	v_fma_f64 v[241:242], v[243:244], v[215:216], -v[241:242]
	v_mul_f64_e32 v[243:244], v[243:244], v[233:234]
	v_fma_f64 v[243:244], v[245:246], v[231:232], v[243:244]
	v_mul_f64_e32 v[245:246], v[249:250], v[217:218]
	v_mul_f64_e32 v[217:218], v[247:248], v[217:218]
	s_delay_alu instid0(VALU_DEP_2) | instskip(NEXT) | instid1(VALU_DEP_2)
	v_fma_f64 v[245:246], v[247:248], v[215:216], -v[245:246]
	v_fma_f64 v[215:216], v[249:250], v[215:216], v[217:218]
	v_mul_f64_e32 v[217:218], v[249:250], v[221:222]
	v_mul_f64_e32 v[221:222], v[247:248], v[221:222]
	s_delay_alu instid0(VALU_DEP_2) | instskip(NEXT) | instid1(VALU_DEP_2)
	v_fma_f64 v[217:218], v[247:248], v[219:220], -v[217:218]
	;; [unrolled: 5-line block ×4, first 2 shown]
	v_fma_f64 v[231:232], v[249:250], v[231:232], v[233:234]
	s_wait_loadcnt 0x0
	v_add_f64_e32 v[233:234], v[32:33], v[34:35]
	scratch_load_b64 v[32:33], off, off offset:40 th:TH_LOAD_LU ; 8-byte Folded Reload
	s_wait_loadcnt 0x0
	v_add_f64_e32 v[247:248], v[32:33], v[28:29]
	scratch_load_b64 v[28:29], off, off offset:48 th:TH_LOAD_LU ; 8-byte Folded Reload
	s_wait_loadcnt 0x0
	v_add_f64_e32 v[249:250], v[206:207], v[28:29]
	scratch_load_b64 v[28:29], off, off offset:56 th:TH_LOAD_LU ; 8-byte Folded Reload
	s_wait_loadcnt 0x0
	v_add_f64_e32 v[206:207], v[28:29], v[251:252]
	scratch_load_b64 v[28:29], off, off offset:64 th:TH_LOAD_LU ; 8-byte Folded Reload
	s_wait_loadcnt 0x0
	v_add_f64_e32 v[0:1], v[0:1], v[28:29]
	scratch_load_b64 v[28:29], off, off offset:72 th:TH_LOAD_LU ; 8-byte Folded Reload
	v_add_f64_e32 v[0:1], v[0:1], v[150:151]
	s_delay_alu instid0(VALU_DEP_1) | instskip(NEXT) | instid1(VALU_DEP_1)
	v_add_f64_e32 v[0:1], v[0:1], v[138:139]
	v_add_f64_e32 v[0:1], v[0:1], v[56:57]
	s_wait_loadcnt 0x0
	v_add_f64_e32 v[2:3], v[28:29], v[2:3]
	scratch_load_b64 v[28:29], off, off offset:80 th:TH_LOAD_LU ; 8-byte Folded Reload
	v_add_f64_e32 v[2:3], v[152:153], v[2:3]
	s_delay_alu instid0(VALU_DEP_1) | instskip(NEXT) | instid1(VALU_DEP_1)
	v_add_f64_e32 v[2:3], v[136:137], v[2:3]
	v_add_f64_e32 v[2:3], v[58:59], v[2:3]
	s_wait_loadcnt 0x0
	v_add_f64_e32 v[4:5], v[4:5], v[28:29]
	scratch_load_b64 v[28:29], off, off offset:88 th:TH_LOAD_LU ; 8-byte Folded Reload
	;; [unrolled: 7-line block ×12, first 2 shown]
	v_add_f64_e32 v[24:25], v[24:25], v[174:175]
	s_delay_alu instid0(VALU_DEP_1) | instskip(NEXT) | instid1(VALU_DEP_1)
	v_add_f64_e32 v[24:25], v[24:25], v[116:117]
	v_add_f64_e32 v[24:25], v[24:25], v[241:242]
	s_wait_loadcnt 0x0
	v_add_f64_e32 v[26:27], v[28:29], v[26:27]
	s_clause 0x1
	scratch_load_b64 v[28:29], off, off offset:16 th:TH_LOAD_LU
	scratch_load_b64 v[32:33], off, off offset:176 th:TH_LOAD_LU
	v_add_f64_e32 v[26:27], v[176:177], v[26:27]
	s_delay_alu instid0(VALU_DEP_1) | instskip(NEXT) | instid1(VALU_DEP_1)
	v_add_f64_e32 v[26:27], v[114:115], v[26:27]
	v_add_f64_e32 v[26:27], v[80:81], v[26:27]
	s_wait_loadcnt 0x0
	v_add_f64_e32 v[28:29], v[28:29], v[32:33]
	scratch_load_b64 v[32:33], off, off offset:184 th:TH_LOAD_LU ; 8-byte Folded Reload
	v_add_f64_e32 v[28:29], v[28:29], v[178:179]
	s_delay_alu instid0(VALU_DEP_1) | instskip(NEXT) | instid1(VALU_DEP_1)
	v_add_f64_e32 v[28:29], v[28:29], v[112:113]
	v_add_f64_e32 v[28:29], v[28:29], v[82:83]
	s_wait_loadcnt 0x0
	v_add_f64_e32 v[30:31], v[32:33], v[30:31]
	s_clause 0x1
	scratch_load_b64 v[32:33], off, off offset:8 th:TH_LOAD_LU
	scratch_load_b64 v[34:35], off, off offset:192 th:TH_LOAD_LU
	v_add_f64_e32 v[30:31], v[180:181], v[30:31]
	s_delay_alu instid0(VALU_DEP_1) | instskip(NEXT) | instid1(VALU_DEP_1)
	v_add_f64_e32 v[30:31], v[110:111], v[30:31]
	v_add_f64_e32 v[30:31], v[84:85], v[30:31]
	s_wait_loadcnt 0x0
	v_add_f64_e32 v[32:33], v[32:33], v[34:35]
	scratch_load_b64 v[34:35], off, off offset:200 th:TH_LOAD_LU ; 8-byte Folded Reload
	v_add_f64_e32 v[32:33], v[32:33], v[182:183]
	s_delay_alu instid0(VALU_DEP_1) | instskip(NEXT) | instid1(VALU_DEP_1)
	v_add_f64_e32 v[32:33], v[32:33], v[108:109]
	v_add_f64_e32 v[32:33], v[32:33], v[86:87]
	s_wait_loadcnt 0x0
	v_add_f64_e32 v[34:35], v[34:35], v[36:37]
	s_clause 0x1
	scratch_load_b64 v[36:37], off, off th:TH_LOAD_LU
	scratch_load_b64 v[251:252], off, off offset:208 th:TH_LOAD_LU
	v_add_f64_e32 v[34:35], v[184:185], v[34:35]
	s_delay_alu instid0(VALU_DEP_1) | instskip(SKIP_4) | instid1(VALU_DEP_1)
	v_add_f64_e32 v[34:35], v[106:107], v[34:35]
	s_wait_loadcnt 0x0
	v_add_f64_e32 v[36:37], v[36:37], v[251:252]
	scratch_load_b64 v[251:252], off, off offset:216 th:TH_LOAD_LU ; 8-byte Folded Reload
	v_add_f64_e32 v[36:37], v[36:37], v[186:187]
	v_add_f64_e32 v[36:37], v[36:37], v[104:105]
	s_wait_loadcnt 0x0
	v_add_f64_e32 v[38:39], v[251:252], v[38:39]
	scratch_load_b64 v[251:252], off, off offset:224 th:TH_LOAD_LU ; 8-byte Folded Reload
	v_add_f64_e32 v[38:39], v[188:189], v[38:39]
	s_delay_alu instid0(VALU_DEP_1) | instskip(NEXT) | instid1(VALU_DEP_1)
	v_add_f64_e32 v[38:39], v[102:103], v[38:39]
	v_add_f64_e32 v[38:39], v[243:244], v[38:39]
	s_wait_loadcnt 0x0
	v_add_f64_e32 v[40:41], v[40:41], v[251:252]
	scratch_load_b64 v[251:252], off, off offset:232 th:TH_LOAD_LU ; 8-byte Folded Reload
	v_add_f64_e32 v[40:41], v[40:41], v[190:191]
	s_delay_alu instid0(VALU_DEP_1) | instskip(NEXT) | instid1(VALU_DEP_1)
	;; [unrolled: 7-line block ×6, first 2 shown]
	v_add_f64_e32 v[74:75], v[74:75], v[92:93]
	v_add_f64_e32 v[183:184], v[74:75], v[221:222]
	s_wait_loadcnt 0x0
	v_add_f64_e32 v[251:252], v[251:252], v[253:254]
	scratch_load_b64 v[253:254], off, off offset:272 th:TH_LOAD_LU ; 8-byte Folded Reload
	v_add_f64_e32 v[150:151], v[200:201], v[251:252]
	s_delay_alu instid0(VALU_DEP_1)
	v_add_f64_e32 v[72:73], v[72:73], v[150:151]
	s_wait_loadcnt 0x0
	v_add_f64_e32 v[253:254], v[211:212], v[253:254]
	s_clause 0x2
	scratch_load_b64 v[211:212], off, off offset:24 th:TH_LOAD_LU
	scratch_load_b64 v[148:149], off, off offset:280 th:TH_LOAD_LU
	scratch_load_b32 v139, off, off offset:320
	v_add_f64_e32 v[152:153], v[253:254], v[202:203]
	v_add_f64_e32 v[253:254], v[223:224], v[72:73]
	s_delay_alu instid0(VALU_DEP_2)
	v_add_f64_e32 v[50:51], v[152:153], v[50:51]
	s_wait_loadcnt 0x1
	v_add_f64_e32 v[211:212], v[148:149], v[211:212]
	scratch_load_b64 v[148:149], off, off offset:288 th:TH_LOAD_LU ; 8-byte Folded Reload
	v_add_f64_e32 v[154:155], v[204:205], v[211:212]
	v_add_f64_e32 v[211:212], v[50:51], v[225:226]
	s_delay_alu instid0(VALU_DEP_2)
	v_add_f64_e32 v[92:93], v[235:236], v[154:155]
	v_add_f64_e32 v[153:154], v[88:89], v[34:35]
	;; [unrolled: 1-line block ×3, first 2 shown]
	s_clause 0x2
	scratch_store_b64 off, v[28:29], off offset:16
	scratch_store_b64 off, v[32:33], off offset:8
	scratch_store_b64 off, v[34:35], off
	s_wait_loadcnt 0x0
	v_add_f64_e32 v[233:234], v[233:234], v[148:149]
	scratch_load_b64 v[148:149], off, off offset:296 th:TH_LOAD_LU ; 8-byte Folded Reload
	v_add_f64_e32 v[146:147], v[233:234], v[146:147]
	s_delay_alu instid0(VALU_DEP_1) | instskip(SKIP_4) | instid1(VALU_DEP_1)
	v_add_f64_e32 v[185:186], v[146:147], v[237:238]
	s_wait_loadcnt 0x0
	v_add_f64_e32 v[247:248], v[148:149], v[247:248]
	scratch_load_b64 v[148:149], off, off offset:304 th:TH_LOAD_LU ; 8-byte Folded Reload
	v_add_f64_e32 v[144:145], v[144:145], v[247:248]
	v_add_f64_e32 v[187:188], v[48:49], v[144:145]
	s_wait_loadcnt 0x0
	v_add_f64_e32 v[249:250], v[249:250], v[148:149]
	scratch_load_b64 v[148:149], off, off offset:312 th:TH_LOAD_LU ; 8-byte Folded Reload
	v_add_f64_e32 v[142:143], v[249:250], v[142:143]
	s_wait_loadcnt 0x0
	v_add_f64_e32 v[148:149], v[148:149], v[206:207]
	s_delay_alu instid0(VALU_DEP_2) | instskip(NEXT) | instid1(VALU_DEP_2)
	v_add_f64_e32 v[206:207], v[142:143], v[52:53]
	v_add_f64_e32 v[140:141], v[140:141], v[148:149]
	s_delay_alu instid0(VALU_DEP_1)
	v_add_f64_e32 v[251:252], v[54:55], v[140:141]
	scratch_load_b32 v140, off, off offset:324 ; 4-byte Folded Reload
	v_add_f64_e32 v[141:142], v[231:232], v[92:93]
	s_wait_loadcnt 0x0
	s_wait_storecnt 0x0
	s_barrier_signal -1
	s_barrier_wait -1
	global_inv scope:SCOPE_SE
	s_wait_alu 0xfffe
	s_cbranch_vccnz .LBB266_5
; %bb.6:                                ;   in Loop: Header=BB266_3 Depth=1
	s_clause 0x1
	scratch_load_b64 v[167:168], off, off offset:328
	scratch_load_b64 v[36:37], off, off offset:336
	v_mov_b32_e32 v138, 0
	s_branch .LBB266_8
.LBB266_7:                              ;   in Loop: Header=BB266_3 Depth=1
	v_mov_b32_e32 v28, 0
	v_dual_mov_b32 v32, 0 :: v_dual_mov_b32 v153, 0
	v_dual_mov_b32 v34, 0 :: v_dual_mov_b32 v29, 0
	;; [unrolled: 1-line block ×5, first 2 shown]
	v_mov_b32_e32 v0, 0
	v_mov_b32_e32 v4, 0
	;; [unrolled: 1-line block ×8, first 2 shown]
	v_dual_mov_b32 v44, 0 :: v_dual_mov_b32 v183, 0
	v_dual_mov_b32 v211, 0 :: v_dual_mov_b32 v186, 0
	;; [unrolled: 1-line block ×3, first 2 shown]
	v_mov_b32_e32 v251, 0
	v_dual_mov_b32 v1, 0 :: v_dual_mov_b32 v2, 0
	v_dual_mov_b32 v5, 0 :: v_dual_mov_b32 v6, 0
	;; [unrolled: 1-line block ×13, first 2 shown]
	v_mov_b32_e32 v7, 0
	v_mov_b32_e32 v11, 0
	;; [unrolled: 1-line block ×6, first 2 shown]
	s_clause 0x2
	scratch_store_b64 off, v[28:29], off offset:16
	scratch_store_b64 off, v[32:33], off offset:8
	scratch_store_b64 off, v[34:35], off
	v_mov_b32_e32 v31, 0
	v_mov_b32_e32 v39, 0
	v_mov_b32_e32 v43, 0
	v_dual_mov_b32 v47, 0 :: v_dual_mov_b32 v254, 0
	v_mov_b32_e32 v142, 0
.LBB266_8:                              ;   in Loop: Header=BB266_3 Depth=1
	s_wait_loadcnt 0x0
	v_add_co_u32 v76, vcc_lo, v36, s12
	v_dual_mov_b32 v160, v23 :: v_dual_mov_b32 v159, v22
	v_dual_mov_b32 v158, v27 :: v_dual_mov_b32 v157, v26
	v_dual_mov_b32 v156, v31 :: v_dual_mov_b32 v155, v30
	v_dual_mov_b32 v180, v3 :: v_dual_mov_b32 v179, v2
	v_dual_mov_b32 v178, v1 :: v_dual_mov_b32 v177, v0
	v_dual_mov_b32 v176, v7 :: v_dual_mov_b32 v175, v6
	v_dual_mov_b32 v174, v5 :: v_dual_mov_b32 v173, v4
	v_dual_mov_b32 v172, v11 :: v_dual_mov_b32 v171, v10
	v_dual_mov_b32 v170, v9 :: v_dual_mov_b32 v169, v8
	v_dual_mov_b32 v166, v15 :: v_dual_mov_b32 v165, v14
	v_dual_mov_b32 v164, v13 :: v_dual_mov_b32 v163, v12
	v_dual_mov_b32 v162, v19 :: v_dual_mov_b32 v161, v18
	v_dual_mov_b32 v152, v39 :: v_dual_mov_b32 v151, v38
	v_dual_mov_b32 v150, v43 :: v_dual_mov_b32 v149, v42
	v_dual_mov_b32 v148, v47 :: v_dual_mov_b32 v147, v46
	s_wait_alu 0xfffd
	v_add_co_ci_u32_e64 v77, null, s13, v37, vcc_lo
	s_and_not1_b32 vcc_lo, exec_lo, s25
	s_mov_b32 s1, -1
                                        ; implicit-def: $vgpr72_vgpr73
                                        ; implicit-def: $vgpr74_vgpr75
	s_wait_alu 0xfffe
	s_cbranch_vccz .LBB266_10
; %bb.9:                                ;   in Loop: Header=BB266_3 Depth=1
	s_and_not1_b32 vcc_lo, exec_lo, s1
	s_wait_alu 0xfffe
	s_cbranch_vccnz .LBB266_2
	s_branch .LBB266_11
.LBB266_10:                             ;   in Loop: Header=BB266_3 Depth=1
	v_mul_f64_e32 v[0:1], s[40:41], v[187:188]
	v_dual_mov_b32 v10, v179 :: v_dual_mov_b32 v11, v180
	v_dual_mov_b32 v14, v175 :: v_dual_mov_b32 v15, v176
	;; [unrolled: 1-line block ×3, first 2 shown]
	s_delay_alu instid0(VALU_DEP_3) | instskip(SKIP_1) | instid1(VALU_DEP_4)
	v_mul_f64_e32 v[8:9], s[40:41], v[10:11]
	v_mul_f64_e32 v[10:11], s[38:39], v[10:11]
	;; [unrolled: 1-line block ×4, first 2 shown]
	v_dual_mov_b32 v75, v17 :: v_dual_mov_b32 v74, v16
	v_mul_f64_e32 v[16:17], s[40:41], v[18:19]
	v_mul_f64_e32 v[18:19], s[38:39], v[18:19]
	v_dual_mov_b32 v22, v165 :: v_dual_mov_b32 v23, v166
	v_dual_mov_b32 v73, v21 :: v_dual_mov_b32 v72, v20
	s_clause 0x1
	scratch_load_b64 v[32:33], off, off offset:352
	scratch_load_b64 v[34:35], off, off offset:344
	v_mul_f64_e32 v[20:21], s[40:41], v[22:23]
	v_mul_f64_e32 v[22:23], s[38:39], v[22:23]
	;; [unrolled: 1-line block ×5, first 2 shown]
	v_dual_mov_b32 v26, v161 :: v_dual_mov_b32 v27, v162
	v_dual_mov_b32 v42, v155 :: v_dual_mov_b32 v43, v156
	;; [unrolled: 1-line block ×3, first 2 shown]
	s_delay_alu instid0(VALU_DEP_3)
	v_mul_f64_e32 v[24:25], s[40:41], v[26:27]
	v_dual_mov_b32 v38, v157 :: v_dual_mov_b32 v39, v158
	v_dual_mov_b32 v63, v41 :: v_dual_mov_b32 v62, v40
	v_mul_f64_e32 v[40:41], s[40:41], v[42:43]
	v_fma_f64 v[78:79], s[38:39], v[185:186], -v[0:1]
	v_dual_mov_b32 v0, v177 :: v_dual_mov_b32 v1, v178
	v_dual_mov_b32 v54, v149 :: v_dual_mov_b32 v55, v150
	;; [unrolled: 1-line block ×4, first 2 shown]
	s_delay_alu instid0(VALU_DEP_4) | instskip(SKIP_4) | instid1(VALU_DEP_4)
	v_fma_f64 v[88:89], s[40:41], v[0:1], v[10:11]
	v_dual_mov_b32 v10, v173 :: v_dual_mov_b32 v11, v174
	v_mul_f64_e32 v[44:45], s[40:41], v[153:154]
	v_dual_mov_b32 v50, v151 :: v_dual_mov_b32 v51, v152
	v_dual_mov_b32 v60, v147 :: v_dual_mov_b32 v61, v148
	v_fma_f64 v[90:91], s[38:39], v[10:11], -v[12:13]
	v_fma_f64 v[92:93], s[40:41], v[10:11], v[14:15]
	v_dual_mov_b32 v10, v169 :: v_dual_mov_b32 v11, v170
	scratch_load_b64 v[12:13], off, off     ; 8-byte Folded Reload
	v_mul_f64_e32 v[26:27], s[38:39], v[26:27]
	v_mul_f64_e32 v[36:37], s[40:41], v[38:39]
	;; [unrolled: 1-line block ×3, first 2 shown]
	v_fma_f64 v[94:95], s[38:39], v[10:11], -v[16:17]
	v_fma_f64 v[96:97], s[40:41], v[10:11], v[18:19]
	v_dual_mov_b32 v10, v163 :: v_dual_mov_b32 v11, v164
	scratch_load_b64 v[18:19], off, off offset:8 ; 8-byte Folded Reload
	v_mul_f64_e32 v[46:47], s[38:39], v[153:154]
	v_mul_f64_e32 v[52:53], s[40:41], v[54:55]
	;; [unrolled: 1-line block ×3, first 2 shown]
	v_fma_f64 v[100:101], s[40:41], v[10:11], v[22:23]
	scratch_load_b64 v[22:23], off, off offset:16 ; 8-byte Folded Reload
	v_fma_f64 v[80:81], s[40:41], v[185:186], v[2:3]
	v_fma_f64 v[82:83], s[38:39], v[206:207], -v[4:5]
	v_fma_f64 v[86:87], s[38:39], v[0:1], -v[8:9]
	v_mul_f64_e32 v[2:3], s[40:41], v[253:254]
	v_mul_f64_e32 v[4:5], s[38:39], v[253:254]
	;; [unrolled: 1-line block ×9, first 2 shown]
	v_fma_f64 v[84:85], s[40:41], v[206:207], v[6:7]
	v_mul_f64_e32 v[0:1], s[38:39], v[60:61]
	v_mul_f64_e32 v[6:7], s[40:41], v[141:142]
	v_dual_mov_b32 v16, v74 :: v_dual_mov_b32 v17, v75
	v_fma_f64 v[98:99], s[38:39], v[10:11], -v[20:21]
	v_dual_mov_b32 v20, v72 :: v_dual_mov_b32 v21, v73
	s_delay_alu instid0(VALU_DEP_3) | instskip(SKIP_2) | instid1(VALU_DEP_2)
	v_fma_f64 v[102:103], s[38:39], v[16:17], -v[24:25]
	v_dual_mov_b32 v24, v70 :: v_dual_mov_b32 v25, v71
	v_fma_f64 v[104:105], s[40:41], v[16:17], v[26:27]
	v_fma_f64 v[110:111], s[38:39], v[24:25], -v[36:37]
	v_fma_f64 v[112:113], s[40:41], v[24:25], v[38:39]
	v_fma_f64 v[134:135], s[38:39], v[183:184], -v[2:3]
	v_fma_f64 v[136:137], s[40:41], v[183:184], v[4:5]
	v_fma_f64 v[72:73], s[40:41], v[211:212], v[8:9]
	v_fma_f64 v[106:107], s[38:39], v[20:21], -v[28:29]
	v_fma_f64 v[108:109], s[40:41], v[20:21], v[30:31]
	s_wait_loadcnt 0x4
	v_lshlrev_b64_e32 v[32:33], 4, v[32:33]
	s_wait_loadcnt 0x3
	v_lshlrev_b64_e32 v[34:35], 4, v[34:35]
	s_delay_alu instid0(VALU_DEP_2) | instskip(SKIP_1) | instid1(VALU_DEP_3)
	v_add_co_u32 v32, vcc_lo, v76, v32
	s_wait_alu 0xfffd
	v_add_co_ci_u32_e64 v33, null, v77, v33, vcc_lo
	s_delay_alu instid0(VALU_DEP_2) | instskip(SKIP_1) | instid1(VALU_DEP_2)
	v_add_co_u32 v10, vcc_lo, v32, v34
	s_wait_alu 0xfffd
	v_add_co_ci_u32_e64 v11, null, v33, v35, vcc_lo
	v_add_co_u32 v14, vcc_lo, v32, s20
	s_wait_alu 0xfffd
	v_add_co_ci_u32_e64 v15, null, s21, v33, vcc_lo
	s_wait_loadcnt 0x2
	v_fma_f64 v[122:123], s[38:39], v[12:13], -v[48:49]
	v_fma_f64 v[124:125], s[40:41], v[12:13], v[50:51]
	v_add_co_u32 v12, vcc_lo, v14, v34
	s_wait_alu 0xfffd
	v_add_co_ci_u32_e64 v13, null, v15, v35, vcc_lo
	v_add_co_u32 v4, vcc_lo, v14, s20
	s_wait_loadcnt 0x1
	v_fma_f64 v[118:119], s[38:39], v[18:19], -v[44:45]
	v_dual_mov_b32 v44, v58 :: v_dual_mov_b32 v45, v59
	v_fma_f64 v[120:121], s[40:41], v[18:19], v[46:47]
	s_wait_alu 0xfffd
	v_add_co_ci_u32_e64 v5, null, s21, v15, vcc_lo
	s_wait_loadcnt 0x0
	v_fma_f64 v[114:115], s[38:39], v[22:23], -v[40:41]
	v_dual_mov_b32 v40, v62 :: v_dual_mov_b32 v41, v63
	v_fma_f64 v[116:117], s[40:41], v[22:23], v[42:43]
	v_fma_f64 v[130:131], s[38:39], v[44:45], -v[56:57]
	v_fma_f64 v[132:133], s[40:41], v[44:45], v[0:1]
	v_fma_f64 v[0:1], s[38:39], v[211:212], -v[6:7]
	v_fma_f64 v[126:127], s[38:39], v[40:41], -v[52:53]
	v_fma_f64 v[128:129], s[40:41], v[40:41], v[54:55]
	v_add_co_u32 v2, vcc_lo, v4, v34
	s_wait_alu 0xfffd
	v_add_co_ci_u32_e64 v3, null, v5, v35, vcc_lo
	v_add_co_u32 v4, vcc_lo, v4, s20
	s_wait_alu 0xfffd
	v_add_co_ci_u32_e64 v5, null, s21, v5, vcc_lo
	s_clause 0x5
	flat_store_b128 v[10:11], v[78:81]
	flat_store_b128 v[10:11], v[82:85] offset:256
	flat_store_b128 v[10:11], v[86:89] offset:512
	;; [unrolled: 1-line block ×3, first 2 shown]
	flat_store_b128 v[12:13], v[94:97]
	flat_store_b128 v[12:13], v[98:101] offset:256
	v_add_co_u32 v4, vcc_lo, v4, v34
	s_wait_alu 0xfffd
	v_add_co_ci_u32_e64 v5, null, v5, v35, vcc_lo
	s_clause 0x1
	flat_store_b128 v[12:13], v[102:105] offset:512
	flat_store_b128 v[12:13], v[106:109] offset:768
	v_add_co_u32 v74, vcc_lo, 0x300, v4
	s_wait_alu 0xfffd
	v_add_co_ci_u32_e64 v75, null, 0, v5, vcc_lo
	s_clause 0x7
	flat_store_b128 v[2:3], v[110:113]
	flat_store_b128 v[2:3], v[114:117] offset:256
	flat_store_b128 v[2:3], v[118:121] offset:512
	;; [unrolled: 1-line block ×3, first 2 shown]
	flat_store_b128 v[4:5], v[126:129]
	flat_store_b128 v[4:5], v[130:133] offset:256
	flat_store_b128 v[4:5], v[134:137] offset:512
	flat_store_b64 v[4:5], v[0:1] offset:768
	s_cbranch_execnz .LBB266_2
.LBB266_11:                             ;   in Loop: Header=BB266_3 Depth=1
	s_clause 0x2
	scratch_load_b64 v[0:1], off, off offset:344
	scratch_load_b64 v[4:5], off, off offset:376
	scratch_load_b64 v[22:23], off, off offset:16 th:TH_LOAD_LU
	v_add_co_u32 v2, vcc_lo, v167, s14
	s_wait_alu 0xfffd
	v_add_co_ci_u32_e64 v3, null, s15, v168, vcc_lo
	v_mul_f64_e32 v[6:7], s[38:39], v[187:188]
	v_dual_mov_b32 v19, v17 :: v_dual_mov_b32 v18, v16
	s_delay_alu instid0(VALU_DEP_2)
	v_fma_f64 v[6:7], s[40:41], v[185:186], v[6:7]
	s_wait_loadcnt 0x2
	v_lshlrev_b64_e32 v[0:1], 4, v[0:1]
	s_wait_loadcnt 0x1
	v_add_co_u32 v14, vcc_lo, v2, v4
	s_wait_alu 0xfffd
	v_add_co_ci_u32_e64 v15, null, v3, v5, vcc_lo
	v_mul_f64_e32 v[4:5], s[40:41], v[187:188]
	s_delay_alu instid0(VALU_DEP_3) | instskip(SKIP_1) | instid1(VALU_DEP_3)
	v_add_co_u32 v2, vcc_lo, v14, v0
	s_wait_alu 0xfffd
	v_add_co_ci_u32_e64 v3, null, v15, v1, vcc_lo
	flat_load_b128 v[72:75], v[2:3]
	v_fma_f64 v[4:5], s[38:39], v[185:186], -v[4:5]
	s_wait_loadcnt_dscnt 0x0
	v_mul_f64_e32 v[8:9], s[8:9], v[74:75]
	v_mul_f64_e32 v[10:11], s[6:7], v[74:75]
	s_delay_alu instid0(VALU_DEP_2) | instskip(NEXT) | instid1(VALU_DEP_2)
	v_fma_f64 v[8:9], s[6:7], v[72:73], -v[8:9]
	v_fma_f64 v[10:11], s[8:9], v[72:73], v[10:11]
	s_delay_alu instid0(VALU_DEP_2) | instskip(SKIP_4) | instid1(VALU_DEP_2)
	v_add_f64_e32 v[68:69], v[4:5], v[8:9]
	scratch_load_b64 v[4:5], off, off offset:352 ; 8-byte Folded Reload
	v_add_f64_e32 v[70:71], v[6:7], v[10:11]
	v_mul_f64_e32 v[6:7], s[40:41], v[251:252]
	v_mul_f64_e32 v[8:9], s[38:39], v[251:252]
	v_fma_f64 v[6:7], s[38:39], v[206:207], -v[6:7]
	s_delay_alu instid0(VALU_DEP_2) | instskip(SKIP_2) | instid1(VALU_DEP_1)
	v_fma_f64 v[8:9], s[40:41], v[206:207], v[8:9]
	s_wait_loadcnt 0x0
	v_lshlrev_b64_e32 v[4:5], 4, v[4:5]
	v_add_co_u32 v16, vcc_lo, v76, v4
	s_wait_alu 0xfffd
	s_delay_alu instid0(VALU_DEP_2) | instskip(NEXT) | instid1(VALU_DEP_2)
	v_add_co_ci_u32_e64 v17, null, v77, v5, vcc_lo
	v_add_co_u32 v4, vcc_lo, v16, v0
	s_wait_alu 0xfffd
	s_delay_alu instid0(VALU_DEP_2)
	v_add_co_ci_u32_e64 v5, null, v17, v1, vcc_lo
	v_add_co_u32 v14, vcc_lo, v14, s18
	s_wait_alu 0xfffd
	v_add_co_ci_u32_e64 v15, null, s19, v15, vcc_lo
	flat_store_b128 v[4:5], v[68:71]
	flat_load_b128 v[68:71], v[2:3] offset:256
	s_wait_loadcnt_dscnt 0x0
	v_mul_f64_e32 v[10:11], s[8:9], v[70:71]
	v_mul_f64_e32 v[12:13], s[6:7], v[70:71]
	s_delay_alu instid0(VALU_DEP_2) | instskip(NEXT) | instid1(VALU_DEP_2)
	v_fma_f64 v[10:11], s[6:7], v[68:69], -v[10:11]
	v_fma_f64 v[12:13], s[8:9], v[68:69], v[12:13]
	s_delay_alu instid0(VALU_DEP_2) | instskip(NEXT) | instid1(VALU_DEP_2)
	v_add_f64_e32 v[64:65], v[6:7], v[10:11]
	v_add_f64_e32 v[66:67], v[8:9], v[12:13]
	v_mul_f64_e32 v[6:7], s[40:41], v[179:180]
	v_mul_f64_e32 v[8:9], s[38:39], v[179:180]
	flat_store_b128 v[4:5], v[64:67] offset:256
	flat_load_b128 v[64:67], v[2:3] offset:512
	v_fma_f64 v[6:7], s[38:39], v[177:178], -v[6:7]
	v_fma_f64 v[8:9], s[40:41], v[177:178], v[8:9]
	s_wait_loadcnt_dscnt 0x0
	v_mul_f64_e32 v[10:11], s[8:9], v[66:67]
	v_mul_f64_e32 v[12:13], s[6:7], v[66:67]
	s_delay_alu instid0(VALU_DEP_2) | instskip(NEXT) | instid1(VALU_DEP_2)
	v_fma_f64 v[10:11], s[6:7], v[64:65], -v[10:11]
	v_fma_f64 v[12:13], s[8:9], v[64:65], v[12:13]
	s_delay_alu instid0(VALU_DEP_2) | instskip(NEXT) | instid1(VALU_DEP_2)
	v_add_f64_e32 v[60:61], v[6:7], v[10:11]
	v_add_f64_e32 v[62:63], v[8:9], v[12:13]
	v_mul_f64_e32 v[6:7], s[38:39], v[175:176]
	flat_store_b128 v[4:5], v[60:63] offset:512
	flat_load_b128 v[60:63], v[2:3] offset:768
	v_mul_f64_e32 v[2:3], s[40:41], v[175:176]
	v_fma_f64 v[6:7], s[40:41], v[173:174], v[6:7]
	s_delay_alu instid0(VALU_DEP_2) | instskip(SKIP_3) | instid1(VALU_DEP_2)
	v_fma_f64 v[2:3], s[38:39], v[173:174], -v[2:3]
	s_wait_loadcnt_dscnt 0x0
	v_mul_f64_e32 v[8:9], s[8:9], v[62:63]
	v_mul_f64_e32 v[10:11], s[6:7], v[62:63]
	v_fma_f64 v[8:9], s[6:7], v[60:61], -v[8:9]
	s_delay_alu instid0(VALU_DEP_2) | instskip(NEXT) | instid1(VALU_DEP_2)
	v_fma_f64 v[10:11], s[8:9], v[60:61], v[10:11]
	v_add_f64_e32 v[56:57], v[2:3], v[8:9]
	s_delay_alu instid0(VALU_DEP_2)
	v_add_f64_e32 v[58:59], v[6:7], v[10:11]
	v_add_co_u32 v2, vcc_lo, v14, v0
	s_wait_alu 0xfffd
	v_add_co_ci_u32_e64 v3, null, v15, v1, vcc_lo
	v_mul_f64_e32 v[6:7], s[38:39], v[171:172]
	v_add_co_u32 v16, vcc_lo, v16, s20
	s_wait_alu 0xfffd
	v_add_co_ci_u32_e64 v17, null, s21, v17, vcc_lo
	flat_store_b128 v[4:5], v[56:59] offset:768
	flat_load_b128 v[56:59], v[2:3]
	v_mul_f64_e32 v[4:5], s[40:41], v[171:172]
	v_fma_f64 v[6:7], s[40:41], v[169:170], v[6:7]
	s_delay_alu instid0(VALU_DEP_2) | instskip(SKIP_3) | instid1(VALU_DEP_2)
	v_fma_f64 v[4:5], s[38:39], v[169:170], -v[4:5]
	s_wait_loadcnt_dscnt 0x0
	v_mul_f64_e32 v[8:9], s[8:9], v[58:59]
	v_mul_f64_e32 v[10:11], s[6:7], v[58:59]
	v_fma_f64 v[8:9], s[6:7], v[56:57], -v[8:9]
	s_delay_alu instid0(VALU_DEP_2) | instskip(NEXT) | instid1(VALU_DEP_2)
	v_fma_f64 v[10:11], s[8:9], v[56:57], v[10:11]
	v_add_f64_e32 v[50:51], v[4:5], v[8:9]
	s_delay_alu instid0(VALU_DEP_2)
	v_add_f64_e32 v[52:53], v[6:7], v[10:11]
	v_add_co_u32 v4, vcc_lo, v16, v0
	s_wait_alu 0xfffd
	v_add_co_ci_u32_e64 v5, null, v17, v1, vcc_lo
	v_mul_f64_e32 v[6:7], s[40:41], v[165:166]
	v_mul_f64_e32 v[8:9], s[38:39], v[165:166]
	v_add_co_u32 v14, vcc_lo, v14, s18
	s_wait_alu 0xfffd
	v_add_co_ci_u32_e64 v15, null, s19, v15, vcc_lo
	flat_store_b128 v[4:5], v[50:53]
	flat_load_b128 v[50:53], v[2:3] offset:256
	v_fma_f64 v[6:7], s[38:39], v[163:164], -v[6:7]
	v_fma_f64 v[8:9], s[40:41], v[163:164], v[8:9]
	s_wait_loadcnt_dscnt 0x0
	v_mul_f64_e32 v[10:11], s[8:9], v[52:53]
	v_mul_f64_e32 v[12:13], s[6:7], v[52:53]
	s_delay_alu instid0(VALU_DEP_2) | instskip(NEXT) | instid1(VALU_DEP_2)
	v_fma_f64 v[10:11], s[6:7], v[50:51], -v[10:11]
	v_fma_f64 v[12:13], s[8:9], v[50:51], v[12:13]
	s_delay_alu instid0(VALU_DEP_2) | instskip(NEXT) | instid1(VALU_DEP_2)
	v_add_f64_e32 v[46:47], v[6:7], v[10:11]
	v_add_f64_e32 v[48:49], v[8:9], v[12:13]
	v_mul_f64_e32 v[6:7], s[40:41], v[161:162]
	v_mul_f64_e32 v[8:9], s[38:39], v[161:162]
	flat_store_b128 v[4:5], v[46:49] offset:256
	flat_load_b128 v[46:49], v[2:3] offset:512
	v_fma_f64 v[6:7], s[38:39], v[18:19], -v[6:7]
	v_fma_f64 v[8:9], s[40:41], v[18:19], v[8:9]
	v_dual_mov_b32 v18, v40 :: v_dual_mov_b32 v19, v41
	s_wait_loadcnt_dscnt 0x0
	v_mul_f64_e32 v[10:11], s[8:9], v[48:49]
	v_mul_f64_e32 v[12:13], s[6:7], v[48:49]
	s_delay_alu instid0(VALU_DEP_2) | instskip(NEXT) | instid1(VALU_DEP_2)
	v_fma_f64 v[10:11], s[6:7], v[46:47], -v[10:11]
	v_fma_f64 v[12:13], s[8:9], v[46:47], v[12:13]
	v_dual_mov_b32 v47, v45 :: v_dual_mov_b32 v46, v44
	s_delay_alu instid0(VALU_DEP_3) | instskip(NEXT) | instid1(VALU_DEP_3)
	v_add_f64_e32 v[42:43], v[6:7], v[10:11]
	v_add_f64_e32 v[44:45], v[8:9], v[12:13]
	v_mul_f64_e32 v[6:7], s[38:39], v[159:160]
	flat_store_b128 v[4:5], v[42:45] offset:512
	flat_load_b128 v[42:45], v[2:3] offset:768
	v_mul_f64_e32 v[2:3], s[40:41], v[159:160]
	v_fma_f64 v[6:7], s[40:41], v[20:21], v[6:7]
	s_delay_alu instid0(VALU_DEP_2) | instskip(SKIP_4) | instid1(VALU_DEP_2)
	v_fma_f64 v[2:3], s[38:39], v[20:21], -v[2:3]
	scratch_load_b64 v[20:21], off, off th:TH_LOAD_LU ; 8-byte Folded Reload
	s_wait_loadcnt_dscnt 0x100
	v_mul_f64_e32 v[8:9], s[8:9], v[44:45]
	v_mul_f64_e32 v[10:11], s[6:7], v[44:45]
	v_fma_f64 v[8:9], s[6:7], v[42:43], -v[8:9]
	s_delay_alu instid0(VALU_DEP_2) | instskip(NEXT) | instid1(VALU_DEP_2)
	v_fma_f64 v[10:11], s[8:9], v[42:43], v[10:11]
	v_add_f64_e32 v[38:39], v[2:3], v[8:9]
	s_delay_alu instid0(VALU_DEP_2)
	v_add_f64_e32 v[40:41], v[6:7], v[10:11]
	v_add_co_u32 v2, vcc_lo, v14, v0
	s_wait_alu 0xfffd
	v_add_co_ci_u32_e64 v3, null, v15, v1, vcc_lo
	v_mul_f64_e32 v[6:7], s[38:39], v[157:158]
	v_add_co_u32 v16, vcc_lo, v16, s20
	s_wait_alu 0xfffd
	v_add_co_ci_u32_e64 v17, null, s21, v17, vcc_lo
	flat_store_b128 v[4:5], v[38:41] offset:768
	flat_load_b128 v[38:41], v[2:3]
	v_mul_f64_e32 v[4:5], s[40:41], v[157:158]
	v_fma_f64 v[6:7], s[40:41], v[24:25], v[6:7]
	s_delay_alu instid0(VALU_DEP_2) | instskip(SKIP_3) | instid1(VALU_DEP_2)
	v_fma_f64 v[4:5], s[38:39], v[24:25], -v[4:5]
	s_wait_loadcnt_dscnt 0x0
	v_mul_f64_e32 v[8:9], s[8:9], v[40:41]
	v_mul_f64_e32 v[10:11], s[6:7], v[40:41]
	v_fma_f64 v[8:9], s[6:7], v[38:39], -v[8:9]
	s_delay_alu instid0(VALU_DEP_2) | instskip(NEXT) | instid1(VALU_DEP_2)
	v_fma_f64 v[10:11], s[8:9], v[38:39], v[10:11]
	v_add_f64_e32 v[34:35], v[4:5], v[8:9]
	s_delay_alu instid0(VALU_DEP_2)
	v_add_f64_e32 v[36:37], v[6:7], v[10:11]
	v_add_co_u32 v4, vcc_lo, v16, v0
	s_wait_alu 0xfffd
	v_add_co_ci_u32_e64 v5, null, v17, v1, vcc_lo
	v_mul_f64_e32 v[6:7], s[40:41], v[155:156]
	v_mul_f64_e32 v[8:9], s[38:39], v[155:156]
	flat_store_b128 v[4:5], v[34:37]
	flat_load_b128 v[34:37], v[2:3] offset:256
	v_fma_f64 v[6:7], s[38:39], v[22:23], -v[6:7]
	v_fma_f64 v[8:9], s[40:41], v[22:23], v[8:9]
	scratch_load_b64 v[22:23], off, off offset:8 th:TH_LOAD_LU ; 8-byte Folded Reload
	s_wait_loadcnt_dscnt 0x100
	v_mul_f64_e32 v[10:11], s[8:9], v[36:37]
	v_mul_f64_e32 v[12:13], s[6:7], v[36:37]
	s_delay_alu instid0(VALU_DEP_2) | instskip(NEXT) | instid1(VALU_DEP_2)
	v_fma_f64 v[10:11], s[6:7], v[34:35], -v[10:11]
	v_fma_f64 v[12:13], s[8:9], v[34:35], v[12:13]
	s_delay_alu instid0(VALU_DEP_2) | instskip(NEXT) | instid1(VALU_DEP_2)
	v_add_f64_e32 v[30:31], v[6:7], v[10:11]
	v_add_f64_e32 v[32:33], v[8:9], v[12:13]
	v_mul_f64_e32 v[6:7], s[40:41], v[153:154]
	v_mul_f64_e32 v[8:9], s[38:39], v[153:154]
	flat_store_b128 v[4:5], v[30:33] offset:256
	flat_load_b128 v[30:33], v[2:3] offset:512
	s_wait_loadcnt 0x1
	v_fma_f64 v[6:7], s[38:39], v[22:23], -v[6:7]
	v_fma_f64 v[8:9], s[40:41], v[22:23], v[8:9]
	s_wait_loadcnt_dscnt 0x0
	v_mul_f64_e32 v[10:11], s[8:9], v[32:33]
	v_mul_f64_e32 v[12:13], s[6:7], v[32:33]
	s_delay_alu instid0(VALU_DEP_2) | instskip(NEXT) | instid1(VALU_DEP_2)
	v_fma_f64 v[10:11], s[6:7], v[30:31], -v[10:11]
	v_fma_f64 v[12:13], s[8:9], v[30:31], v[12:13]
	s_delay_alu instid0(VALU_DEP_2) | instskip(NEXT) | instid1(VALU_DEP_2)
	v_add_f64_e32 v[26:27], v[6:7], v[10:11]
	v_add_f64_e32 v[28:29], v[8:9], v[12:13]
	v_mul_f64_e32 v[6:7], s[38:39], v[151:152]
	flat_store_b128 v[4:5], v[26:29] offset:512
	flat_load_b128 v[26:29], v[2:3] offset:768
	v_mul_f64_e32 v[2:3], s[40:41], v[151:152]
	v_fma_f64 v[6:7], s[40:41], v[20:21], v[6:7]
	s_delay_alu instid0(VALU_DEP_2) | instskip(SKIP_3) | instid1(VALU_DEP_2)
	v_fma_f64 v[2:3], s[38:39], v[20:21], -v[2:3]
	s_wait_loadcnt_dscnt 0x0
	v_mul_f64_e32 v[8:9], s[8:9], v[28:29]
	v_mul_f64_e32 v[10:11], s[6:7], v[28:29]
	v_fma_f64 v[8:9], s[6:7], v[26:27], -v[8:9]
	s_delay_alu instid0(VALU_DEP_2) | instskip(NEXT) | instid1(VALU_DEP_2)
	v_fma_f64 v[10:11], s[8:9], v[26:27], v[10:11]
	v_add_f64_e32 v[22:23], v[2:3], v[8:9]
	s_delay_alu instid0(VALU_DEP_2) | instskip(SKIP_4) | instid1(VALU_DEP_3)
	v_add_f64_e32 v[24:25], v[6:7], v[10:11]
	v_add_co_u32 v2, vcc_lo, v14, s18
	s_wait_alu 0xfffd
	v_add_co_ci_u32_e64 v3, null, s19, v15, vcc_lo
	v_mul_f64_e32 v[6:7], s[38:39], v[149:150]
	v_add_co_u32 v2, vcc_lo, v2, v0
	s_wait_alu 0xfffd
	s_delay_alu instid0(VALU_DEP_3) | instskip(SKIP_4) | instid1(VALU_DEP_2)
	v_add_co_ci_u32_e64 v3, null, v3, v1, vcc_lo
	flat_store_b128 v[4:5], v[22:25] offset:768
	flat_load_b128 v[22:25], v[2:3]
	v_mul_f64_e32 v[4:5], s[40:41], v[149:150]
	v_fma_f64 v[6:7], s[40:41], v[18:19], v[6:7]
	v_fma_f64 v[4:5], s[38:39], v[18:19], -v[4:5]
	s_wait_loadcnt_dscnt 0x0
	v_mul_f64_e32 v[8:9], s[8:9], v[24:25]
	v_mul_f64_e32 v[10:11], s[6:7], v[24:25]
	s_delay_alu instid0(VALU_DEP_2) | instskip(NEXT) | instid1(VALU_DEP_2)
	v_fma_f64 v[8:9], s[6:7], v[22:23], -v[8:9]
	v_fma_f64 v[10:11], s[8:9], v[22:23], v[10:11]
	s_delay_alu instid0(VALU_DEP_2) | instskip(NEXT) | instid1(VALU_DEP_2)
	v_add_f64_e32 v[18:19], v[4:5], v[8:9]
	v_add_f64_e32 v[20:21], v[6:7], v[10:11]
	v_add_co_u32 v4, vcc_lo, v16, s20
	s_wait_alu 0xfffd
	v_add_co_ci_u32_e64 v5, null, s21, v17, vcc_lo
	v_mul_f64_e32 v[6:7], s[38:39], v[147:148]
	s_delay_alu instid0(VALU_DEP_3) | instskip(SKIP_1) | instid1(VALU_DEP_3)
	v_add_co_u32 v0, vcc_lo, v4, v0
	s_wait_alu 0xfffd
	v_add_co_ci_u32_e64 v1, null, v5, v1, vcc_lo
	v_mul_f64_e32 v[4:5], s[40:41], v[147:148]
	s_delay_alu instid0(VALU_DEP_3) | instskip(SKIP_1) | instid1(VALU_DEP_3)
	v_add_co_u32 v74, vcc_lo, 0x300, v0
	s_wait_alu 0xfffd
	v_add_co_ci_u32_e64 v75, null, 0, v1, vcc_lo
	flat_store_b128 v[0:1], v[18:21]
	flat_load_b128 v[18:21], v[2:3] offset:256
	v_fma_f64 v[6:7], s[40:41], v[46:47], v[6:7]
	v_fma_f64 v[4:5], s[38:39], v[46:47], -v[4:5]
	s_wait_loadcnt_dscnt 0x0
	v_mul_f64_e32 v[8:9], s[8:9], v[20:21]
	v_mul_f64_e32 v[10:11], s[6:7], v[20:21]
	s_delay_alu instid0(VALU_DEP_2) | instskip(NEXT) | instid1(VALU_DEP_2)
	v_fma_f64 v[8:9], s[6:7], v[18:19], -v[8:9]
	v_fma_f64 v[10:11], s[8:9], v[18:19], v[10:11]
	s_delay_alu instid0(VALU_DEP_2) | instskip(NEXT) | instid1(VALU_DEP_2)
	v_add_f64_e32 v[14:15], v[4:5], v[8:9]
	v_add_f64_e32 v[16:17], v[6:7], v[10:11]
	v_mul_f64_e32 v[4:5], s[40:41], v[253:254]
	v_mul_f64_e32 v[6:7], s[38:39], v[253:254]
	flat_store_b128 v[0:1], v[14:17] offset:256
	flat_load_b128 v[14:17], v[2:3] offset:512
	v_fma_f64 v[4:5], s[38:39], v[183:184], -v[4:5]
	v_fma_f64 v[6:7], s[40:41], v[183:184], v[6:7]
	s_wait_loadcnt_dscnt 0x0
	v_mul_f64_e32 v[8:9], s[8:9], v[16:17]
	v_mul_f64_e32 v[10:11], s[6:7], v[16:17]
	s_delay_alu instid0(VALU_DEP_2) | instskip(NEXT) | instid1(VALU_DEP_2)
	v_fma_f64 v[8:9], s[6:7], v[14:15], -v[8:9]
	v_fma_f64 v[12:13], s[8:9], v[14:15], v[10:11]
	s_delay_alu instid0(VALU_DEP_2) | instskip(NEXT) | instid1(VALU_DEP_2)
	v_add_f64_e32 v[10:11], v[4:5], v[8:9]
	v_add_f64_e32 v[12:13], v[6:7], v[12:13]
	v_mul_f64_e32 v[4:5], s[38:39], v[141:142]
	flat_store_b128 v[0:1], v[10:13] offset:512
	flat_load_b128 v[10:13], v[2:3] offset:768
	v_mul_f64_e32 v[2:3], s[40:41], v[141:142]
	v_fma_f64 v[4:5], s[40:41], v[211:212], v[4:5]
	s_delay_alu instid0(VALU_DEP_2) | instskip(SKIP_3) | instid1(VALU_DEP_2)
	v_fma_f64 v[2:3], s[38:39], v[211:212], -v[2:3]
	s_wait_loadcnt_dscnt 0x0
	v_mul_f64_e32 v[6:7], s[8:9], v[12:13]
	v_mul_f64_e32 v[8:9], s[6:7], v[12:13]
	v_fma_f64 v[6:7], s[6:7], v[10:11], -v[6:7]
	s_delay_alu instid0(VALU_DEP_2) | instskip(NEXT) | instid1(VALU_DEP_2)
	v_fma_f64 v[8:9], s[8:9], v[10:11], v[8:9]
	v_add_f64_e32 v[2:3], v[2:3], v[6:7]
	s_delay_alu instid0(VALU_DEP_2)
	v_add_f64_e32 v[72:73], v[4:5], v[8:9]
	flat_store_b64 v[0:1], v[2:3] offset:768
	s_branch .LBB266_2
.LBB266_12:
	s_nop 0
	s_sendmsg sendmsg(MSG_DEALLOC_VGPRS)
	s_endpgm
	.section	.rodata,"a",@progbits
	.p2align	6, 0x0
	.amdhsa_kernel _ZN12_GLOBAL__N_127rocblas_gemm_batched_kernelI19rocblas_complex_numIdELi16ELi16ELi64ELi64ELi4ELi64ELi4ELi4ELi64ELc84ELc84EKPKS2_S5_KPS2_EEvlllT_PT11_llSA_llS8_PT12_llPT13_lli
		.amdhsa_group_segment_fixed_size 8192
		.amdhsa_private_segment_fixed_size 388
		.amdhsa_kernarg_size 156
		.amdhsa_user_sgpr_count 2
		.amdhsa_user_sgpr_dispatch_ptr 0
		.amdhsa_user_sgpr_queue_ptr 0
		.amdhsa_user_sgpr_kernarg_segment_ptr 1
		.amdhsa_user_sgpr_dispatch_id 0
		.amdhsa_user_sgpr_private_segment_size 0
		.amdhsa_wavefront_size32 1
		.amdhsa_uses_dynamic_stack 0
		.amdhsa_enable_private_segment 1
		.amdhsa_system_sgpr_workgroup_id_x 1
		.amdhsa_system_sgpr_workgroup_id_y 1
		.amdhsa_system_sgpr_workgroup_id_z 1
		.amdhsa_system_sgpr_workgroup_info 0
		.amdhsa_system_vgpr_workitem_id 1
		.amdhsa_next_free_vgpr 256
		.amdhsa_next_free_sgpr 52
		.amdhsa_reserve_vcc 1
		.amdhsa_float_round_mode_32 0
		.amdhsa_float_round_mode_16_64 0
		.amdhsa_float_denorm_mode_32 3
		.amdhsa_float_denorm_mode_16_64 3
		.amdhsa_fp16_overflow 0
		.amdhsa_workgroup_processor_mode 1
		.amdhsa_memory_ordered 1
		.amdhsa_forward_progress 1
		.amdhsa_inst_pref_size 69
		.amdhsa_round_robin_scheduling 0
		.amdhsa_exception_fp_ieee_invalid_op 0
		.amdhsa_exception_fp_denorm_src 0
		.amdhsa_exception_fp_ieee_div_zero 0
		.amdhsa_exception_fp_ieee_overflow 0
		.amdhsa_exception_fp_ieee_underflow 0
		.amdhsa_exception_fp_ieee_inexact 0
		.amdhsa_exception_int_div_zero 0
	.end_amdhsa_kernel
	.section	.text._ZN12_GLOBAL__N_127rocblas_gemm_batched_kernelI19rocblas_complex_numIdELi16ELi16ELi64ELi64ELi4ELi64ELi4ELi4ELi64ELc84ELc84EKPKS2_S5_KPS2_EEvlllT_PT11_llSA_llS8_PT12_llPT13_lli,"axG",@progbits,_ZN12_GLOBAL__N_127rocblas_gemm_batched_kernelI19rocblas_complex_numIdELi16ELi16ELi64ELi64ELi4ELi64ELi4ELi4ELi64ELc84ELc84EKPKS2_S5_KPS2_EEvlllT_PT11_llSA_llS8_PT12_llPT13_lli,comdat
.Lfunc_end266:
	.size	_ZN12_GLOBAL__N_127rocblas_gemm_batched_kernelI19rocblas_complex_numIdELi16ELi16ELi64ELi64ELi4ELi64ELi4ELi4ELi64ELc84ELc84EKPKS2_S5_KPS2_EEvlllT_PT11_llSA_llS8_PT12_llPT13_lli, .Lfunc_end266-_ZN12_GLOBAL__N_127rocblas_gemm_batched_kernelI19rocblas_complex_numIdELi16ELi16ELi64ELi64ELi4ELi64ELi4ELi4ELi64ELc84ELc84EKPKS2_S5_KPS2_EEvlllT_PT11_llSA_llS8_PT12_llPT13_lli
                                        ; -- End function
	.set _ZN12_GLOBAL__N_127rocblas_gemm_batched_kernelI19rocblas_complex_numIdELi16ELi16ELi64ELi64ELi4ELi64ELi4ELi4ELi64ELc84ELc84EKPKS2_S5_KPS2_EEvlllT_PT11_llSA_llS8_PT12_llPT13_lli.num_vgpr, 256
	.set _ZN12_GLOBAL__N_127rocblas_gemm_batched_kernelI19rocblas_complex_numIdELi16ELi16ELi64ELi64ELi4ELi64ELi4ELi4ELi64ELc84ELc84EKPKS2_S5_KPS2_EEvlllT_PT11_llSA_llS8_PT12_llPT13_lli.num_agpr, 0
	.set _ZN12_GLOBAL__N_127rocblas_gemm_batched_kernelI19rocblas_complex_numIdELi16ELi16ELi64ELi64ELi4ELi64ELi4ELi4ELi64ELc84ELc84EKPKS2_S5_KPS2_EEvlllT_PT11_llSA_llS8_PT12_llPT13_lli.numbered_sgpr, 52
	.set _ZN12_GLOBAL__N_127rocblas_gemm_batched_kernelI19rocblas_complex_numIdELi16ELi16ELi64ELi64ELi4ELi64ELi4ELi4ELi64ELc84ELc84EKPKS2_S5_KPS2_EEvlllT_PT11_llSA_llS8_PT12_llPT13_lli.num_named_barrier, 0
	.set _ZN12_GLOBAL__N_127rocblas_gemm_batched_kernelI19rocblas_complex_numIdELi16ELi16ELi64ELi64ELi4ELi64ELi4ELi4ELi64ELc84ELc84EKPKS2_S5_KPS2_EEvlllT_PT11_llSA_llS8_PT12_llPT13_lli.private_seg_size, 388
	.set _ZN12_GLOBAL__N_127rocblas_gemm_batched_kernelI19rocblas_complex_numIdELi16ELi16ELi64ELi64ELi4ELi64ELi4ELi4ELi64ELc84ELc84EKPKS2_S5_KPS2_EEvlllT_PT11_llSA_llS8_PT12_llPT13_lli.uses_vcc, 1
	.set _ZN12_GLOBAL__N_127rocblas_gemm_batched_kernelI19rocblas_complex_numIdELi16ELi16ELi64ELi64ELi4ELi64ELi4ELi4ELi64ELc84ELc84EKPKS2_S5_KPS2_EEvlllT_PT11_llSA_llS8_PT12_llPT13_lli.uses_flat_scratch, 1
	.set _ZN12_GLOBAL__N_127rocblas_gemm_batched_kernelI19rocblas_complex_numIdELi16ELi16ELi64ELi64ELi4ELi64ELi4ELi4ELi64ELc84ELc84EKPKS2_S5_KPS2_EEvlllT_PT11_llSA_llS8_PT12_llPT13_lli.has_dyn_sized_stack, 0
	.set _ZN12_GLOBAL__N_127rocblas_gemm_batched_kernelI19rocblas_complex_numIdELi16ELi16ELi64ELi64ELi4ELi64ELi4ELi4ELi64ELc84ELc84EKPKS2_S5_KPS2_EEvlllT_PT11_llSA_llS8_PT12_llPT13_lli.has_recursion, 0
	.set _ZN12_GLOBAL__N_127rocblas_gemm_batched_kernelI19rocblas_complex_numIdELi16ELi16ELi64ELi64ELi4ELi64ELi4ELi4ELi64ELc84ELc84EKPKS2_S5_KPS2_EEvlllT_PT11_llSA_llS8_PT12_llPT13_lli.has_indirect_call, 0
	.section	.AMDGPU.csdata,"",@progbits
; Kernel info:
; codeLenInByte = 8788
; TotalNumSgprs: 54
; NumVgprs: 256
; ScratchSize: 388
; MemoryBound: 0
; FloatMode: 240
; IeeeMode: 1
; LDSByteSize: 8192 bytes/workgroup (compile time only)
; SGPRBlocks: 0
; VGPRBlocks: 31
; NumSGPRsForWavesPerEU: 54
; NumVGPRsForWavesPerEU: 256
; Occupancy: 5
; WaveLimiterHint : 1
; COMPUTE_PGM_RSRC2:SCRATCH_EN: 1
; COMPUTE_PGM_RSRC2:USER_SGPR: 2
; COMPUTE_PGM_RSRC2:TRAP_HANDLER: 0
; COMPUTE_PGM_RSRC2:TGID_X_EN: 1
; COMPUTE_PGM_RSRC2:TGID_Y_EN: 1
; COMPUTE_PGM_RSRC2:TGID_Z_EN: 1
; COMPUTE_PGM_RSRC2:TIDIG_COMP_CNT: 1
	.section	.text._ZN12_GLOBAL__N_127rocblas_gemm_batched_kernelI19rocblas_complex_numIdELi16ELi16ELi64ELi64ELi4ELi64ELi4ELi4ELi64ELc67ELc67EKPKS2_S5_KPS2_EEvlllT_PT11_llSA_llS8_PT12_llPT13_lli,"axG",@progbits,_ZN12_GLOBAL__N_127rocblas_gemm_batched_kernelI19rocblas_complex_numIdELi16ELi16ELi64ELi64ELi4ELi64ELi4ELi4ELi64ELc67ELc67EKPKS2_S5_KPS2_EEvlllT_PT11_llSA_llS8_PT12_llPT13_lli,comdat
	.globl	_ZN12_GLOBAL__N_127rocblas_gemm_batched_kernelI19rocblas_complex_numIdELi16ELi16ELi64ELi64ELi4ELi64ELi4ELi4ELi64ELc67ELc67EKPKS2_S5_KPS2_EEvlllT_PT11_llSA_llS8_PT12_llPT13_lli ; -- Begin function _ZN12_GLOBAL__N_127rocblas_gemm_batched_kernelI19rocblas_complex_numIdELi16ELi16ELi64ELi64ELi4ELi64ELi4ELi4ELi64ELc67ELc67EKPKS2_S5_KPS2_EEvlllT_PT11_llSA_llS8_PT12_llPT13_lli
	.p2align	8
	.type	_ZN12_GLOBAL__N_127rocblas_gemm_batched_kernelI19rocblas_complex_numIdELi16ELi16ELi64ELi64ELi4ELi64ELi4ELi4ELi64ELc67ELc67EKPKS2_S5_KPS2_EEvlllT_PT11_llSA_llS8_PT12_llPT13_lli,@function
_ZN12_GLOBAL__N_127rocblas_gemm_batched_kernelI19rocblas_complex_numIdELi16ELi16ELi64ELi64ELi4ELi64ELi4ELi4ELi64ELc67ELc67EKPKS2_S5_KPS2_EEvlllT_PT11_llSA_llS8_PT12_llPT13_lli: ; @_ZN12_GLOBAL__N_127rocblas_gemm_batched_kernelI19rocblas_complex_numIdELi16ELi16ELi64ELi64ELi4ELi64ELi4ELi4ELi64ELc67ELc67EKPKS2_S5_KPS2_EEvlllT_PT11_llSA_llS8_PT12_llPT13_lli
; %bb.0:
	s_load_b32 s24, s[0:1], 0x98
	s_lshr_b32 s2, ttmp7, 16
	s_wait_kmcnt 0x0
	s_cmp_ge_i32 s2, s24
	s_cbranch_scc1 .LBB267_12
; %bb.1:
	v_dual_mov_b32 v138, 0 :: v_dual_and_b32 v1, 0x3ff, v0
	v_bfe_u32 v2, v0, 10, 10
	s_clause 0x2
	s_load_b512 s[4:19], s[0:1], 0x50
	s_load_b512 s[36:51], s[0:1], 0x10
	s_load_b64 s[20:21], s[0:1], 0x90
	s_mov_b32 s22, ttmp9
	s_ashr_i32 s23, ttmp9, 31
	s_lshl_b32 s25, ttmp7, 6
	v_lshl_add_u32 v10, v2, 4, v1
	s_lshl_b64 s[0:1], s[22:23], 6
	s_and_b32 s22, s25, 0x3fffc0
	v_lshl_add_u32 v208, v2, 6, 0x1000
	v_add_nc_u32_e32 v13, s22, v2
	v_lshrrev_b32_e32 v12, 2, v10
	v_and_b32_e32 v14, 63, v10
	v_lshlrev_b32_e32 v255, 4, v1
	s_mov_b32 s3, 0
	s_delay_alu instid0(VALU_DEP_3)
	v_add_co_u32 v2, s22, v12, s22
	s_wait_alu 0xf1ff
	v_add_co_ci_u32_e64 v3, null, 0, 0, s22
	v_add_co_u32 v4, s22, s0, v1
	s_wait_alu 0xf1ff
	v_add_co_ci_u32_e64 v5, null, s1, 0, s22
	s_wait_kmcnt 0x0
	v_mad_co_u64_u32 v[16:17], null, v13, s18, 0
	v_and_b32_e32 v0, 3, v0
	v_or_b32_e32 v1, s0, v14
	scratch_store_b64 off, v[4:5], off offset:344 ; 8-byte Folded Spill
	v_mad_co_u64_u32 v[6:7], null, v13, s12, 0
	v_mad_co_u64_u32 v[4:5], null, s50, v0, v[2:3]
	v_mul_lo_u32 v2, s45, v1
	v_mad_co_u64_u32 v[8:9], null, s44, v1, 0
	v_mov_b32_e32 v3, v17
	v_lshlrev_b32_e32 v11, 4, v0
	v_lshrrev_b32_e32 v1, 6, v10
	s_mul_i32 s0, s44, s1
	v_cmp_eq_f64_e64 s23, s[6:7], 0
	v_cmp_eq_f64_e64 s25, s[8:9], 0
	v_lshl_or_b32 v15, v12, 6, v11
	v_mad_co_u64_u32 v[10:11], null, s51, v0, v[5:6]
	s_wait_alu 0xfffe
	v_add3_u32 v9, v9, s0, v2
	v_mad_co_u64_u32 v[11:12], null, v13, s19, v[3:4]
	v_mad_co_u64_u32 v[12:13], null, v13, s13, v[7:8]
	s_delay_alu instid0(VALU_DEP_3) | instskip(SKIP_2) | instid1(VALU_DEP_4)
	v_lshlrev_b64_e32 v[7:8], 4, v[8:9]
	v_dual_mov_b32 v5, v10 :: v_dual_lshlrev_b32 v14, 4, v14
	s_lshl_b64 s[0:1], s[46:47], 4
	v_dual_mov_b32 v17, v11 :: v_dual_add_nc_u32 v140, 0x1000, v15
	s_wait_alu 0xfffe
	s_delay_alu instid0(VALU_DEP_3)
	v_add_co_u32 v0, vcc_lo, v7, s0
	v_lshl_or_b32 v139, v1, 10, v14
	v_lshlrev_b32_e32 v1, 4, v1
	v_add_co_ci_u32_e64 v2, null, s1, v8, vcc_lo
	v_lshlrev_b64_e32 v[4:5], 4, v[4:5]
	s_lshl_b64 s[0:1], s[4:5], 4
	s_delay_alu instid0(VALU_DEP_3)
	v_add_co_u32 v0, vcc_lo, v0, v1
	s_wait_alu 0xfffd
	v_add_co_ci_u32_e64 v1, null, 0, v2, vcc_lo
	scratch_store_b64 off, v[16:17], off offset:352 ; 8-byte Folded Spill
	v_or_b32_e32 v0, 8, v0
	v_mov_b32_e32 v7, v12
	scratch_store_b32 off, v1, off offset:360 ; 4-byte Folded Spill
	s_lshl_b64 s[4:5], s[50:51], 6
	s_lshl_b64 s[14:15], s[14:15], 4
	scratch_store_b32 off, v0, off offset:364 ; 4-byte Folded Spill
	s_wait_alu 0xfffe
	v_add_co_u32 v0, vcc_lo, s0, v4
	v_cmp_gt_i64_e64 s0, s[36:37], 0
	s_wait_alu 0xfffd
	v_add_co_ci_u32_e64 v2, null, s1, v5, vcc_lo
	s_delay_alu instid0(VALU_DEP_3)
	v_or_b32_e32 v0, 8, v0
	s_and_b32 s25, s23, s25
	s_lshl_b64 s[22:23], s[18:19], 4
	v_cndmask_b32_e64 v1, 0, 1, s0
	s_clause 0x1
	scratch_store_b32 off, v2, off offset:368
	scratch_store_b32 off, v0, off offset:372
	s_lshl_b64 s[18:19], s[12:13], 4
	s_lshl_b64 s[12:13], s[20:21], 4
	v_cmp_ne_u32_e64 s0, 1, v1
	v_lshlrev_b64_e32 v[0:1], 4, v[6:7]
	s_wait_alu 0xfffe
	s_lshl_b64 s[18:19], s[18:19], 4
	s_lshl_b64 s[20:21], s[22:23], 4
	s_clause 0x2
	scratch_store_b64 off, v[0:1], off offset:376
	scratch_store_b32 off, v139, off offset:320
	scratch_store_b32 off, v140, off offset:324
	s_branch .LBB267_3
.LBB267_2:                              ;   in Loop: Header=BB267_3 Depth=1
	s_add_co_i32 s2, s2, 0x10000
	flat_store_b64 v[74:75], v[72:73] offset:8
	s_cmp_lt_i32 s2, s24
	s_cbranch_scc0 .LBB267_12
.LBB267_3:                              ; =>This Loop Header: Depth=1
                                        ;     Child Loop BB267_5 Depth 2
	s_lshl_b64 s[22:23], s[2:3], 3
	s_and_b32 vcc_lo, exec_lo, s0
	s_wait_alu 0xfffe
	s_add_nc_u64 s[26:27], s[10:11], s[22:23]
	s_add_nc_u64 s[28:29], s[16:17], s[22:23]
	s_clause 0x1
	global_load_b64 v[167:168], v138, s[26:27]
	global_load_b64 v[36:37], v138, s[28:29]
	s_cbranch_vccnz .LBB267_7
; %bb.4:                                ;   in Loop: Header=BB267_3 Depth=1
	v_mov_b32_e32 v38, 0
	v_dual_mov_b32 v39, 0 :: v_dual_mov_b32 v0, 0
	v_mov_b32_e32 v1, 0
	s_wait_loadcnt 0x0
	s_clause 0x1
	scratch_store_b64 off, v[36:37], off offset:336
	scratch_store_b64 off, v[167:168], off offset:328
	v_mov_b32_e32 v153, 0
	v_mov_b32_e32 v154, 0
	v_mov_b32_e32 v30, 0
	scratch_store_b64 off, v[0:1], off      ; 8-byte Folded Spill
	v_mov_b32_e32 v0, 0
	v_mov_b32_e32 v1, 0
	;; [unrolled: 1-line block ×3, first 2 shown]
	s_add_nc_u64 s[26:27], s[42:43], s[22:23]
	s_add_nc_u64 s[22:23], s[48:49], s[22:23]
	s_clause 0x1
	global_load_b64 v[74:75], v138, s[26:27]
	global_load_b64 v[76:77], v138, s[22:23]
	scratch_store_b64 off, v[0:1], off offset:8 ; 8-byte Folded Spill
	v_mov_b32_e32 v0, 0
	v_mov_b32_e32 v1, 0
	v_mov_b32_e32 v141, 0
	v_dual_mov_b32 v253, 0 :: v_dual_mov_b32 v46, 0
	v_mov_b32_e32 v42, 0
	scratch_store_b64 off, v[0:1], off offset:16 ; 8-byte Folded Spill
	scratch_load_b32 v0, off, off offset:364 ; 4-byte Folded Reload
	v_mov_b32_e32 v26, 0
	v_mov_b32_e32 v22, 0
	;; [unrolled: 1-line block ×6, first 2 shown]
	v_dual_mov_b32 v142, 0 :: v_dual_mov_b32 v211, 0
	v_dual_mov_b32 v254, 0 :: v_dual_mov_b32 v183, 0
	v_dual_mov_b32 v47, 0 :: v_dual_mov_b32 v44, 0
	v_dual_mov_b32 v43, 0 :: v_dual_mov_b32 v40, 0
	v_dual_mov_b32 v27, 0 :: v_dual_mov_b32 v24, 0
	v_dual_mov_b32 v23, 0 :: v_dual_mov_b32 v20, 0
	v_dual_mov_b32 v19, 0 :: v_dual_mov_b32 v16, 0
	v_dual_mov_b32 v15, 0 :: v_dual_mov_b32 v12, 0
	v_dual_mov_b32 v11, 0 :: v_dual_mov_b32 v8, 0
	v_dual_mov_b32 v7, 0 :: v_dual_mov_b32 v4, 0
	v_dual_mov_b32 v2, 0 :: v_dual_mov_b32 v251, 0
	v_dual_mov_b32 v206, 0 :: v_dual_mov_b32 v187, 0
	v_dual_mov_b32 v185, 0 :: v_dual_mov_b32 v212, 0
	v_dual_mov_b32 v184, 0 :: v_dual_mov_b32 v45, 0
	v_mov_b32_e32 v41, 0
	v_mov_b32_e32 v25, 0
	;; [unrolled: 1-line block ×7, first 2 shown]
	v_dual_mov_b32 v3, 0 :: v_dual_mov_b32 v252, 0
	v_dual_mov_b32 v207, 0 :: v_dual_mov_b32 v188, 0
	v_mov_b32_e32 v186, 0
	s_mov_b64 s[22:23], 0
	s_wait_loadcnt 0x0
	v_add_co_u32 v213, vcc_lo, v74, v0
	scratch_load_b32 v0, off, off offset:360 ; 4-byte Folded Reload
	s_wait_loadcnt 0x0
	s_wait_alu 0xfffd
	v_add_co_ci_u32_e64 v214, null, v75, v0, vcc_lo
	scratch_load_b32 v0, off, off offset:372 ; 4-byte Folded Reload
	s_wait_loadcnt 0x0
	v_add_co_u32 v76, vcc_lo, v76, v0
	scratch_load_b32 v0, off, off offset:368 ; 4-byte Folded Reload
	s_wait_loadcnt 0x0
	s_wait_alu 0xfffd
	v_add_co_ci_u32_e64 v77, null, v77, v0, vcc_lo
	v_mov_b32_e32 v0, 0
	v_mov_b32_e32 v1, 0
.LBB267_5:                              ;   Parent Loop BB267_3 Depth=1
                                        ; =>  This Inner Loop Header: Depth=2
	flat_load_b128 v[78:81], v[213:214] offset:-8
	scratch_store_b64 off, v[141:142], off offset:24 ; 8-byte Folded Spill
	v_dual_mov_b32 v36, v153 :: v_dual_mov_b32 v37, v154
	v_dual_mov_b32 v74, v183 :: v_dual_mov_b32 v75, v184
	s_wait_alu 0xfffe
	s_add_nc_u64 s[22:23], s[22:23], 4
	v_add_co_u32 v213, vcc_lo, v213, 64
	s_wait_alu 0xfffe
	v_cmp_lt_i64_e64 s1, s[22:23], s[36:37]
	s_wait_alu 0xfffd
	v_add_co_ci_u32_e64 v214, null, 0, v214, vcc_lo
	s_and_b32 vcc_lo, exec_lo, s1
	s_wait_loadcnt_dscnt 0x0
	v_xor_b32_e32 v81, 0x80000000, v81
	ds_store_b128 v139, v[78:81]
	flat_load_b128 v[78:81], v[76:77] offset:-8
	v_add_co_u32 v76, s1, v76, s4
	s_wait_alu 0xf1ff
	v_add_co_ci_u32_e64 v77, null, s5, v77, s1
	s_wait_loadcnt_dscnt 0x0
	v_xor_b32_e32 v81, 0x80000000, v81
	ds_store_b128 v140, v[78:81]
	s_wait_storecnt_dscnt 0x0
	s_barrier_signal -1
	s_barrier_wait -1
	global_inv scope:SCOPE_SE
	ds_load_b128 v[92:95], v208
	ds_load_b128 v[128:131], v255
	ds_load_b128 v[132:135], v255 offset:256
	ds_load_b128 v[156:159], v208 offset:16
	s_wait_dscnt 0x2
	v_mul_f64_e32 v[78:79], v[94:95], v[130:131]
	v_mul_f64_e32 v[80:81], v[92:93], v[130:131]
	s_wait_dscnt 0x1
	v_mul_f64_e32 v[82:83], v[94:95], v[134:135]
	v_mul_f64_e32 v[84:85], v[92:93], v[134:135]
	s_delay_alu instid0(VALU_DEP_4)
	v_fma_f64 v[28:29], v[92:93], v[128:129], -v[78:79]
	scratch_store_b64 off, v[28:29], off offset:32 ; 8-byte Folded Spill
	v_fma_f64 v[28:29], v[94:95], v[128:129], v[80:81]
	scratch_store_b64 off, v[28:29], off offset:40 ; 8-byte Folded Spill
	v_fma_f64 v[28:29], v[92:93], v[132:133], -v[82:83]
	scratch_store_b64 off, v[28:29], off offset:48 ; 8-byte Folded Spill
	v_fma_f64 v[28:29], v[94:95], v[132:133], v[84:85]
	scratch_store_b64 off, v[28:29], off offset:56 ; 8-byte Folded Spill
	ds_load_b128 v[136:139], v255 offset:512
	ds_load_b128 v[140:143], v255 offset:768
	s_wait_dscnt 0x1
	v_mul_f64_e32 v[86:87], v[94:95], v[138:139]
	v_mul_f64_e32 v[88:89], v[92:93], v[138:139]
	s_wait_dscnt 0x0
	v_mul_f64_e32 v[90:91], v[94:95], v[142:143]
	s_delay_alu instid0(VALU_DEP_3)
	v_fma_f64 v[28:29], v[92:93], v[136:137], -v[86:87]
	scratch_store_b64 off, v[28:29], off offset:64 ; 8-byte Folded Spill
	v_fma_f64 v[28:29], v[94:95], v[136:137], v[88:89]
	scratch_store_b64 off, v[28:29], off offset:72 ; 8-byte Folded Spill
	v_fma_f64 v[28:29], v[92:93], v[140:141], -v[90:91]
	v_mul_f64_e32 v[92:93], v[92:93], v[142:143]
	scratch_store_b64 off, v[28:29], off offset:80 ; 8-byte Folded Spill
	v_fma_f64 v[28:29], v[94:95], v[140:141], v[92:93]
	scratch_store_b64 off, v[28:29], off offset:88 ; 8-byte Folded Spill
	ds_load_b128 v[108:111], v208 offset:1024
	ds_load_b128 v[172:175], v208 offset:1040
	;; [unrolled: 1-line block ×3, first 2 shown]
	s_wait_dscnt 0x2
	v_mul_f64_e32 v[94:95], v[110:111], v[130:131]
	v_mul_f64_e32 v[96:97], v[108:109], v[130:131]
	;; [unrolled: 1-line block ×7, first 2 shown]
	v_fma_f64 v[28:29], v[108:109], v[128:129], -v[94:95]
	scratch_store_b64 off, v[28:29], off offset:96 ; 8-byte Folded Spill
	v_fma_f64 v[28:29], v[110:111], v[128:129], v[96:97]
	scratch_store_b64 off, v[28:29], off offset:104 ; 8-byte Folded Spill
	v_fma_f64 v[28:29], v[108:109], v[132:133], -v[98:99]
	scratch_store_b64 off, v[28:29], off offset:112 ; 8-byte Folded Spill
	v_fma_f64 v[28:29], v[110:111], v[132:133], v[100:101]
	scratch_store_b64 off, v[28:29], off offset:120 ; 8-byte Folded Spill
	;; [unrolled: 4-line block ×3, first 2 shown]
	v_fma_f64 v[28:29], v[108:109], v[140:141], -v[106:107]
	v_mul_f64_e32 v[108:109], v[108:109], v[142:143]
	scratch_store_b64 off, v[28:29], off offset:144 ; 8-byte Folded Spill
	v_fma_f64 v[28:29], v[110:111], v[140:141], v[108:109]
	scratch_store_b64 off, v[28:29], off offset:152 ; 8-byte Folded Spill
	v_dual_mov_b32 v28, v187 :: v_dual_mov_b32 v29, v188
	ds_load_b128 v[188:191], v208 offset:2064
	s_wait_dscnt 0x1
	v_mul_f64_e32 v[110:111], v[126:127], v[130:131]
	v_mul_f64_e32 v[112:113], v[124:125], v[130:131]
	;; [unrolled: 1-line block ×7, first 2 shown]
	v_fma_f64 v[32:33], v[124:125], v[128:129], -v[110:111]
	scratch_store_b64 off, v[32:33], off offset:160 ; 8-byte Folded Spill
	v_fma_f64 v[32:33], v[126:127], v[128:129], v[112:113]
	scratch_store_b64 off, v[32:33], off offset:168 ; 8-byte Folded Spill
	v_fma_f64 v[32:33], v[124:125], v[132:133], -v[114:115]
	scratch_store_b64 off, v[32:33], off offset:176 ; 8-byte Folded Spill
	v_fma_f64 v[32:33], v[126:127], v[132:133], v[116:117]
	scratch_store_b64 off, v[32:33], off offset:184 ; 8-byte Folded Spill
	;; [unrolled: 4-line block ×3, first 2 shown]
	v_fma_f64 v[32:33], v[124:125], v[140:141], -v[122:123]
	v_mul_f64_e32 v[124:125], v[124:125], v[142:143]
	scratch_store_b64 off, v[32:33], off offset:208 ; 8-byte Folded Spill
	v_fma_f64 v[32:33], v[126:127], v[140:141], v[124:125]
	scratch_store_b64 off, v[32:33], off offset:216 ; 8-byte Folded Spill
	ds_load_b128 v[144:147], v208 offset:3072
	ds_load_b128 v[215:218], v208 offset:3088
	s_wait_dscnt 0x1
	v_mul_f64_e32 v[126:127], v[146:147], v[130:131]
	v_mul_f64_e32 v[130:131], v[144:145], v[130:131]
	s_delay_alu instid0(VALU_DEP_2)
	v_fma_f64 v[32:33], v[144:145], v[128:129], -v[126:127]
	scratch_store_b64 off, v[32:33], off offset:224 ; 8-byte Folded Spill
	v_fma_f64 v[32:33], v[146:147], v[128:129], v[130:131]
	v_mul_f64_e32 v[130:131], v[146:147], v[134:135]
	v_mul_f64_e32 v[134:135], v[144:145], v[134:135]
	scratch_store_b64 off, v[32:33], off offset:232 ; 8-byte Folded Spill
	v_fma_f64 v[32:33], v[144:145], v[132:133], -v[130:131]
	scratch_store_b64 off, v[32:33], off offset:240 ; 8-byte Folded Spill
	v_fma_f64 v[32:33], v[146:147], v[132:133], v[134:135]
	v_mul_f64_e32 v[134:135], v[146:147], v[138:139]
	v_mul_f64_e32 v[138:139], v[144:145], v[138:139]
	scratch_store_b64 off, v[32:33], off offset:248 ; 8-byte Folded Spill
	;; [unrolled: 6-line block ×3, first 2 shown]
	v_fma_f64 v[32:33], v[144:145], v[140:141], -v[138:139]
	scratch_store_b64 off, v[32:33], off offset:272 ; 8-byte Folded Spill
	v_fma_f64 v[32:33], v[146:147], v[140:141], v[142:143]
	scratch_store_b64 off, v[32:33], off offset:280 ; 8-byte Folded Spill
	ds_load_b128 v[192:195], v255 offset:1024
	ds_load_b128 v[196:199], v255 offset:1280
	s_wait_dscnt 0x1
	v_mul_f64_e32 v[142:143], v[158:159], v[194:195]
	v_mul_f64_e32 v[144:145], v[156:157], v[194:195]
	s_wait_dscnt 0x0
	v_mul_f64_e32 v[146:147], v[158:159], v[198:199]
	v_mul_f64_e32 v[148:149], v[156:157], v[198:199]
	;; [unrolled: 1-line block ×8, first 2 shown]
	v_fma_f64 v[32:33], v[156:157], v[192:193], -v[142:143]
	v_fma_f64 v[162:163], v[172:173], v[196:197], -v[162:163]
	v_fma_f64 v[160:161], v[174:175], v[192:193], v[160:161]
	v_fma_f64 v[164:165], v[174:175], v[196:197], v[164:165]
	v_fma_f64 v[178:179], v[188:189], v[196:197], -v[178:179]
	v_fma_f64 v[176:177], v[190:191], v[192:193], v[176:177]
	v_fma_f64 v[180:181], v[190:191], v[196:197], v[180:181]
	scratch_store_b64 off, v[32:33], off offset:288 ; 8-byte Folded Spill
	v_fma_f64 v[32:33], v[158:159], v[192:193], v[144:145]
	scratch_store_b64 off, v[32:33], off offset:296 ; 8-byte Folded Spill
	v_fma_f64 v[32:33], v[156:157], v[196:197], -v[146:147]
	scratch_store_b64 off, v[32:33], off offset:304 ; 8-byte Folded Spill
	v_fma_f64 v[32:33], v[158:159], v[196:197], v[148:149]
	scratch_store_b64 off, v[32:33], off offset:312 ; 8-byte Folded Spill
	ds_load_b128 v[200:203], v255 offset:1536
	ds_load_b128 v[219:222], v255 offset:1792
	v_dual_mov_b32 v32, v185 :: v_dual_mov_b32 v33, v186
	s_wait_dscnt 0x1
	v_mul_f64_e32 v[150:151], v[158:159], v[202:203]
	s_wait_dscnt 0x0
	v_mul_f64_e32 v[154:155], v[158:159], v[221:222]
	v_mul_f64_e32 v[152:153], v[156:157], v[202:203]
	;; [unrolled: 1-line block ×9, first 2 shown]
	v_fma_f64 v[150:151], v[156:157], v[200:201], -v[150:151]
	v_fma_f64 v[154:155], v[156:157], v[219:220], -v[154:155]
	v_mul_f64_e32 v[156:157], v[156:157], v[221:222]
	v_fma_f64 v[152:153], v[158:159], v[200:201], v[152:153]
	v_fma_f64 v[166:167], v[172:173], v[200:201], -v[166:167]
	v_fma_f64 v[170:171], v[172:173], v[219:220], -v[170:171]
	v_fma_f64 v[168:169], v[174:175], v[200:201], v[168:169]
	v_fma_f64 v[182:183], v[188:189], v[200:201], -v[182:183]
	v_fma_f64 v[186:187], v[188:189], v[219:220], -v[186:187]
	v_fma_f64 v[184:185], v[190:191], v[200:201], v[184:185]
	v_fma_f64 v[204:205], v[217:218], v[219:220], v[204:205]
	v_fma_f64 v[156:157], v[158:159], v[219:220], v[156:157]
	v_mul_f64_e32 v[158:159], v[174:175], v[194:195]
	s_delay_alu instid0(VALU_DEP_1) | instskip(SKIP_1) | instid1(VALU_DEP_1)
	v_fma_f64 v[158:159], v[172:173], v[192:193], -v[158:159]
	v_mul_f64_e32 v[172:173], v[172:173], v[221:222]
	v_fma_f64 v[172:173], v[174:175], v[219:220], v[172:173]
	v_mul_f64_e32 v[174:175], v[190:191], v[194:195]
	s_delay_alu instid0(VALU_DEP_1) | instskip(SKIP_1) | instid1(VALU_DEP_1)
	v_fma_f64 v[174:175], v[188:189], v[192:193], -v[174:175]
	v_mul_f64_e32 v[188:189], v[188:189], v[221:222]
	v_fma_f64 v[188:189], v[190:191], v[219:220], v[188:189]
	v_mul_f64_e32 v[190:191], v[217:218], v[194:195]
	v_mul_f64_e32 v[194:195], v[215:216], v[194:195]
	s_delay_alu instid0(VALU_DEP_2) | instskip(NEXT) | instid1(VALU_DEP_2)
	v_fma_f64 v[190:191], v[215:216], v[192:193], -v[190:191]
	v_fma_f64 v[192:193], v[217:218], v[192:193], v[194:195]
	v_mul_f64_e32 v[194:195], v[217:218], v[198:199]
	v_mul_f64_e32 v[198:199], v[215:216], v[198:199]
	s_delay_alu instid0(VALU_DEP_2) | instskip(NEXT) | instid1(VALU_DEP_2)
	v_fma_f64 v[194:195], v[215:216], v[196:197], -v[194:195]
	v_fma_f64 v[196:197], v[217:218], v[196:197], v[198:199]
	v_mul_f64_e32 v[198:199], v[217:218], v[202:203]
	v_mul_f64_e32 v[202:203], v[215:216], v[202:203]
	s_delay_alu instid0(VALU_DEP_2) | instskip(NEXT) | instid1(VALU_DEP_2)
	v_fma_f64 v[198:199], v[215:216], v[200:201], -v[198:199]
	v_fma_f64 v[200:201], v[217:218], v[200:201], v[202:203]
	v_mul_f64_e32 v[202:203], v[217:218], v[221:222]
	s_delay_alu instid0(VALU_DEP_1)
	v_fma_f64 v[202:203], v[215:216], v[219:220], -v[202:203]
	ds_load_b128 v[215:218], v208 offset:32
	ds_load_b128 v[219:222], v255 offset:2048
	;; [unrolled: 1-line block ×4, first 2 shown]
	s_wait_dscnt 0x2
	v_mul_f64_e32 v[231:232], v[217:218], v[221:222]
	s_delay_alu instid0(VALU_DEP_1) | instskip(SKIP_1) | instid1(VALU_DEP_1)
	v_fma_f64 v[146:147], v[215:216], v[219:220], -v[231:232]
	v_mul_f64_e32 v[231:232], v[215:216], v[221:222]
	v_fma_f64 v[144:145], v[217:218], v[219:220], v[231:232]
	s_wait_dscnt 0x1
	v_mul_f64_e32 v[231:232], v[217:218], v[225:226]
	s_delay_alu instid0(VALU_DEP_1) | instskip(SKIP_1) | instid1(VALU_DEP_1)
	v_fma_f64 v[142:143], v[215:216], v[223:224], -v[231:232]
	v_mul_f64_e32 v[231:232], v[215:216], v[225:226]
	v_fma_f64 v[140:141], v[217:218], v[223:224], v[231:232]
	ds_load_b128 v[231:234], v255 offset:2560
	ds_load_b128 v[235:238], v255 offset:2816
	s_wait_dscnt 0x1
	v_mul_f64_e32 v[239:240], v[217:218], v[233:234]
	s_delay_alu instid0(VALU_DEP_1) | instskip(SKIP_1) | instid1(VALU_DEP_1)
	v_fma_f64 v[138:139], v[215:216], v[231:232], -v[239:240]
	v_mul_f64_e32 v[239:240], v[215:216], v[233:234]
	v_fma_f64 v[136:137], v[217:218], v[231:232], v[239:240]
	s_wait_dscnt 0x0
	v_mul_f64_e32 v[239:240], v[217:218], v[237:238]
	s_delay_alu instid0(VALU_DEP_1) | instskip(SKIP_1) | instid1(VALU_DEP_1)
	v_fma_f64 v[134:135], v[215:216], v[235:236], -v[239:240]
	v_mul_f64_e32 v[215:216], v[215:216], v[237:238]
	v_fma_f64 v[132:133], v[217:218], v[235:236], v[215:216]
	ds_load_b128 v[215:218], v208 offset:1056
	ds_load_b128 v[239:242], v208 offset:1072
	s_wait_dscnt 0x1
	v_mul_f64_e32 v[243:244], v[217:218], v[221:222]
	s_delay_alu instid0(VALU_DEP_1) | instskip(SKIP_1) | instid1(VALU_DEP_1)
	v_fma_f64 v[130:131], v[215:216], v[219:220], -v[243:244]
	v_mul_f64_e32 v[243:244], v[215:216], v[221:222]
	v_fma_f64 v[209:210], v[217:218], v[219:220], v[243:244]
	v_mul_f64_e32 v[243:244], v[217:218], v[225:226]
	s_delay_alu instid0(VALU_DEP_1) | instskip(SKIP_1) | instid1(VALU_DEP_1)
	v_fma_f64 v[128:129], v[215:216], v[223:224], -v[243:244]
	v_mul_f64_e32 v[243:244], v[215:216], v[225:226]
	v_fma_f64 v[126:127], v[217:218], v[223:224], v[243:244]
	;; [unrolled: 5-line block ×4, first 2 shown]
	ds_load_b128 v[215:218], v208 offset:2080
	ds_load_b128 v[243:246], v208 offset:2096
	s_wait_dscnt 0x1
	v_mul_f64_e32 v[247:248], v[217:218], v[221:222]
	s_delay_alu instid0(VALU_DEP_1) | instskip(SKIP_1) | instid1(VALU_DEP_1)
	v_fma_f64 v[116:117], v[215:216], v[219:220], -v[247:248]
	v_mul_f64_e32 v[247:248], v[215:216], v[221:222]
	v_fma_f64 v[114:115], v[217:218], v[219:220], v[247:248]
	v_mul_f64_e32 v[247:248], v[217:218], v[225:226]
	s_delay_alu instid0(VALU_DEP_1) | instskip(SKIP_1) | instid1(VALU_DEP_1)
	v_fma_f64 v[112:113], v[215:216], v[223:224], -v[247:248]
	v_mul_f64_e32 v[247:248], v[215:216], v[225:226]
	v_fma_f64 v[110:111], v[217:218], v[223:224], v[247:248]
	;; [unrolled: 5-line block ×4, first 2 shown]
	ds_load_b128 v[215:218], v208 offset:3104
	ds_load_b128 v[247:250], v208 offset:3120
	s_wait_dscnt 0x1
	v_mul_f64_e32 v[34:35], v[217:218], v[221:222]
	v_mul_f64_e32 v[221:222], v[215:216], v[221:222]
	s_delay_alu instid0(VALU_DEP_2) | instskip(NEXT) | instid1(VALU_DEP_2)
	v_fma_f64 v[100:101], v[215:216], v[219:220], -v[34:35]
	v_fma_f64 v[98:99], v[217:218], v[219:220], v[221:222]
	v_mul_f64_e32 v[219:220], v[217:218], v[225:226]
	s_delay_alu instid0(VALU_DEP_1) | instskip(SKIP_1) | instid1(VALU_DEP_1)
	v_fma_f64 v[96:97], v[215:216], v[223:224], -v[219:220]
	v_mul_f64_e32 v[219:220], v[215:216], v[225:226]
	v_fma_f64 v[94:95], v[217:218], v[223:224], v[219:220]
	v_mul_f64_e32 v[219:220], v[217:218], v[233:234]
	s_delay_alu instid0(VALU_DEP_1) | instskip(SKIP_1) | instid1(VALU_DEP_1)
	v_fma_f64 v[92:93], v[215:216], v[231:232], -v[219:220]
	v_mul_f64_e32 v[219:220], v[215:216], v[233:234]
	;; [unrolled: 5-line block ×3, first 2 shown]
	v_fma_f64 v[235:236], v[217:218], v[235:236], v[215:216]
	ds_load_b128 v[215:218], v255 offset:3072
	ds_load_b128 v[219:222], v255 offset:3328
	s_wait_dscnt 0x1
	v_mul_f64_e32 v[223:224], v[229:230], v[217:218]
	s_wait_dscnt 0x0
	v_mul_f64_e32 v[64:65], v[241:242], v[221:222]
	v_mul_f64_e32 v[62:63], v[239:240], v[217:218]
	;; [unrolled: 1-line block ×6, first 2 shown]
	v_fma_f64 v[237:238], v[227:228], v[215:216], -v[223:224]
	v_mul_f64_e32 v[223:224], v[227:228], v[217:218]
	v_fma_f64 v[64:65], v[239:240], v[219:220], -v[64:65]
	v_fma_f64 v[62:63], v[241:242], v[215:216], v[62:63]
	v_fma_f64 v[66:67], v[241:242], v[219:220], v[66:67]
	v_fma_f64 v[82:83], v[243:244], v[219:220], -v[82:83]
	v_fma_f64 v[80:81], v[245:246], v[215:216], v[80:81]
	v_fma_f64 v[84:85], v[245:246], v[219:220], v[84:85]
	;; [unrolled: 1-line block ×3, first 2 shown]
	v_mul_f64_e32 v[223:224], v[229:230], v[221:222]
	s_delay_alu instid0(VALU_DEP_1) | instskip(SKIP_1) | instid1(VALU_DEP_1)
	v_fma_f64 v[52:53], v[227:228], v[219:220], -v[223:224]
	v_mul_f64_e32 v[223:224], v[227:228], v[221:222]
	v_fma_f64 v[54:55], v[229:230], v[219:220], v[223:224]
	ds_load_b128 v[223:226], v255 offset:3584
	ds_load_b128 v[231:234], v255 offset:3840
	scratch_load_b64 v[34:35], off, off offset:32 th:TH_LOAD_LU ; 8-byte Folded Reload
	s_wait_dscnt 0x1
	v_mul_f64_e32 v[56:57], v[229:230], v[225:226]
	s_wait_dscnt 0x0
	v_mul_f64_e32 v[60:61], v[229:230], v[233:234]
	v_mul_f64_e32 v[58:59], v[227:228], v[225:226]
	;; [unrolled: 1-line block ×8, first 2 shown]
	v_fma_f64 v[56:57], v[227:228], v[223:224], -v[56:57]
	v_fma_f64 v[60:61], v[227:228], v[231:232], -v[60:61]
	v_mul_f64_e32 v[227:228], v[227:228], v[233:234]
	v_fma_f64 v[58:59], v[229:230], v[223:224], v[58:59]
	v_fma_f64 v[68:69], v[239:240], v[223:224], -v[68:69]
	v_fma_f64 v[78:79], v[239:240], v[231:232], -v[78:79]
	v_fma_f64 v[70:71], v[241:242], v[223:224], v[70:71]
	v_fma_f64 v[86:87], v[243:244], v[223:224], -v[86:87]
	v_fma_f64 v[90:91], v[243:244], v[231:232], -v[90:91]
	v_fma_f64 v[88:89], v[245:246], v[223:224], v[88:89]
	v_fma_f64 v[227:228], v[229:230], v[231:232], v[227:228]
	v_mul_f64_e32 v[229:230], v[241:242], v[217:218]
	s_delay_alu instid0(VALU_DEP_1) | instskip(SKIP_1) | instid1(VALU_DEP_1)
	v_fma_f64 v[229:230], v[239:240], v[215:216], -v[229:230]
	v_mul_f64_e32 v[239:240], v[239:240], v[233:234]
	v_fma_f64 v[239:240], v[241:242], v[231:232], v[239:240]
	v_mul_f64_e32 v[241:242], v[245:246], v[217:218]
	s_delay_alu instid0(VALU_DEP_1) | instskip(SKIP_1) | instid1(VALU_DEP_1)
	v_fma_f64 v[241:242], v[243:244], v[215:216], -v[241:242]
	v_mul_f64_e32 v[243:244], v[243:244], v[233:234]
	v_fma_f64 v[243:244], v[245:246], v[231:232], v[243:244]
	v_mul_f64_e32 v[245:246], v[249:250], v[217:218]
	v_mul_f64_e32 v[217:218], v[247:248], v[217:218]
	s_delay_alu instid0(VALU_DEP_2) | instskip(NEXT) | instid1(VALU_DEP_2)
	v_fma_f64 v[245:246], v[247:248], v[215:216], -v[245:246]
	v_fma_f64 v[215:216], v[249:250], v[215:216], v[217:218]
	v_mul_f64_e32 v[217:218], v[249:250], v[221:222]
	v_mul_f64_e32 v[221:222], v[247:248], v[221:222]
	s_delay_alu instid0(VALU_DEP_2) | instskip(NEXT) | instid1(VALU_DEP_2)
	v_fma_f64 v[217:218], v[247:248], v[219:220], -v[217:218]
	;; [unrolled: 5-line block ×4, first 2 shown]
	v_fma_f64 v[231:232], v[249:250], v[231:232], v[233:234]
	s_wait_loadcnt 0x0
	v_add_f64_e32 v[233:234], v[32:33], v[34:35]
	scratch_load_b64 v[32:33], off, off offset:40 th:TH_LOAD_LU ; 8-byte Folded Reload
	s_wait_loadcnt 0x0
	v_add_f64_e32 v[247:248], v[32:33], v[28:29]
	scratch_load_b64 v[28:29], off, off offset:48 th:TH_LOAD_LU ; 8-byte Folded Reload
	;; [unrolled: 3-line block ×5, first 2 shown]
	v_add_f64_e32 v[0:1], v[0:1], v[150:151]
	s_delay_alu instid0(VALU_DEP_1) | instskip(NEXT) | instid1(VALU_DEP_1)
	v_add_f64_e32 v[0:1], v[0:1], v[138:139]
	v_add_f64_e32 v[0:1], v[0:1], v[56:57]
	s_wait_loadcnt 0x0
	v_add_f64_e32 v[2:3], v[28:29], v[2:3]
	scratch_load_b64 v[28:29], off, off offset:80 th:TH_LOAD_LU ; 8-byte Folded Reload
	v_add_f64_e32 v[2:3], v[152:153], v[2:3]
	s_delay_alu instid0(VALU_DEP_1) | instskip(NEXT) | instid1(VALU_DEP_1)
	v_add_f64_e32 v[2:3], v[136:137], v[2:3]
	v_add_f64_e32 v[2:3], v[58:59], v[2:3]
	s_wait_loadcnt 0x0
	v_add_f64_e32 v[4:5], v[4:5], v[28:29]
	scratch_load_b64 v[28:29], off, off offset:88 th:TH_LOAD_LU ; 8-byte Folded Reload
	;; [unrolled: 7-line block ×12, first 2 shown]
	v_add_f64_e32 v[24:25], v[24:25], v[174:175]
	s_delay_alu instid0(VALU_DEP_1) | instskip(NEXT) | instid1(VALU_DEP_1)
	v_add_f64_e32 v[24:25], v[24:25], v[116:117]
	v_add_f64_e32 v[24:25], v[24:25], v[241:242]
	s_wait_loadcnt 0x0
	v_add_f64_e32 v[26:27], v[28:29], v[26:27]
	s_clause 0x1
	scratch_load_b64 v[28:29], off, off offset:16 th:TH_LOAD_LU
	scratch_load_b64 v[32:33], off, off offset:176 th:TH_LOAD_LU
	v_add_f64_e32 v[26:27], v[176:177], v[26:27]
	s_delay_alu instid0(VALU_DEP_1) | instskip(NEXT) | instid1(VALU_DEP_1)
	v_add_f64_e32 v[26:27], v[114:115], v[26:27]
	v_add_f64_e32 v[26:27], v[80:81], v[26:27]
	s_wait_loadcnt 0x0
	v_add_f64_e32 v[28:29], v[28:29], v[32:33]
	scratch_load_b64 v[32:33], off, off offset:184 th:TH_LOAD_LU ; 8-byte Folded Reload
	v_add_f64_e32 v[28:29], v[28:29], v[178:179]
	s_delay_alu instid0(VALU_DEP_1) | instskip(NEXT) | instid1(VALU_DEP_1)
	v_add_f64_e32 v[28:29], v[28:29], v[112:113]
	v_add_f64_e32 v[28:29], v[28:29], v[82:83]
	s_wait_loadcnt 0x0
	v_add_f64_e32 v[30:31], v[32:33], v[30:31]
	s_clause 0x1
	scratch_load_b64 v[32:33], off, off offset:8 th:TH_LOAD_LU
	scratch_load_b64 v[34:35], off, off offset:192 th:TH_LOAD_LU
	v_add_f64_e32 v[30:31], v[180:181], v[30:31]
	s_delay_alu instid0(VALU_DEP_1) | instskip(NEXT) | instid1(VALU_DEP_1)
	v_add_f64_e32 v[30:31], v[110:111], v[30:31]
	v_add_f64_e32 v[30:31], v[84:85], v[30:31]
	s_wait_loadcnt 0x0
	v_add_f64_e32 v[32:33], v[32:33], v[34:35]
	scratch_load_b64 v[34:35], off, off offset:200 th:TH_LOAD_LU ; 8-byte Folded Reload
	v_add_f64_e32 v[32:33], v[32:33], v[182:183]
	s_delay_alu instid0(VALU_DEP_1) | instskip(NEXT) | instid1(VALU_DEP_1)
	v_add_f64_e32 v[32:33], v[32:33], v[108:109]
	v_add_f64_e32 v[32:33], v[32:33], v[86:87]
	s_wait_loadcnt 0x0
	v_add_f64_e32 v[34:35], v[34:35], v[36:37]
	s_clause 0x1
	scratch_load_b64 v[36:37], off, off th:TH_LOAD_LU
	scratch_load_b64 v[251:252], off, off offset:208 th:TH_LOAD_LU
	v_add_f64_e32 v[34:35], v[184:185], v[34:35]
	s_delay_alu instid0(VALU_DEP_1) | instskip(SKIP_4) | instid1(VALU_DEP_1)
	v_add_f64_e32 v[34:35], v[106:107], v[34:35]
	s_wait_loadcnt 0x0
	v_add_f64_e32 v[36:37], v[36:37], v[251:252]
	scratch_load_b64 v[251:252], off, off offset:216 th:TH_LOAD_LU ; 8-byte Folded Reload
	v_add_f64_e32 v[36:37], v[36:37], v[186:187]
	v_add_f64_e32 v[36:37], v[36:37], v[104:105]
	s_wait_loadcnt 0x0
	v_add_f64_e32 v[38:39], v[251:252], v[38:39]
	scratch_load_b64 v[251:252], off, off offset:224 th:TH_LOAD_LU ; 8-byte Folded Reload
	v_add_f64_e32 v[38:39], v[188:189], v[38:39]
	s_delay_alu instid0(VALU_DEP_1) | instskip(NEXT) | instid1(VALU_DEP_1)
	v_add_f64_e32 v[38:39], v[102:103], v[38:39]
	v_add_f64_e32 v[38:39], v[243:244], v[38:39]
	s_wait_loadcnt 0x0
	v_add_f64_e32 v[40:41], v[40:41], v[251:252]
	scratch_load_b64 v[251:252], off, off offset:232 th:TH_LOAD_LU ; 8-byte Folded Reload
	v_add_f64_e32 v[40:41], v[40:41], v[190:191]
	s_delay_alu instid0(VALU_DEP_1) | instskip(NEXT) | instid1(VALU_DEP_1)
	;; [unrolled: 7-line block ×6, first 2 shown]
	v_add_f64_e32 v[74:75], v[74:75], v[92:93]
	v_add_f64_e32 v[183:184], v[74:75], v[221:222]
	s_wait_loadcnt 0x0
	v_add_f64_e32 v[251:252], v[251:252], v[253:254]
	scratch_load_b64 v[253:254], off, off offset:272 th:TH_LOAD_LU ; 8-byte Folded Reload
	v_add_f64_e32 v[150:151], v[200:201], v[251:252]
	s_delay_alu instid0(VALU_DEP_1)
	v_add_f64_e32 v[72:73], v[72:73], v[150:151]
	s_wait_loadcnt 0x0
	v_add_f64_e32 v[253:254], v[211:212], v[253:254]
	s_clause 0x2
	scratch_load_b64 v[211:212], off, off offset:24 th:TH_LOAD_LU
	scratch_load_b64 v[148:149], off, off offset:280 th:TH_LOAD_LU
	scratch_load_b32 v139, off, off offset:320
	v_add_f64_e32 v[152:153], v[253:254], v[202:203]
	v_add_f64_e32 v[253:254], v[223:224], v[72:73]
	s_delay_alu instid0(VALU_DEP_2)
	v_add_f64_e32 v[50:51], v[152:153], v[50:51]
	s_wait_loadcnt 0x1
	v_add_f64_e32 v[211:212], v[148:149], v[211:212]
	scratch_load_b64 v[148:149], off, off offset:288 th:TH_LOAD_LU ; 8-byte Folded Reload
	v_add_f64_e32 v[154:155], v[204:205], v[211:212]
	v_add_f64_e32 v[211:212], v[50:51], v[225:226]
	s_delay_alu instid0(VALU_DEP_2)
	v_add_f64_e32 v[92:93], v[235:236], v[154:155]
	v_add_f64_e32 v[153:154], v[88:89], v[34:35]
	v_add_f64_e32 v[34:35], v[36:37], v[90:91]
	s_clause 0x2
	scratch_store_b64 off, v[28:29], off offset:16
	scratch_store_b64 off, v[32:33], off offset:8
	scratch_store_b64 off, v[34:35], off
	s_wait_loadcnt 0x0
	v_add_f64_e32 v[233:234], v[233:234], v[148:149]
	scratch_load_b64 v[148:149], off, off offset:296 th:TH_LOAD_LU ; 8-byte Folded Reload
	v_add_f64_e32 v[146:147], v[233:234], v[146:147]
	s_delay_alu instid0(VALU_DEP_1) | instskip(SKIP_4) | instid1(VALU_DEP_1)
	v_add_f64_e32 v[185:186], v[146:147], v[237:238]
	s_wait_loadcnt 0x0
	v_add_f64_e32 v[247:248], v[148:149], v[247:248]
	scratch_load_b64 v[148:149], off, off offset:304 th:TH_LOAD_LU ; 8-byte Folded Reload
	v_add_f64_e32 v[144:145], v[144:145], v[247:248]
	v_add_f64_e32 v[187:188], v[48:49], v[144:145]
	s_wait_loadcnt 0x0
	v_add_f64_e32 v[249:250], v[249:250], v[148:149]
	scratch_load_b64 v[148:149], off, off offset:312 th:TH_LOAD_LU ; 8-byte Folded Reload
	v_add_f64_e32 v[142:143], v[249:250], v[142:143]
	s_wait_loadcnt 0x0
	v_add_f64_e32 v[148:149], v[148:149], v[206:207]
	s_delay_alu instid0(VALU_DEP_2) | instskip(NEXT) | instid1(VALU_DEP_2)
	v_add_f64_e32 v[206:207], v[142:143], v[52:53]
	v_add_f64_e32 v[140:141], v[140:141], v[148:149]
	s_delay_alu instid0(VALU_DEP_1)
	v_add_f64_e32 v[251:252], v[54:55], v[140:141]
	scratch_load_b32 v140, off, off offset:324 ; 4-byte Folded Reload
	v_add_f64_e32 v[141:142], v[231:232], v[92:93]
	s_wait_loadcnt 0x0
	s_wait_storecnt 0x0
	s_barrier_signal -1
	s_barrier_wait -1
	global_inv scope:SCOPE_SE
	s_wait_alu 0xfffe
	s_cbranch_vccnz .LBB267_5
; %bb.6:                                ;   in Loop: Header=BB267_3 Depth=1
	s_clause 0x1
	scratch_load_b64 v[167:168], off, off offset:328
	scratch_load_b64 v[36:37], off, off offset:336
	v_mov_b32_e32 v138, 0
	s_branch .LBB267_8
.LBB267_7:                              ;   in Loop: Header=BB267_3 Depth=1
	v_mov_b32_e32 v28, 0
	v_dual_mov_b32 v32, 0 :: v_dual_mov_b32 v153, 0
	v_dual_mov_b32 v34, 0 :: v_dual_mov_b32 v29, 0
	;; [unrolled: 1-line block ×5, first 2 shown]
	v_mov_b32_e32 v0, 0
	v_mov_b32_e32 v4, 0
	;; [unrolled: 1-line block ×8, first 2 shown]
	v_dual_mov_b32 v44, 0 :: v_dual_mov_b32 v183, 0
	v_dual_mov_b32 v211, 0 :: v_dual_mov_b32 v186, 0
	;; [unrolled: 1-line block ×3, first 2 shown]
	v_mov_b32_e32 v251, 0
	v_dual_mov_b32 v1, 0 :: v_dual_mov_b32 v2, 0
	v_dual_mov_b32 v5, 0 :: v_dual_mov_b32 v6, 0
	;; [unrolled: 1-line block ×13, first 2 shown]
	v_mov_b32_e32 v7, 0
	v_mov_b32_e32 v11, 0
	v_mov_b32_e32 v15, 0
	v_mov_b32_e32 v19, 0
	v_mov_b32_e32 v23, 0
	v_mov_b32_e32 v27, 0
	s_clause 0x2
	scratch_store_b64 off, v[28:29], off offset:16
	scratch_store_b64 off, v[32:33], off offset:8
	scratch_store_b64 off, v[34:35], off
	v_mov_b32_e32 v31, 0
	v_mov_b32_e32 v39, 0
	;; [unrolled: 1-line block ×3, first 2 shown]
	v_dual_mov_b32 v47, 0 :: v_dual_mov_b32 v254, 0
	v_mov_b32_e32 v142, 0
.LBB267_8:                              ;   in Loop: Header=BB267_3 Depth=1
	s_wait_loadcnt 0x0
	v_add_co_u32 v76, vcc_lo, v36, s12
	v_dual_mov_b32 v160, v23 :: v_dual_mov_b32 v159, v22
	v_dual_mov_b32 v158, v27 :: v_dual_mov_b32 v157, v26
	v_dual_mov_b32 v156, v31 :: v_dual_mov_b32 v155, v30
	v_dual_mov_b32 v180, v3 :: v_dual_mov_b32 v179, v2
	v_dual_mov_b32 v178, v1 :: v_dual_mov_b32 v177, v0
	v_dual_mov_b32 v176, v7 :: v_dual_mov_b32 v175, v6
	v_dual_mov_b32 v174, v5 :: v_dual_mov_b32 v173, v4
	v_dual_mov_b32 v172, v11 :: v_dual_mov_b32 v171, v10
	v_dual_mov_b32 v170, v9 :: v_dual_mov_b32 v169, v8
	v_dual_mov_b32 v166, v15 :: v_dual_mov_b32 v165, v14
	v_dual_mov_b32 v164, v13 :: v_dual_mov_b32 v163, v12
	v_dual_mov_b32 v162, v19 :: v_dual_mov_b32 v161, v18
	v_dual_mov_b32 v152, v39 :: v_dual_mov_b32 v151, v38
	v_dual_mov_b32 v150, v43 :: v_dual_mov_b32 v149, v42
	v_dual_mov_b32 v148, v47 :: v_dual_mov_b32 v147, v46
	s_wait_alu 0xfffd
	v_add_co_ci_u32_e64 v77, null, s13, v37, vcc_lo
	s_and_not1_b32 vcc_lo, exec_lo, s25
	s_mov_b32 s1, -1
                                        ; implicit-def: $vgpr72_vgpr73
                                        ; implicit-def: $vgpr74_vgpr75
	s_wait_alu 0xfffe
	s_cbranch_vccz .LBB267_10
; %bb.9:                                ;   in Loop: Header=BB267_3 Depth=1
	s_and_not1_b32 vcc_lo, exec_lo, s1
	s_wait_alu 0xfffe
	s_cbranch_vccnz .LBB267_2
	s_branch .LBB267_11
.LBB267_10:                             ;   in Loop: Header=BB267_3 Depth=1
	v_mul_f64_e32 v[0:1], s[40:41], v[187:188]
	v_dual_mov_b32 v10, v179 :: v_dual_mov_b32 v11, v180
	v_dual_mov_b32 v14, v175 :: v_dual_mov_b32 v15, v176
	v_dual_mov_b32 v18, v171 :: v_dual_mov_b32 v19, v172
	s_delay_alu instid0(VALU_DEP_3) | instskip(SKIP_1) | instid1(VALU_DEP_4)
	v_mul_f64_e32 v[8:9], s[40:41], v[10:11]
	v_mul_f64_e32 v[10:11], s[38:39], v[10:11]
	;; [unrolled: 1-line block ×4, first 2 shown]
	v_dual_mov_b32 v75, v17 :: v_dual_mov_b32 v74, v16
	v_mul_f64_e32 v[16:17], s[40:41], v[18:19]
	v_mul_f64_e32 v[18:19], s[38:39], v[18:19]
	v_dual_mov_b32 v22, v165 :: v_dual_mov_b32 v23, v166
	v_dual_mov_b32 v73, v21 :: v_dual_mov_b32 v72, v20
	s_clause 0x1
	scratch_load_b64 v[32:33], off, off offset:352
	scratch_load_b64 v[34:35], off, off offset:344
	v_mul_f64_e32 v[20:21], s[40:41], v[22:23]
	v_mul_f64_e32 v[22:23], s[38:39], v[22:23]
	;; [unrolled: 1-line block ×5, first 2 shown]
	v_dual_mov_b32 v26, v161 :: v_dual_mov_b32 v27, v162
	v_dual_mov_b32 v42, v155 :: v_dual_mov_b32 v43, v156
	;; [unrolled: 1-line block ×3, first 2 shown]
	s_delay_alu instid0(VALU_DEP_3)
	v_mul_f64_e32 v[24:25], s[40:41], v[26:27]
	v_dual_mov_b32 v38, v157 :: v_dual_mov_b32 v39, v158
	v_dual_mov_b32 v63, v41 :: v_dual_mov_b32 v62, v40
	v_mul_f64_e32 v[40:41], s[40:41], v[42:43]
	v_fma_f64 v[78:79], s[38:39], v[185:186], -v[0:1]
	v_dual_mov_b32 v0, v177 :: v_dual_mov_b32 v1, v178
	v_dual_mov_b32 v54, v149 :: v_dual_mov_b32 v55, v150
	;; [unrolled: 1-line block ×4, first 2 shown]
	s_delay_alu instid0(VALU_DEP_4) | instskip(SKIP_4) | instid1(VALU_DEP_4)
	v_fma_f64 v[88:89], s[40:41], v[0:1], v[10:11]
	v_dual_mov_b32 v10, v173 :: v_dual_mov_b32 v11, v174
	v_mul_f64_e32 v[44:45], s[40:41], v[153:154]
	v_dual_mov_b32 v50, v151 :: v_dual_mov_b32 v51, v152
	v_dual_mov_b32 v60, v147 :: v_dual_mov_b32 v61, v148
	v_fma_f64 v[90:91], s[38:39], v[10:11], -v[12:13]
	v_fma_f64 v[92:93], s[40:41], v[10:11], v[14:15]
	v_dual_mov_b32 v10, v169 :: v_dual_mov_b32 v11, v170
	scratch_load_b64 v[12:13], off, off     ; 8-byte Folded Reload
	v_mul_f64_e32 v[26:27], s[38:39], v[26:27]
	v_mul_f64_e32 v[36:37], s[40:41], v[38:39]
	;; [unrolled: 1-line block ×3, first 2 shown]
	v_fma_f64 v[94:95], s[38:39], v[10:11], -v[16:17]
	v_fma_f64 v[96:97], s[40:41], v[10:11], v[18:19]
	v_dual_mov_b32 v10, v163 :: v_dual_mov_b32 v11, v164
	scratch_load_b64 v[18:19], off, off offset:8 ; 8-byte Folded Reload
	v_mul_f64_e32 v[46:47], s[38:39], v[153:154]
	v_mul_f64_e32 v[52:53], s[40:41], v[54:55]
	;; [unrolled: 1-line block ×3, first 2 shown]
	v_fma_f64 v[100:101], s[40:41], v[10:11], v[22:23]
	scratch_load_b64 v[22:23], off, off offset:16 ; 8-byte Folded Reload
	v_fma_f64 v[80:81], s[40:41], v[185:186], v[2:3]
	v_fma_f64 v[82:83], s[38:39], v[206:207], -v[4:5]
	v_fma_f64 v[86:87], s[38:39], v[0:1], -v[8:9]
	v_mul_f64_e32 v[2:3], s[40:41], v[253:254]
	v_mul_f64_e32 v[4:5], s[38:39], v[253:254]
	;; [unrolled: 1-line block ×9, first 2 shown]
	v_fma_f64 v[84:85], s[40:41], v[206:207], v[6:7]
	v_mul_f64_e32 v[0:1], s[38:39], v[60:61]
	v_mul_f64_e32 v[6:7], s[40:41], v[141:142]
	v_dual_mov_b32 v16, v74 :: v_dual_mov_b32 v17, v75
	v_fma_f64 v[98:99], s[38:39], v[10:11], -v[20:21]
	v_dual_mov_b32 v20, v72 :: v_dual_mov_b32 v21, v73
	s_delay_alu instid0(VALU_DEP_3) | instskip(SKIP_2) | instid1(VALU_DEP_2)
	v_fma_f64 v[102:103], s[38:39], v[16:17], -v[24:25]
	v_dual_mov_b32 v24, v70 :: v_dual_mov_b32 v25, v71
	v_fma_f64 v[104:105], s[40:41], v[16:17], v[26:27]
	v_fma_f64 v[110:111], s[38:39], v[24:25], -v[36:37]
	v_fma_f64 v[112:113], s[40:41], v[24:25], v[38:39]
	v_fma_f64 v[134:135], s[38:39], v[183:184], -v[2:3]
	v_fma_f64 v[136:137], s[40:41], v[183:184], v[4:5]
	v_fma_f64 v[72:73], s[40:41], v[211:212], v[8:9]
	v_fma_f64 v[106:107], s[38:39], v[20:21], -v[28:29]
	v_fma_f64 v[108:109], s[40:41], v[20:21], v[30:31]
	s_wait_loadcnt 0x4
	v_lshlrev_b64_e32 v[32:33], 4, v[32:33]
	s_wait_loadcnt 0x3
	v_lshlrev_b64_e32 v[34:35], 4, v[34:35]
	s_delay_alu instid0(VALU_DEP_2) | instskip(SKIP_1) | instid1(VALU_DEP_3)
	v_add_co_u32 v32, vcc_lo, v76, v32
	s_wait_alu 0xfffd
	v_add_co_ci_u32_e64 v33, null, v77, v33, vcc_lo
	s_delay_alu instid0(VALU_DEP_2) | instskip(SKIP_1) | instid1(VALU_DEP_2)
	v_add_co_u32 v10, vcc_lo, v32, v34
	s_wait_alu 0xfffd
	v_add_co_ci_u32_e64 v11, null, v33, v35, vcc_lo
	v_add_co_u32 v14, vcc_lo, v32, s20
	s_wait_alu 0xfffd
	v_add_co_ci_u32_e64 v15, null, s21, v33, vcc_lo
	s_wait_loadcnt 0x2
	v_fma_f64 v[122:123], s[38:39], v[12:13], -v[48:49]
	v_fma_f64 v[124:125], s[40:41], v[12:13], v[50:51]
	v_add_co_u32 v12, vcc_lo, v14, v34
	s_wait_alu 0xfffd
	v_add_co_ci_u32_e64 v13, null, v15, v35, vcc_lo
	v_add_co_u32 v4, vcc_lo, v14, s20
	s_wait_loadcnt 0x1
	v_fma_f64 v[118:119], s[38:39], v[18:19], -v[44:45]
	v_dual_mov_b32 v44, v58 :: v_dual_mov_b32 v45, v59
	v_fma_f64 v[120:121], s[40:41], v[18:19], v[46:47]
	s_wait_alu 0xfffd
	v_add_co_ci_u32_e64 v5, null, s21, v15, vcc_lo
	s_wait_loadcnt 0x0
	v_fma_f64 v[114:115], s[38:39], v[22:23], -v[40:41]
	v_dual_mov_b32 v40, v62 :: v_dual_mov_b32 v41, v63
	v_fma_f64 v[116:117], s[40:41], v[22:23], v[42:43]
	v_fma_f64 v[130:131], s[38:39], v[44:45], -v[56:57]
	v_fma_f64 v[132:133], s[40:41], v[44:45], v[0:1]
	v_fma_f64 v[0:1], s[38:39], v[211:212], -v[6:7]
	v_fma_f64 v[126:127], s[38:39], v[40:41], -v[52:53]
	v_fma_f64 v[128:129], s[40:41], v[40:41], v[54:55]
	v_add_co_u32 v2, vcc_lo, v4, v34
	s_wait_alu 0xfffd
	v_add_co_ci_u32_e64 v3, null, v5, v35, vcc_lo
	v_add_co_u32 v4, vcc_lo, v4, s20
	s_wait_alu 0xfffd
	v_add_co_ci_u32_e64 v5, null, s21, v5, vcc_lo
	s_clause 0x5
	flat_store_b128 v[10:11], v[78:81]
	flat_store_b128 v[10:11], v[82:85] offset:256
	flat_store_b128 v[10:11], v[86:89] offset:512
	;; [unrolled: 1-line block ×3, first 2 shown]
	flat_store_b128 v[12:13], v[94:97]
	flat_store_b128 v[12:13], v[98:101] offset:256
	v_add_co_u32 v4, vcc_lo, v4, v34
	s_wait_alu 0xfffd
	v_add_co_ci_u32_e64 v5, null, v5, v35, vcc_lo
	s_clause 0x1
	flat_store_b128 v[12:13], v[102:105] offset:512
	flat_store_b128 v[12:13], v[106:109] offset:768
	v_add_co_u32 v74, vcc_lo, 0x300, v4
	s_wait_alu 0xfffd
	v_add_co_ci_u32_e64 v75, null, 0, v5, vcc_lo
	s_clause 0x7
	flat_store_b128 v[2:3], v[110:113]
	flat_store_b128 v[2:3], v[114:117] offset:256
	flat_store_b128 v[2:3], v[118:121] offset:512
	;; [unrolled: 1-line block ×3, first 2 shown]
	flat_store_b128 v[4:5], v[126:129]
	flat_store_b128 v[4:5], v[130:133] offset:256
	flat_store_b128 v[4:5], v[134:137] offset:512
	flat_store_b64 v[4:5], v[0:1] offset:768
	s_cbranch_execnz .LBB267_2
.LBB267_11:                             ;   in Loop: Header=BB267_3 Depth=1
	s_clause 0x2
	scratch_load_b64 v[0:1], off, off offset:344
	scratch_load_b64 v[4:5], off, off offset:376
	scratch_load_b64 v[22:23], off, off offset:16 th:TH_LOAD_LU
	v_add_co_u32 v2, vcc_lo, v167, s14
	s_wait_alu 0xfffd
	v_add_co_ci_u32_e64 v3, null, s15, v168, vcc_lo
	v_mul_f64_e32 v[6:7], s[38:39], v[187:188]
	v_dual_mov_b32 v19, v17 :: v_dual_mov_b32 v18, v16
	s_delay_alu instid0(VALU_DEP_2)
	v_fma_f64 v[6:7], s[40:41], v[185:186], v[6:7]
	s_wait_loadcnt 0x2
	v_lshlrev_b64_e32 v[0:1], 4, v[0:1]
	s_wait_loadcnt 0x1
	v_add_co_u32 v14, vcc_lo, v2, v4
	s_wait_alu 0xfffd
	v_add_co_ci_u32_e64 v15, null, v3, v5, vcc_lo
	v_mul_f64_e32 v[4:5], s[40:41], v[187:188]
	s_delay_alu instid0(VALU_DEP_3) | instskip(SKIP_1) | instid1(VALU_DEP_3)
	v_add_co_u32 v2, vcc_lo, v14, v0
	s_wait_alu 0xfffd
	v_add_co_ci_u32_e64 v3, null, v15, v1, vcc_lo
	flat_load_b128 v[72:75], v[2:3]
	v_fma_f64 v[4:5], s[38:39], v[185:186], -v[4:5]
	s_wait_loadcnt_dscnt 0x0
	v_mul_f64_e32 v[8:9], s[8:9], v[74:75]
	v_mul_f64_e32 v[10:11], s[6:7], v[74:75]
	s_delay_alu instid0(VALU_DEP_2) | instskip(NEXT) | instid1(VALU_DEP_2)
	v_fma_f64 v[8:9], s[6:7], v[72:73], -v[8:9]
	v_fma_f64 v[10:11], s[8:9], v[72:73], v[10:11]
	s_delay_alu instid0(VALU_DEP_2) | instskip(SKIP_4) | instid1(VALU_DEP_2)
	v_add_f64_e32 v[68:69], v[4:5], v[8:9]
	scratch_load_b64 v[4:5], off, off offset:352 ; 8-byte Folded Reload
	v_add_f64_e32 v[70:71], v[6:7], v[10:11]
	v_mul_f64_e32 v[6:7], s[40:41], v[251:252]
	v_mul_f64_e32 v[8:9], s[38:39], v[251:252]
	v_fma_f64 v[6:7], s[38:39], v[206:207], -v[6:7]
	s_delay_alu instid0(VALU_DEP_2) | instskip(SKIP_2) | instid1(VALU_DEP_1)
	v_fma_f64 v[8:9], s[40:41], v[206:207], v[8:9]
	s_wait_loadcnt 0x0
	v_lshlrev_b64_e32 v[4:5], 4, v[4:5]
	v_add_co_u32 v16, vcc_lo, v76, v4
	s_wait_alu 0xfffd
	s_delay_alu instid0(VALU_DEP_2) | instskip(NEXT) | instid1(VALU_DEP_2)
	v_add_co_ci_u32_e64 v17, null, v77, v5, vcc_lo
	v_add_co_u32 v4, vcc_lo, v16, v0
	s_wait_alu 0xfffd
	s_delay_alu instid0(VALU_DEP_2)
	v_add_co_ci_u32_e64 v5, null, v17, v1, vcc_lo
	v_add_co_u32 v14, vcc_lo, v14, s18
	s_wait_alu 0xfffd
	v_add_co_ci_u32_e64 v15, null, s19, v15, vcc_lo
	flat_store_b128 v[4:5], v[68:71]
	flat_load_b128 v[68:71], v[2:3] offset:256
	s_wait_loadcnt_dscnt 0x0
	v_mul_f64_e32 v[10:11], s[8:9], v[70:71]
	v_mul_f64_e32 v[12:13], s[6:7], v[70:71]
	s_delay_alu instid0(VALU_DEP_2) | instskip(NEXT) | instid1(VALU_DEP_2)
	v_fma_f64 v[10:11], s[6:7], v[68:69], -v[10:11]
	v_fma_f64 v[12:13], s[8:9], v[68:69], v[12:13]
	s_delay_alu instid0(VALU_DEP_2) | instskip(NEXT) | instid1(VALU_DEP_2)
	v_add_f64_e32 v[64:65], v[6:7], v[10:11]
	v_add_f64_e32 v[66:67], v[8:9], v[12:13]
	v_mul_f64_e32 v[6:7], s[40:41], v[179:180]
	v_mul_f64_e32 v[8:9], s[38:39], v[179:180]
	flat_store_b128 v[4:5], v[64:67] offset:256
	flat_load_b128 v[64:67], v[2:3] offset:512
	v_fma_f64 v[6:7], s[38:39], v[177:178], -v[6:7]
	v_fma_f64 v[8:9], s[40:41], v[177:178], v[8:9]
	s_wait_loadcnt_dscnt 0x0
	v_mul_f64_e32 v[10:11], s[8:9], v[66:67]
	v_mul_f64_e32 v[12:13], s[6:7], v[66:67]
	s_delay_alu instid0(VALU_DEP_2) | instskip(NEXT) | instid1(VALU_DEP_2)
	v_fma_f64 v[10:11], s[6:7], v[64:65], -v[10:11]
	v_fma_f64 v[12:13], s[8:9], v[64:65], v[12:13]
	s_delay_alu instid0(VALU_DEP_2) | instskip(NEXT) | instid1(VALU_DEP_2)
	v_add_f64_e32 v[60:61], v[6:7], v[10:11]
	v_add_f64_e32 v[62:63], v[8:9], v[12:13]
	v_mul_f64_e32 v[6:7], s[38:39], v[175:176]
	flat_store_b128 v[4:5], v[60:63] offset:512
	flat_load_b128 v[60:63], v[2:3] offset:768
	v_mul_f64_e32 v[2:3], s[40:41], v[175:176]
	v_fma_f64 v[6:7], s[40:41], v[173:174], v[6:7]
	s_delay_alu instid0(VALU_DEP_2) | instskip(SKIP_3) | instid1(VALU_DEP_2)
	v_fma_f64 v[2:3], s[38:39], v[173:174], -v[2:3]
	s_wait_loadcnt_dscnt 0x0
	v_mul_f64_e32 v[8:9], s[8:9], v[62:63]
	v_mul_f64_e32 v[10:11], s[6:7], v[62:63]
	v_fma_f64 v[8:9], s[6:7], v[60:61], -v[8:9]
	s_delay_alu instid0(VALU_DEP_2) | instskip(NEXT) | instid1(VALU_DEP_2)
	v_fma_f64 v[10:11], s[8:9], v[60:61], v[10:11]
	v_add_f64_e32 v[56:57], v[2:3], v[8:9]
	s_delay_alu instid0(VALU_DEP_2)
	v_add_f64_e32 v[58:59], v[6:7], v[10:11]
	v_add_co_u32 v2, vcc_lo, v14, v0
	s_wait_alu 0xfffd
	v_add_co_ci_u32_e64 v3, null, v15, v1, vcc_lo
	v_mul_f64_e32 v[6:7], s[38:39], v[171:172]
	v_add_co_u32 v16, vcc_lo, v16, s20
	s_wait_alu 0xfffd
	v_add_co_ci_u32_e64 v17, null, s21, v17, vcc_lo
	flat_store_b128 v[4:5], v[56:59] offset:768
	flat_load_b128 v[56:59], v[2:3]
	v_mul_f64_e32 v[4:5], s[40:41], v[171:172]
	v_fma_f64 v[6:7], s[40:41], v[169:170], v[6:7]
	s_delay_alu instid0(VALU_DEP_2) | instskip(SKIP_3) | instid1(VALU_DEP_2)
	v_fma_f64 v[4:5], s[38:39], v[169:170], -v[4:5]
	s_wait_loadcnt_dscnt 0x0
	v_mul_f64_e32 v[8:9], s[8:9], v[58:59]
	v_mul_f64_e32 v[10:11], s[6:7], v[58:59]
	v_fma_f64 v[8:9], s[6:7], v[56:57], -v[8:9]
	s_delay_alu instid0(VALU_DEP_2) | instskip(NEXT) | instid1(VALU_DEP_2)
	v_fma_f64 v[10:11], s[8:9], v[56:57], v[10:11]
	v_add_f64_e32 v[50:51], v[4:5], v[8:9]
	s_delay_alu instid0(VALU_DEP_2)
	v_add_f64_e32 v[52:53], v[6:7], v[10:11]
	v_add_co_u32 v4, vcc_lo, v16, v0
	s_wait_alu 0xfffd
	v_add_co_ci_u32_e64 v5, null, v17, v1, vcc_lo
	v_mul_f64_e32 v[6:7], s[40:41], v[165:166]
	v_mul_f64_e32 v[8:9], s[38:39], v[165:166]
	v_add_co_u32 v14, vcc_lo, v14, s18
	s_wait_alu 0xfffd
	v_add_co_ci_u32_e64 v15, null, s19, v15, vcc_lo
	flat_store_b128 v[4:5], v[50:53]
	flat_load_b128 v[50:53], v[2:3] offset:256
	v_fma_f64 v[6:7], s[38:39], v[163:164], -v[6:7]
	v_fma_f64 v[8:9], s[40:41], v[163:164], v[8:9]
	s_wait_loadcnt_dscnt 0x0
	v_mul_f64_e32 v[10:11], s[8:9], v[52:53]
	v_mul_f64_e32 v[12:13], s[6:7], v[52:53]
	s_delay_alu instid0(VALU_DEP_2) | instskip(NEXT) | instid1(VALU_DEP_2)
	v_fma_f64 v[10:11], s[6:7], v[50:51], -v[10:11]
	v_fma_f64 v[12:13], s[8:9], v[50:51], v[12:13]
	s_delay_alu instid0(VALU_DEP_2) | instskip(NEXT) | instid1(VALU_DEP_2)
	v_add_f64_e32 v[46:47], v[6:7], v[10:11]
	v_add_f64_e32 v[48:49], v[8:9], v[12:13]
	v_mul_f64_e32 v[6:7], s[40:41], v[161:162]
	v_mul_f64_e32 v[8:9], s[38:39], v[161:162]
	flat_store_b128 v[4:5], v[46:49] offset:256
	flat_load_b128 v[46:49], v[2:3] offset:512
	v_fma_f64 v[6:7], s[38:39], v[18:19], -v[6:7]
	v_fma_f64 v[8:9], s[40:41], v[18:19], v[8:9]
	v_dual_mov_b32 v18, v40 :: v_dual_mov_b32 v19, v41
	s_wait_loadcnt_dscnt 0x0
	v_mul_f64_e32 v[10:11], s[8:9], v[48:49]
	v_mul_f64_e32 v[12:13], s[6:7], v[48:49]
	s_delay_alu instid0(VALU_DEP_2) | instskip(NEXT) | instid1(VALU_DEP_2)
	v_fma_f64 v[10:11], s[6:7], v[46:47], -v[10:11]
	v_fma_f64 v[12:13], s[8:9], v[46:47], v[12:13]
	v_dual_mov_b32 v47, v45 :: v_dual_mov_b32 v46, v44
	s_delay_alu instid0(VALU_DEP_3) | instskip(NEXT) | instid1(VALU_DEP_3)
	v_add_f64_e32 v[42:43], v[6:7], v[10:11]
	v_add_f64_e32 v[44:45], v[8:9], v[12:13]
	v_mul_f64_e32 v[6:7], s[38:39], v[159:160]
	flat_store_b128 v[4:5], v[42:45] offset:512
	flat_load_b128 v[42:45], v[2:3] offset:768
	v_mul_f64_e32 v[2:3], s[40:41], v[159:160]
	v_fma_f64 v[6:7], s[40:41], v[20:21], v[6:7]
	s_delay_alu instid0(VALU_DEP_2) | instskip(SKIP_4) | instid1(VALU_DEP_2)
	v_fma_f64 v[2:3], s[38:39], v[20:21], -v[2:3]
	scratch_load_b64 v[20:21], off, off th:TH_LOAD_LU ; 8-byte Folded Reload
	s_wait_loadcnt_dscnt 0x100
	v_mul_f64_e32 v[8:9], s[8:9], v[44:45]
	v_mul_f64_e32 v[10:11], s[6:7], v[44:45]
	v_fma_f64 v[8:9], s[6:7], v[42:43], -v[8:9]
	s_delay_alu instid0(VALU_DEP_2) | instskip(NEXT) | instid1(VALU_DEP_2)
	v_fma_f64 v[10:11], s[8:9], v[42:43], v[10:11]
	v_add_f64_e32 v[38:39], v[2:3], v[8:9]
	s_delay_alu instid0(VALU_DEP_2)
	v_add_f64_e32 v[40:41], v[6:7], v[10:11]
	v_add_co_u32 v2, vcc_lo, v14, v0
	s_wait_alu 0xfffd
	v_add_co_ci_u32_e64 v3, null, v15, v1, vcc_lo
	v_mul_f64_e32 v[6:7], s[38:39], v[157:158]
	v_add_co_u32 v16, vcc_lo, v16, s20
	s_wait_alu 0xfffd
	v_add_co_ci_u32_e64 v17, null, s21, v17, vcc_lo
	flat_store_b128 v[4:5], v[38:41] offset:768
	flat_load_b128 v[38:41], v[2:3]
	v_mul_f64_e32 v[4:5], s[40:41], v[157:158]
	v_fma_f64 v[6:7], s[40:41], v[24:25], v[6:7]
	s_delay_alu instid0(VALU_DEP_2) | instskip(SKIP_3) | instid1(VALU_DEP_2)
	v_fma_f64 v[4:5], s[38:39], v[24:25], -v[4:5]
	s_wait_loadcnt_dscnt 0x0
	v_mul_f64_e32 v[8:9], s[8:9], v[40:41]
	v_mul_f64_e32 v[10:11], s[6:7], v[40:41]
	v_fma_f64 v[8:9], s[6:7], v[38:39], -v[8:9]
	s_delay_alu instid0(VALU_DEP_2) | instskip(NEXT) | instid1(VALU_DEP_2)
	v_fma_f64 v[10:11], s[8:9], v[38:39], v[10:11]
	v_add_f64_e32 v[34:35], v[4:5], v[8:9]
	s_delay_alu instid0(VALU_DEP_2)
	v_add_f64_e32 v[36:37], v[6:7], v[10:11]
	v_add_co_u32 v4, vcc_lo, v16, v0
	s_wait_alu 0xfffd
	v_add_co_ci_u32_e64 v5, null, v17, v1, vcc_lo
	v_mul_f64_e32 v[6:7], s[40:41], v[155:156]
	v_mul_f64_e32 v[8:9], s[38:39], v[155:156]
	flat_store_b128 v[4:5], v[34:37]
	flat_load_b128 v[34:37], v[2:3] offset:256
	v_fma_f64 v[6:7], s[38:39], v[22:23], -v[6:7]
	v_fma_f64 v[8:9], s[40:41], v[22:23], v[8:9]
	scratch_load_b64 v[22:23], off, off offset:8 th:TH_LOAD_LU ; 8-byte Folded Reload
	s_wait_loadcnt_dscnt 0x100
	v_mul_f64_e32 v[10:11], s[8:9], v[36:37]
	v_mul_f64_e32 v[12:13], s[6:7], v[36:37]
	s_delay_alu instid0(VALU_DEP_2) | instskip(NEXT) | instid1(VALU_DEP_2)
	v_fma_f64 v[10:11], s[6:7], v[34:35], -v[10:11]
	v_fma_f64 v[12:13], s[8:9], v[34:35], v[12:13]
	s_delay_alu instid0(VALU_DEP_2) | instskip(NEXT) | instid1(VALU_DEP_2)
	v_add_f64_e32 v[30:31], v[6:7], v[10:11]
	v_add_f64_e32 v[32:33], v[8:9], v[12:13]
	v_mul_f64_e32 v[6:7], s[40:41], v[153:154]
	v_mul_f64_e32 v[8:9], s[38:39], v[153:154]
	flat_store_b128 v[4:5], v[30:33] offset:256
	flat_load_b128 v[30:33], v[2:3] offset:512
	s_wait_loadcnt 0x1
	v_fma_f64 v[6:7], s[38:39], v[22:23], -v[6:7]
	v_fma_f64 v[8:9], s[40:41], v[22:23], v[8:9]
	s_wait_loadcnt_dscnt 0x0
	v_mul_f64_e32 v[10:11], s[8:9], v[32:33]
	v_mul_f64_e32 v[12:13], s[6:7], v[32:33]
	s_delay_alu instid0(VALU_DEP_2) | instskip(NEXT) | instid1(VALU_DEP_2)
	v_fma_f64 v[10:11], s[6:7], v[30:31], -v[10:11]
	v_fma_f64 v[12:13], s[8:9], v[30:31], v[12:13]
	s_delay_alu instid0(VALU_DEP_2) | instskip(NEXT) | instid1(VALU_DEP_2)
	v_add_f64_e32 v[26:27], v[6:7], v[10:11]
	v_add_f64_e32 v[28:29], v[8:9], v[12:13]
	v_mul_f64_e32 v[6:7], s[38:39], v[151:152]
	flat_store_b128 v[4:5], v[26:29] offset:512
	flat_load_b128 v[26:29], v[2:3] offset:768
	v_mul_f64_e32 v[2:3], s[40:41], v[151:152]
	v_fma_f64 v[6:7], s[40:41], v[20:21], v[6:7]
	s_delay_alu instid0(VALU_DEP_2) | instskip(SKIP_3) | instid1(VALU_DEP_2)
	v_fma_f64 v[2:3], s[38:39], v[20:21], -v[2:3]
	s_wait_loadcnt_dscnt 0x0
	v_mul_f64_e32 v[8:9], s[8:9], v[28:29]
	v_mul_f64_e32 v[10:11], s[6:7], v[28:29]
	v_fma_f64 v[8:9], s[6:7], v[26:27], -v[8:9]
	s_delay_alu instid0(VALU_DEP_2) | instskip(NEXT) | instid1(VALU_DEP_2)
	v_fma_f64 v[10:11], s[8:9], v[26:27], v[10:11]
	v_add_f64_e32 v[22:23], v[2:3], v[8:9]
	s_delay_alu instid0(VALU_DEP_2) | instskip(SKIP_4) | instid1(VALU_DEP_3)
	v_add_f64_e32 v[24:25], v[6:7], v[10:11]
	v_add_co_u32 v2, vcc_lo, v14, s18
	s_wait_alu 0xfffd
	v_add_co_ci_u32_e64 v3, null, s19, v15, vcc_lo
	v_mul_f64_e32 v[6:7], s[38:39], v[149:150]
	v_add_co_u32 v2, vcc_lo, v2, v0
	s_wait_alu 0xfffd
	s_delay_alu instid0(VALU_DEP_3) | instskip(SKIP_4) | instid1(VALU_DEP_2)
	v_add_co_ci_u32_e64 v3, null, v3, v1, vcc_lo
	flat_store_b128 v[4:5], v[22:25] offset:768
	flat_load_b128 v[22:25], v[2:3]
	v_mul_f64_e32 v[4:5], s[40:41], v[149:150]
	v_fma_f64 v[6:7], s[40:41], v[18:19], v[6:7]
	v_fma_f64 v[4:5], s[38:39], v[18:19], -v[4:5]
	s_wait_loadcnt_dscnt 0x0
	v_mul_f64_e32 v[8:9], s[8:9], v[24:25]
	v_mul_f64_e32 v[10:11], s[6:7], v[24:25]
	s_delay_alu instid0(VALU_DEP_2) | instskip(NEXT) | instid1(VALU_DEP_2)
	v_fma_f64 v[8:9], s[6:7], v[22:23], -v[8:9]
	v_fma_f64 v[10:11], s[8:9], v[22:23], v[10:11]
	s_delay_alu instid0(VALU_DEP_2) | instskip(NEXT) | instid1(VALU_DEP_2)
	v_add_f64_e32 v[18:19], v[4:5], v[8:9]
	v_add_f64_e32 v[20:21], v[6:7], v[10:11]
	v_add_co_u32 v4, vcc_lo, v16, s20
	s_wait_alu 0xfffd
	v_add_co_ci_u32_e64 v5, null, s21, v17, vcc_lo
	v_mul_f64_e32 v[6:7], s[38:39], v[147:148]
	s_delay_alu instid0(VALU_DEP_3) | instskip(SKIP_1) | instid1(VALU_DEP_3)
	v_add_co_u32 v0, vcc_lo, v4, v0
	s_wait_alu 0xfffd
	v_add_co_ci_u32_e64 v1, null, v5, v1, vcc_lo
	v_mul_f64_e32 v[4:5], s[40:41], v[147:148]
	s_delay_alu instid0(VALU_DEP_3) | instskip(SKIP_1) | instid1(VALU_DEP_3)
	v_add_co_u32 v74, vcc_lo, 0x300, v0
	s_wait_alu 0xfffd
	v_add_co_ci_u32_e64 v75, null, 0, v1, vcc_lo
	flat_store_b128 v[0:1], v[18:21]
	flat_load_b128 v[18:21], v[2:3] offset:256
	v_fma_f64 v[6:7], s[40:41], v[46:47], v[6:7]
	v_fma_f64 v[4:5], s[38:39], v[46:47], -v[4:5]
	s_wait_loadcnt_dscnt 0x0
	v_mul_f64_e32 v[8:9], s[8:9], v[20:21]
	v_mul_f64_e32 v[10:11], s[6:7], v[20:21]
	s_delay_alu instid0(VALU_DEP_2) | instskip(NEXT) | instid1(VALU_DEP_2)
	v_fma_f64 v[8:9], s[6:7], v[18:19], -v[8:9]
	v_fma_f64 v[10:11], s[8:9], v[18:19], v[10:11]
	s_delay_alu instid0(VALU_DEP_2) | instskip(NEXT) | instid1(VALU_DEP_2)
	v_add_f64_e32 v[14:15], v[4:5], v[8:9]
	v_add_f64_e32 v[16:17], v[6:7], v[10:11]
	v_mul_f64_e32 v[4:5], s[40:41], v[253:254]
	v_mul_f64_e32 v[6:7], s[38:39], v[253:254]
	flat_store_b128 v[0:1], v[14:17] offset:256
	flat_load_b128 v[14:17], v[2:3] offset:512
	v_fma_f64 v[4:5], s[38:39], v[183:184], -v[4:5]
	v_fma_f64 v[6:7], s[40:41], v[183:184], v[6:7]
	s_wait_loadcnt_dscnt 0x0
	v_mul_f64_e32 v[8:9], s[8:9], v[16:17]
	v_mul_f64_e32 v[10:11], s[6:7], v[16:17]
	s_delay_alu instid0(VALU_DEP_2) | instskip(NEXT) | instid1(VALU_DEP_2)
	v_fma_f64 v[8:9], s[6:7], v[14:15], -v[8:9]
	v_fma_f64 v[12:13], s[8:9], v[14:15], v[10:11]
	s_delay_alu instid0(VALU_DEP_2) | instskip(NEXT) | instid1(VALU_DEP_2)
	v_add_f64_e32 v[10:11], v[4:5], v[8:9]
	v_add_f64_e32 v[12:13], v[6:7], v[12:13]
	v_mul_f64_e32 v[4:5], s[38:39], v[141:142]
	flat_store_b128 v[0:1], v[10:13] offset:512
	flat_load_b128 v[10:13], v[2:3] offset:768
	v_mul_f64_e32 v[2:3], s[40:41], v[141:142]
	v_fma_f64 v[4:5], s[40:41], v[211:212], v[4:5]
	s_delay_alu instid0(VALU_DEP_2) | instskip(SKIP_3) | instid1(VALU_DEP_2)
	v_fma_f64 v[2:3], s[38:39], v[211:212], -v[2:3]
	s_wait_loadcnt_dscnt 0x0
	v_mul_f64_e32 v[6:7], s[8:9], v[12:13]
	v_mul_f64_e32 v[8:9], s[6:7], v[12:13]
	v_fma_f64 v[6:7], s[6:7], v[10:11], -v[6:7]
	s_delay_alu instid0(VALU_DEP_2) | instskip(NEXT) | instid1(VALU_DEP_2)
	v_fma_f64 v[8:9], s[8:9], v[10:11], v[8:9]
	v_add_f64_e32 v[2:3], v[2:3], v[6:7]
	s_delay_alu instid0(VALU_DEP_2)
	v_add_f64_e32 v[72:73], v[4:5], v[8:9]
	flat_store_b64 v[0:1], v[2:3] offset:768
	s_branch .LBB267_2
.LBB267_12:
	s_nop 0
	s_sendmsg sendmsg(MSG_DEALLOC_VGPRS)
	s_endpgm
	.section	.rodata,"a",@progbits
	.p2align	6, 0x0
	.amdhsa_kernel _ZN12_GLOBAL__N_127rocblas_gemm_batched_kernelI19rocblas_complex_numIdELi16ELi16ELi64ELi64ELi4ELi64ELi4ELi4ELi64ELc67ELc67EKPKS2_S5_KPS2_EEvlllT_PT11_llSA_llS8_PT12_llPT13_lli
		.amdhsa_group_segment_fixed_size 8192
		.amdhsa_private_segment_fixed_size 388
		.amdhsa_kernarg_size 156
		.amdhsa_user_sgpr_count 2
		.amdhsa_user_sgpr_dispatch_ptr 0
		.amdhsa_user_sgpr_queue_ptr 0
		.amdhsa_user_sgpr_kernarg_segment_ptr 1
		.amdhsa_user_sgpr_dispatch_id 0
		.amdhsa_user_sgpr_private_segment_size 0
		.amdhsa_wavefront_size32 1
		.amdhsa_uses_dynamic_stack 0
		.amdhsa_enable_private_segment 1
		.amdhsa_system_sgpr_workgroup_id_x 1
		.amdhsa_system_sgpr_workgroup_id_y 1
		.amdhsa_system_sgpr_workgroup_id_z 1
		.amdhsa_system_sgpr_workgroup_info 0
		.amdhsa_system_vgpr_workitem_id 1
		.amdhsa_next_free_vgpr 256
		.amdhsa_next_free_sgpr 52
		.amdhsa_reserve_vcc 1
		.amdhsa_float_round_mode_32 0
		.amdhsa_float_round_mode_16_64 0
		.amdhsa_float_denorm_mode_32 3
		.amdhsa_float_denorm_mode_16_64 3
		.amdhsa_fp16_overflow 0
		.amdhsa_workgroup_processor_mode 1
		.amdhsa_memory_ordered 1
		.amdhsa_forward_progress 1
		.amdhsa_inst_pref_size 69
		.amdhsa_round_robin_scheduling 0
		.amdhsa_exception_fp_ieee_invalid_op 0
		.amdhsa_exception_fp_denorm_src 0
		.amdhsa_exception_fp_ieee_div_zero 0
		.amdhsa_exception_fp_ieee_overflow 0
		.amdhsa_exception_fp_ieee_underflow 0
		.amdhsa_exception_fp_ieee_inexact 0
		.amdhsa_exception_int_div_zero 0
	.end_amdhsa_kernel
	.section	.text._ZN12_GLOBAL__N_127rocblas_gemm_batched_kernelI19rocblas_complex_numIdELi16ELi16ELi64ELi64ELi4ELi64ELi4ELi4ELi64ELc67ELc67EKPKS2_S5_KPS2_EEvlllT_PT11_llSA_llS8_PT12_llPT13_lli,"axG",@progbits,_ZN12_GLOBAL__N_127rocblas_gemm_batched_kernelI19rocblas_complex_numIdELi16ELi16ELi64ELi64ELi4ELi64ELi4ELi4ELi64ELc67ELc67EKPKS2_S5_KPS2_EEvlllT_PT11_llSA_llS8_PT12_llPT13_lli,comdat
.Lfunc_end267:
	.size	_ZN12_GLOBAL__N_127rocblas_gemm_batched_kernelI19rocblas_complex_numIdELi16ELi16ELi64ELi64ELi4ELi64ELi4ELi4ELi64ELc67ELc67EKPKS2_S5_KPS2_EEvlllT_PT11_llSA_llS8_PT12_llPT13_lli, .Lfunc_end267-_ZN12_GLOBAL__N_127rocblas_gemm_batched_kernelI19rocblas_complex_numIdELi16ELi16ELi64ELi64ELi4ELi64ELi4ELi4ELi64ELc67ELc67EKPKS2_S5_KPS2_EEvlllT_PT11_llSA_llS8_PT12_llPT13_lli
                                        ; -- End function
	.set _ZN12_GLOBAL__N_127rocblas_gemm_batched_kernelI19rocblas_complex_numIdELi16ELi16ELi64ELi64ELi4ELi64ELi4ELi4ELi64ELc67ELc67EKPKS2_S5_KPS2_EEvlllT_PT11_llSA_llS8_PT12_llPT13_lli.num_vgpr, 256
	.set _ZN12_GLOBAL__N_127rocblas_gemm_batched_kernelI19rocblas_complex_numIdELi16ELi16ELi64ELi64ELi4ELi64ELi4ELi4ELi64ELc67ELc67EKPKS2_S5_KPS2_EEvlllT_PT11_llSA_llS8_PT12_llPT13_lli.num_agpr, 0
	.set _ZN12_GLOBAL__N_127rocblas_gemm_batched_kernelI19rocblas_complex_numIdELi16ELi16ELi64ELi64ELi4ELi64ELi4ELi4ELi64ELc67ELc67EKPKS2_S5_KPS2_EEvlllT_PT11_llSA_llS8_PT12_llPT13_lli.numbered_sgpr, 52
	.set _ZN12_GLOBAL__N_127rocblas_gemm_batched_kernelI19rocblas_complex_numIdELi16ELi16ELi64ELi64ELi4ELi64ELi4ELi4ELi64ELc67ELc67EKPKS2_S5_KPS2_EEvlllT_PT11_llSA_llS8_PT12_llPT13_lli.num_named_barrier, 0
	.set _ZN12_GLOBAL__N_127rocblas_gemm_batched_kernelI19rocblas_complex_numIdELi16ELi16ELi64ELi64ELi4ELi64ELi4ELi4ELi64ELc67ELc67EKPKS2_S5_KPS2_EEvlllT_PT11_llSA_llS8_PT12_llPT13_lli.private_seg_size, 388
	.set _ZN12_GLOBAL__N_127rocblas_gemm_batched_kernelI19rocblas_complex_numIdELi16ELi16ELi64ELi64ELi4ELi64ELi4ELi4ELi64ELc67ELc67EKPKS2_S5_KPS2_EEvlllT_PT11_llSA_llS8_PT12_llPT13_lli.uses_vcc, 1
	.set _ZN12_GLOBAL__N_127rocblas_gemm_batched_kernelI19rocblas_complex_numIdELi16ELi16ELi64ELi64ELi4ELi64ELi4ELi4ELi64ELc67ELc67EKPKS2_S5_KPS2_EEvlllT_PT11_llSA_llS8_PT12_llPT13_lli.uses_flat_scratch, 1
	.set _ZN12_GLOBAL__N_127rocblas_gemm_batched_kernelI19rocblas_complex_numIdELi16ELi16ELi64ELi64ELi4ELi64ELi4ELi4ELi64ELc67ELc67EKPKS2_S5_KPS2_EEvlllT_PT11_llSA_llS8_PT12_llPT13_lli.has_dyn_sized_stack, 0
	.set _ZN12_GLOBAL__N_127rocblas_gemm_batched_kernelI19rocblas_complex_numIdELi16ELi16ELi64ELi64ELi4ELi64ELi4ELi4ELi64ELc67ELc67EKPKS2_S5_KPS2_EEvlllT_PT11_llSA_llS8_PT12_llPT13_lli.has_recursion, 0
	.set _ZN12_GLOBAL__N_127rocblas_gemm_batched_kernelI19rocblas_complex_numIdELi16ELi16ELi64ELi64ELi4ELi64ELi4ELi4ELi64ELc67ELc67EKPKS2_S5_KPS2_EEvlllT_PT11_llSA_llS8_PT12_llPT13_lli.has_indirect_call, 0
	.section	.AMDGPU.csdata,"",@progbits
; Kernel info:
; codeLenInByte = 8820
; TotalNumSgprs: 54
; NumVgprs: 256
; ScratchSize: 388
; MemoryBound: 0
; FloatMode: 240
; IeeeMode: 1
; LDSByteSize: 8192 bytes/workgroup (compile time only)
; SGPRBlocks: 0
; VGPRBlocks: 31
; NumSGPRsForWavesPerEU: 54
; NumVGPRsForWavesPerEU: 256
; Occupancy: 5
; WaveLimiterHint : 1
; COMPUTE_PGM_RSRC2:SCRATCH_EN: 1
; COMPUTE_PGM_RSRC2:USER_SGPR: 2
; COMPUTE_PGM_RSRC2:TRAP_HANDLER: 0
; COMPUTE_PGM_RSRC2:TGID_X_EN: 1
; COMPUTE_PGM_RSRC2:TGID_Y_EN: 1
; COMPUTE_PGM_RSRC2:TGID_Z_EN: 1
; COMPUTE_PGM_RSRC2:TIDIG_COMP_CNT: 1
	.section	.text._ZN12_GLOBAL__N_127rocblas_gemm_batched_kernelI19rocblas_complex_numIdELi16ELi16ELi64ELi64ELi4ELi64ELi4ELi4ELi64ELc67ELc78EKPKS2_S5_KPS2_EEvlllT_PT11_llSA_llS8_PT12_llPT13_lli,"axG",@progbits,_ZN12_GLOBAL__N_127rocblas_gemm_batched_kernelI19rocblas_complex_numIdELi16ELi16ELi64ELi64ELi4ELi64ELi4ELi4ELi64ELc67ELc78EKPKS2_S5_KPS2_EEvlllT_PT11_llSA_llS8_PT12_llPT13_lli,comdat
	.globl	_ZN12_GLOBAL__N_127rocblas_gemm_batched_kernelI19rocblas_complex_numIdELi16ELi16ELi64ELi64ELi4ELi64ELi4ELi4ELi64ELc67ELc78EKPKS2_S5_KPS2_EEvlllT_PT11_llSA_llS8_PT12_llPT13_lli ; -- Begin function _ZN12_GLOBAL__N_127rocblas_gemm_batched_kernelI19rocblas_complex_numIdELi16ELi16ELi64ELi64ELi4ELi64ELi4ELi4ELi64ELc67ELc78EKPKS2_S5_KPS2_EEvlllT_PT11_llSA_llS8_PT12_llPT13_lli
	.p2align	8
	.type	_ZN12_GLOBAL__N_127rocblas_gemm_batched_kernelI19rocblas_complex_numIdELi16ELi16ELi64ELi64ELi4ELi64ELi4ELi4ELi64ELc67ELc78EKPKS2_S5_KPS2_EEvlllT_PT11_llSA_llS8_PT12_llPT13_lli,@function
_ZN12_GLOBAL__N_127rocblas_gemm_batched_kernelI19rocblas_complex_numIdELi16ELi16ELi64ELi64ELi4ELi64ELi4ELi4ELi64ELc67ELc78EKPKS2_S5_KPS2_EEvlllT_PT11_llSA_llS8_PT12_llPT13_lli: ; @_ZN12_GLOBAL__N_127rocblas_gemm_batched_kernelI19rocblas_complex_numIdELi16ELi16ELi64ELi64ELi4ELi64ELi4ELi4ELi64ELc67ELc78EKPKS2_S5_KPS2_EEvlllT_PT11_llSA_llS8_PT12_llPT13_lli
; %bb.0:
	s_load_b32 s22, s[0:1], 0x98
	s_lshr_b32 s2, ttmp7, 16
	s_wait_kmcnt 0x0
	s_cmp_ge_i32 s2, s22
	s_cbranch_scc1 .LBB268_12
; %bb.1:
	s_clause 0x2
	s_load_b512 s[4:19], s[0:1], 0x50
	s_load_b512 s[36:51], s[0:1], 0x10
	s_load_b64 s[20:21], s[0:1], 0x90
	v_dual_mov_b32 v138, 0 :: v_dual_and_b32 v1, 0x3ff, v0
	v_bfe_u32 v2, v0, 10, 10
	s_lshl_b32 s3, ttmp7, 6
	s_mov_b32 s24, ttmp9
	s_and_b32 s3, s3, 0x3fffc0
	s_ashr_i32 s25, ttmp9, 31
	v_lshl_add_u32 v3, v2, 4, v1
	v_lshl_add_u32 v208, v2, 6, 0x1000
	v_add_nc_u32_e32 v2, s3, v2
	s_lshl_b64 s[0:1], s[24:25], 6
	v_lshlrev_b32_e32 v255, 4, v1
	v_and_b32_e32 v4, 63, v3
	v_lshrrev_b32_e32 v10, 2, v3
	v_lshrrev_b32_e32 v3, 6, v3
	s_delay_alu instid0(VALU_DEP_3)
	v_or_b32_e32 v6, s0, v4
	s_wait_kmcnt 0x0
	v_mad_co_u64_u32 v[15:16], null, v2, s18, 0
	v_lshlrev_b32_e32 v0, 4, v0
	v_add_nc_u32_e32 v13, s3, v10
	v_mul_lo_u32 v12, s45, v6
	v_mad_co_u64_u32 v[6:7], null, s44, v6, 0
	v_lshlrev_b32_e32 v11, 4, v4
	v_add_co_u32 v17, s0, s0, v1
	v_dual_mov_b32 v1, v16 :: v_dual_and_b32 v0, 48, v0
	v_mad_co_u64_u32 v[4:5], null, v2, s12, 0
	s_wait_alu 0xf1ff
	v_add_co_ci_u32_e64 v18, null, s1, 0, s0
	s_mul_i32 s0, s44, s1
	v_mad_co_u64_u32 v[8:9], null, s50, v13, 0
	v_lshl_or_b32 v14, v10, 6, v0
	v_lshl_or_b32 v139, v3, 10, v11
	v_mad_co_u64_u32 v[10:11], null, v2, s19, v[1:2]
	s_wait_alu 0xfffe
	v_add3_u32 v7, v7, s0, v12
	v_cmp_eq_f64_e64 s23, s[6:7], 0
	v_cmp_eq_f64_e64 s24, s[8:9], 0
	v_mad_co_u64_u32 v[11:12], null, v2, s13, v[5:6]
	s_delay_alu instid0(VALU_DEP_4)
	v_lshlrev_b64_e32 v[6:7], 4, v[6:7]
	v_mad_co_u64_u32 v[12:13], null, s51, v13, v[9:10]
	s_lshl_b64 s[0:1], s[46:47], 4
	v_lshlrev_b32_e32 v2, 4, v3
	v_mov_b32_e32 v16, v10
	s_wait_alu 0xfffe
	v_add_co_u32 v1, vcc_lo, v6, s0
	s_delay_alu instid0(VALU_DEP_1) | instskip(SKIP_1) | instid1(VALU_DEP_3)
	v_add_co_ci_u32_e64 v3, null, s1, v7, vcc_lo
	v_mov_b32_e32 v9, v12
	v_add_co_u32 v1, vcc_lo, v1, v2
	s_wait_alu 0xfffd
	s_delay_alu instid0(VALU_DEP_3) | instskip(NEXT) | instid1(VALU_DEP_3)
	v_add_co_ci_u32_e64 v2, null, 0, v3, vcc_lo
	v_lshlrev_b64_e32 v[6:7], 4, v[8:9]
	s_delay_alu instid0(VALU_DEP_3)
	v_or_b32_e32 v1, 8, v1
	s_lshl_b64 s[0:1], s[4:5], 4
	s_clause 0x3
	scratch_store_b64 off, v[17:18], off offset:352
	scratch_store_b32 off, v2, off offset:360
	scratch_store_b64 off, v[15:16], off offset:344
	scratch_store_b32 off, v1, off offset:364
	s_wait_alu 0xfffe
	v_add_co_u32 v1, vcc_lo, v6, s0
	v_mov_b32_e32 v5, v11
	s_wait_alu 0xfffd
	v_add_co_ci_u32_e64 v2, null, s1, v7, vcc_lo
	v_cmp_gt_i64_e64 s0, s[36:37], 0
	v_add_co_u32 v0, vcc_lo, v1, v0
	v_add_nc_u32_e32 v140, 0x1000, v14
	s_lshl_b64 s[18:19], s[18:19], 4
	s_mov_b32 s3, 0
	scratch_store_b32 off, v0, off offset:368 ; 4-byte Folded Spill
	s_wait_alu 0xfffd
	v_add_co_ci_u32_e64 v0, null, 0, v2, vcc_lo
	v_cndmask_b32_e64 v3, 0, 1, s0
	s_and_b32 s23, s23, s24
	s_lshl_b64 s[24:25], s[12:13], 4
	scratch_store_b32 off, v0, off offset:372 ; 4-byte Folded Spill
	v_lshlrev_b64_e32 v[0:1], 4, v[4:5]
	v_cmp_ne_u32_e64 s0, 1, v3
	s_lshl_b64 s[4:5], s[20:21], 4
	s_lshl_b64 s[12:13], s[14:15], 4
	s_lshl_b64 s[14:15], s[24:25], 4
	s_wait_alu 0xfffe
	s_lshl_b64 s[18:19], s[18:19], 4
	s_clause 0x2
	scratch_store_b64 off, v[0:1], off offset:376
	scratch_store_b32 off, v139, off offset:320
	scratch_store_b32 off, v140, off offset:324
	s_branch .LBB268_3
.LBB268_2:                              ;   in Loop: Header=BB268_3 Depth=1
	s_add_co_i32 s2, s2, 0x10000
	flat_store_b64 v[74:75], v[72:73] offset:8
	s_wait_alu 0xfffe
	s_cmp_lt_i32 s2, s22
	s_cbranch_scc0 .LBB268_12
.LBB268_3:                              ; =>This Loop Header: Depth=1
                                        ;     Child Loop BB268_5 Depth 2
	s_lshl_b64 s[20:21], s[2:3], 3
	s_and_b32 vcc_lo, exec_lo, s0
	s_wait_alu 0xfffe
	s_add_nc_u64 s[24:25], s[10:11], s[20:21]
	s_add_nc_u64 s[26:27], s[16:17], s[20:21]
	s_clause 0x1
	global_load_b64 v[167:168], v138, s[24:25]
	global_load_b64 v[36:37], v138, s[26:27]
	s_cbranch_vccnz .LBB268_7
; %bb.4:                                ;   in Loop: Header=BB268_3 Depth=1
	v_mov_b32_e32 v38, 0
	v_dual_mov_b32 v39, 0 :: v_dual_mov_b32 v0, 0
	v_mov_b32_e32 v1, 0
	s_wait_loadcnt 0x0
	s_clause 0x1
	scratch_store_b64 off, v[36:37], off offset:336
	scratch_store_b64 off, v[167:168], off offset:328
	v_mov_b32_e32 v153, 0
	v_mov_b32_e32 v154, 0
	;; [unrolled: 1-line block ×3, first 2 shown]
	scratch_store_b64 off, v[0:1], off      ; 8-byte Folded Spill
	v_mov_b32_e32 v0, 0
	v_mov_b32_e32 v1, 0
	;; [unrolled: 1-line block ×3, first 2 shown]
	s_add_nc_u64 s[24:25], s[42:43], s[20:21]
	s_add_nc_u64 s[20:21], s[48:49], s[20:21]
	s_clause 0x1
	global_load_b64 v[74:75], v138, s[24:25]
	global_load_b64 v[76:77], v138, s[20:21]
	scratch_store_b64 off, v[0:1], off offset:8 ; 8-byte Folded Spill
	v_mov_b32_e32 v0, 0
	v_mov_b32_e32 v1, 0
	;; [unrolled: 1-line block ×3, first 2 shown]
	v_dual_mov_b32 v253, 0 :: v_dual_mov_b32 v46, 0
	v_mov_b32_e32 v42, 0
	scratch_store_b64 off, v[0:1], off offset:16 ; 8-byte Folded Spill
	scratch_load_b32 v0, off, off offset:364 ; 4-byte Folded Reload
	v_mov_b32_e32 v26, 0
	v_mov_b32_e32 v22, 0
	;; [unrolled: 1-line block ×6, first 2 shown]
	v_dual_mov_b32 v142, 0 :: v_dual_mov_b32 v211, 0
	v_dual_mov_b32 v254, 0 :: v_dual_mov_b32 v183, 0
	;; [unrolled: 1-line block ×14, first 2 shown]
	v_mov_b32_e32 v41, 0
	v_mov_b32_e32 v25, 0
	;; [unrolled: 1-line block ×7, first 2 shown]
	v_dual_mov_b32 v3, 0 :: v_dual_mov_b32 v252, 0
	v_dual_mov_b32 v207, 0 :: v_dual_mov_b32 v188, 0
	v_mov_b32_e32 v186, 0
	s_mov_b64 s[20:21], 0
	s_wait_loadcnt 0x0
	v_add_co_u32 v213, vcc_lo, v74, v0
	scratch_load_b32 v0, off, off offset:360 ; 4-byte Folded Reload
	s_wait_loadcnt 0x0
	s_wait_alu 0xfffd
	v_add_co_ci_u32_e64 v214, null, v75, v0, vcc_lo
	scratch_load_b32 v0, off, off offset:368 ; 4-byte Folded Reload
	s_wait_loadcnt 0x0
	v_add_co_u32 v76, vcc_lo, v76, v0
	scratch_load_b32 v0, off, off offset:372 ; 4-byte Folded Reload
	s_wait_loadcnt 0x0
	s_wait_alu 0xfffd
	v_add_co_ci_u32_e64 v77, null, v77, v0, vcc_lo
	v_mov_b32_e32 v0, 0
	v_mov_b32_e32 v1, 0
.LBB268_5:                              ;   Parent Loop BB268_3 Depth=1
                                        ; =>  This Inner Loop Header: Depth=2
	flat_load_b128 v[78:81], v[213:214] offset:-8
	flat_load_b128 v[82:85], v[76:77]
	scratch_store_b64 off, v[141:142], off offset:24 ; 8-byte Folded Spill
	v_dual_mov_b32 v36, v153 :: v_dual_mov_b32 v37, v154
	v_dual_mov_b32 v74, v183 :: v_dual_mov_b32 v75, v184
	s_wait_alu 0xfffe
	s_add_nc_u64 s[20:21], s[20:21], 4
	v_add_co_u32 v213, s1, v213, 64
	s_wait_alu 0xf1ff
	v_add_co_ci_u32_e64 v214, null, 0, v214, s1
	s_wait_alu 0xfffe
	v_cmp_lt_i64_e64 s1, s[20:21], s[36:37]
	v_add_co_u32 v76, vcc_lo, v76, 64
	s_wait_alu 0xfffd
	v_add_co_ci_u32_e64 v77, null, 0, v77, vcc_lo
	s_and_b32 vcc_lo, exec_lo, s1
	s_wait_loadcnt_dscnt 0x101
	v_xor_b32_e32 v81, 0x80000000, v81
	s_wait_loadcnt_dscnt 0x0
	ds_store_2addr_b64 v140, v[82:83], v[84:85] offset1:1
	ds_store_b128 v139, v[78:81]
	s_wait_storecnt_dscnt 0x0
	s_barrier_signal -1
	s_barrier_wait -1
	global_inv scope:SCOPE_SE
	ds_load_b128 v[92:95], v208
	ds_load_b128 v[128:131], v255
	ds_load_b128 v[132:135], v255 offset:256
	ds_load_b128 v[156:159], v208 offset:16
	s_wait_dscnt 0x2
	v_mul_f64_e32 v[78:79], v[94:95], v[130:131]
	v_mul_f64_e32 v[80:81], v[92:93], v[130:131]
	s_wait_dscnt 0x1
	v_mul_f64_e32 v[82:83], v[94:95], v[134:135]
	v_mul_f64_e32 v[84:85], v[92:93], v[134:135]
	s_delay_alu instid0(VALU_DEP_4)
	v_fma_f64 v[28:29], v[92:93], v[128:129], -v[78:79]
	scratch_store_b64 off, v[28:29], off offset:32 ; 8-byte Folded Spill
	v_fma_f64 v[28:29], v[94:95], v[128:129], v[80:81]
	scratch_store_b64 off, v[28:29], off offset:40 ; 8-byte Folded Spill
	v_fma_f64 v[28:29], v[92:93], v[132:133], -v[82:83]
	scratch_store_b64 off, v[28:29], off offset:48 ; 8-byte Folded Spill
	v_fma_f64 v[28:29], v[94:95], v[132:133], v[84:85]
	scratch_store_b64 off, v[28:29], off offset:56 ; 8-byte Folded Spill
	ds_load_b128 v[136:139], v255 offset:512
	ds_load_b128 v[140:143], v255 offset:768
	s_wait_dscnt 0x1
	v_mul_f64_e32 v[86:87], v[94:95], v[138:139]
	v_mul_f64_e32 v[88:89], v[92:93], v[138:139]
	s_wait_dscnt 0x0
	v_mul_f64_e32 v[90:91], v[94:95], v[142:143]
	s_delay_alu instid0(VALU_DEP_3)
	v_fma_f64 v[28:29], v[92:93], v[136:137], -v[86:87]
	scratch_store_b64 off, v[28:29], off offset:64 ; 8-byte Folded Spill
	v_fma_f64 v[28:29], v[94:95], v[136:137], v[88:89]
	scratch_store_b64 off, v[28:29], off offset:72 ; 8-byte Folded Spill
	v_fma_f64 v[28:29], v[92:93], v[140:141], -v[90:91]
	v_mul_f64_e32 v[92:93], v[92:93], v[142:143]
	scratch_store_b64 off, v[28:29], off offset:80 ; 8-byte Folded Spill
	v_fma_f64 v[28:29], v[94:95], v[140:141], v[92:93]
	scratch_store_b64 off, v[28:29], off offset:88 ; 8-byte Folded Spill
	ds_load_b128 v[108:111], v208 offset:1024
	ds_load_b128 v[172:175], v208 offset:1040
	;; [unrolled: 1-line block ×3, first 2 shown]
	s_wait_dscnt 0x2
	v_mul_f64_e32 v[94:95], v[110:111], v[130:131]
	v_mul_f64_e32 v[96:97], v[108:109], v[130:131]
	;; [unrolled: 1-line block ×7, first 2 shown]
	v_fma_f64 v[28:29], v[108:109], v[128:129], -v[94:95]
	scratch_store_b64 off, v[28:29], off offset:96 ; 8-byte Folded Spill
	v_fma_f64 v[28:29], v[110:111], v[128:129], v[96:97]
	scratch_store_b64 off, v[28:29], off offset:104 ; 8-byte Folded Spill
	v_fma_f64 v[28:29], v[108:109], v[132:133], -v[98:99]
	scratch_store_b64 off, v[28:29], off offset:112 ; 8-byte Folded Spill
	v_fma_f64 v[28:29], v[110:111], v[132:133], v[100:101]
	scratch_store_b64 off, v[28:29], off offset:120 ; 8-byte Folded Spill
	v_fma_f64 v[28:29], v[108:109], v[136:137], -v[102:103]
	scratch_store_b64 off, v[28:29], off offset:128 ; 8-byte Folded Spill
	v_fma_f64 v[28:29], v[110:111], v[136:137], v[104:105]
	scratch_store_b64 off, v[28:29], off offset:136 ; 8-byte Folded Spill
	v_fma_f64 v[28:29], v[108:109], v[140:141], -v[106:107]
	v_mul_f64_e32 v[108:109], v[108:109], v[142:143]
	scratch_store_b64 off, v[28:29], off offset:144 ; 8-byte Folded Spill
	v_fma_f64 v[28:29], v[110:111], v[140:141], v[108:109]
	scratch_store_b64 off, v[28:29], off offset:152 ; 8-byte Folded Spill
	v_dual_mov_b32 v28, v187 :: v_dual_mov_b32 v29, v188
	ds_load_b128 v[188:191], v208 offset:2064
	s_wait_dscnt 0x1
	v_mul_f64_e32 v[110:111], v[126:127], v[130:131]
	v_mul_f64_e32 v[112:113], v[124:125], v[130:131]
	;; [unrolled: 1-line block ×7, first 2 shown]
	v_fma_f64 v[32:33], v[124:125], v[128:129], -v[110:111]
	scratch_store_b64 off, v[32:33], off offset:160 ; 8-byte Folded Spill
	v_fma_f64 v[32:33], v[126:127], v[128:129], v[112:113]
	scratch_store_b64 off, v[32:33], off offset:168 ; 8-byte Folded Spill
	v_fma_f64 v[32:33], v[124:125], v[132:133], -v[114:115]
	scratch_store_b64 off, v[32:33], off offset:176 ; 8-byte Folded Spill
	v_fma_f64 v[32:33], v[126:127], v[132:133], v[116:117]
	scratch_store_b64 off, v[32:33], off offset:184 ; 8-byte Folded Spill
	;; [unrolled: 4-line block ×3, first 2 shown]
	v_fma_f64 v[32:33], v[124:125], v[140:141], -v[122:123]
	v_mul_f64_e32 v[124:125], v[124:125], v[142:143]
	scratch_store_b64 off, v[32:33], off offset:208 ; 8-byte Folded Spill
	v_fma_f64 v[32:33], v[126:127], v[140:141], v[124:125]
	scratch_store_b64 off, v[32:33], off offset:216 ; 8-byte Folded Spill
	ds_load_b128 v[144:147], v208 offset:3072
	ds_load_b128 v[215:218], v208 offset:3088
	s_wait_dscnt 0x1
	v_mul_f64_e32 v[126:127], v[146:147], v[130:131]
	v_mul_f64_e32 v[130:131], v[144:145], v[130:131]
	s_delay_alu instid0(VALU_DEP_2)
	v_fma_f64 v[32:33], v[144:145], v[128:129], -v[126:127]
	scratch_store_b64 off, v[32:33], off offset:224 ; 8-byte Folded Spill
	v_fma_f64 v[32:33], v[146:147], v[128:129], v[130:131]
	v_mul_f64_e32 v[130:131], v[146:147], v[134:135]
	v_mul_f64_e32 v[134:135], v[144:145], v[134:135]
	scratch_store_b64 off, v[32:33], off offset:232 ; 8-byte Folded Spill
	v_fma_f64 v[32:33], v[144:145], v[132:133], -v[130:131]
	scratch_store_b64 off, v[32:33], off offset:240 ; 8-byte Folded Spill
	v_fma_f64 v[32:33], v[146:147], v[132:133], v[134:135]
	v_mul_f64_e32 v[134:135], v[146:147], v[138:139]
	v_mul_f64_e32 v[138:139], v[144:145], v[138:139]
	scratch_store_b64 off, v[32:33], off offset:248 ; 8-byte Folded Spill
	;; [unrolled: 6-line block ×3, first 2 shown]
	v_fma_f64 v[32:33], v[144:145], v[140:141], -v[138:139]
	scratch_store_b64 off, v[32:33], off offset:272 ; 8-byte Folded Spill
	v_fma_f64 v[32:33], v[146:147], v[140:141], v[142:143]
	scratch_store_b64 off, v[32:33], off offset:280 ; 8-byte Folded Spill
	ds_load_b128 v[192:195], v255 offset:1024
	ds_load_b128 v[196:199], v255 offset:1280
	s_wait_dscnt 0x1
	v_mul_f64_e32 v[142:143], v[158:159], v[194:195]
	v_mul_f64_e32 v[144:145], v[156:157], v[194:195]
	s_wait_dscnt 0x0
	v_mul_f64_e32 v[146:147], v[158:159], v[198:199]
	v_mul_f64_e32 v[148:149], v[156:157], v[198:199]
	;; [unrolled: 1-line block ×8, first 2 shown]
	v_fma_f64 v[32:33], v[156:157], v[192:193], -v[142:143]
	v_fma_f64 v[162:163], v[172:173], v[196:197], -v[162:163]
	v_fma_f64 v[160:161], v[174:175], v[192:193], v[160:161]
	v_fma_f64 v[164:165], v[174:175], v[196:197], v[164:165]
	v_fma_f64 v[178:179], v[188:189], v[196:197], -v[178:179]
	v_fma_f64 v[176:177], v[190:191], v[192:193], v[176:177]
	v_fma_f64 v[180:181], v[190:191], v[196:197], v[180:181]
	scratch_store_b64 off, v[32:33], off offset:288 ; 8-byte Folded Spill
	v_fma_f64 v[32:33], v[158:159], v[192:193], v[144:145]
	scratch_store_b64 off, v[32:33], off offset:296 ; 8-byte Folded Spill
	v_fma_f64 v[32:33], v[156:157], v[196:197], -v[146:147]
	scratch_store_b64 off, v[32:33], off offset:304 ; 8-byte Folded Spill
	v_fma_f64 v[32:33], v[158:159], v[196:197], v[148:149]
	scratch_store_b64 off, v[32:33], off offset:312 ; 8-byte Folded Spill
	ds_load_b128 v[200:203], v255 offset:1536
	ds_load_b128 v[219:222], v255 offset:1792
	v_dual_mov_b32 v32, v185 :: v_dual_mov_b32 v33, v186
	s_wait_dscnt 0x1
	v_mul_f64_e32 v[150:151], v[158:159], v[202:203]
	s_wait_dscnt 0x0
	v_mul_f64_e32 v[154:155], v[158:159], v[221:222]
	v_mul_f64_e32 v[152:153], v[156:157], v[202:203]
	;; [unrolled: 1-line block ×9, first 2 shown]
	v_fma_f64 v[150:151], v[156:157], v[200:201], -v[150:151]
	v_fma_f64 v[154:155], v[156:157], v[219:220], -v[154:155]
	v_mul_f64_e32 v[156:157], v[156:157], v[221:222]
	v_fma_f64 v[152:153], v[158:159], v[200:201], v[152:153]
	v_fma_f64 v[166:167], v[172:173], v[200:201], -v[166:167]
	v_fma_f64 v[170:171], v[172:173], v[219:220], -v[170:171]
	v_fma_f64 v[168:169], v[174:175], v[200:201], v[168:169]
	v_fma_f64 v[182:183], v[188:189], v[200:201], -v[182:183]
	v_fma_f64 v[186:187], v[188:189], v[219:220], -v[186:187]
	v_fma_f64 v[184:185], v[190:191], v[200:201], v[184:185]
	v_fma_f64 v[204:205], v[217:218], v[219:220], v[204:205]
	;; [unrolled: 1-line block ×3, first 2 shown]
	v_mul_f64_e32 v[158:159], v[174:175], v[194:195]
	s_delay_alu instid0(VALU_DEP_1) | instskip(SKIP_1) | instid1(VALU_DEP_1)
	v_fma_f64 v[158:159], v[172:173], v[192:193], -v[158:159]
	v_mul_f64_e32 v[172:173], v[172:173], v[221:222]
	v_fma_f64 v[172:173], v[174:175], v[219:220], v[172:173]
	v_mul_f64_e32 v[174:175], v[190:191], v[194:195]
	s_delay_alu instid0(VALU_DEP_1) | instskip(SKIP_1) | instid1(VALU_DEP_1)
	v_fma_f64 v[174:175], v[188:189], v[192:193], -v[174:175]
	v_mul_f64_e32 v[188:189], v[188:189], v[221:222]
	v_fma_f64 v[188:189], v[190:191], v[219:220], v[188:189]
	v_mul_f64_e32 v[190:191], v[217:218], v[194:195]
	v_mul_f64_e32 v[194:195], v[215:216], v[194:195]
	s_delay_alu instid0(VALU_DEP_2) | instskip(NEXT) | instid1(VALU_DEP_2)
	v_fma_f64 v[190:191], v[215:216], v[192:193], -v[190:191]
	v_fma_f64 v[192:193], v[217:218], v[192:193], v[194:195]
	v_mul_f64_e32 v[194:195], v[217:218], v[198:199]
	v_mul_f64_e32 v[198:199], v[215:216], v[198:199]
	s_delay_alu instid0(VALU_DEP_2) | instskip(NEXT) | instid1(VALU_DEP_2)
	v_fma_f64 v[194:195], v[215:216], v[196:197], -v[194:195]
	;; [unrolled: 5-line block ×3, first 2 shown]
	v_fma_f64 v[200:201], v[217:218], v[200:201], v[202:203]
	v_mul_f64_e32 v[202:203], v[217:218], v[221:222]
	s_delay_alu instid0(VALU_DEP_1)
	v_fma_f64 v[202:203], v[215:216], v[219:220], -v[202:203]
	ds_load_b128 v[215:218], v208 offset:32
	ds_load_b128 v[219:222], v255 offset:2048
	;; [unrolled: 1-line block ×4, first 2 shown]
	s_wait_dscnt 0x2
	v_mul_f64_e32 v[231:232], v[217:218], v[221:222]
	s_delay_alu instid0(VALU_DEP_1) | instskip(SKIP_1) | instid1(VALU_DEP_1)
	v_fma_f64 v[146:147], v[215:216], v[219:220], -v[231:232]
	v_mul_f64_e32 v[231:232], v[215:216], v[221:222]
	v_fma_f64 v[144:145], v[217:218], v[219:220], v[231:232]
	s_wait_dscnt 0x1
	v_mul_f64_e32 v[231:232], v[217:218], v[225:226]
	s_delay_alu instid0(VALU_DEP_1) | instskip(SKIP_1) | instid1(VALU_DEP_1)
	v_fma_f64 v[142:143], v[215:216], v[223:224], -v[231:232]
	v_mul_f64_e32 v[231:232], v[215:216], v[225:226]
	v_fma_f64 v[140:141], v[217:218], v[223:224], v[231:232]
	ds_load_b128 v[231:234], v255 offset:2560
	ds_load_b128 v[235:238], v255 offset:2816
	s_wait_dscnt 0x1
	v_mul_f64_e32 v[239:240], v[217:218], v[233:234]
	s_delay_alu instid0(VALU_DEP_1) | instskip(SKIP_1) | instid1(VALU_DEP_1)
	v_fma_f64 v[138:139], v[215:216], v[231:232], -v[239:240]
	v_mul_f64_e32 v[239:240], v[215:216], v[233:234]
	v_fma_f64 v[136:137], v[217:218], v[231:232], v[239:240]
	s_wait_dscnt 0x0
	v_mul_f64_e32 v[239:240], v[217:218], v[237:238]
	s_delay_alu instid0(VALU_DEP_1) | instskip(SKIP_1) | instid1(VALU_DEP_1)
	v_fma_f64 v[134:135], v[215:216], v[235:236], -v[239:240]
	v_mul_f64_e32 v[215:216], v[215:216], v[237:238]
	v_fma_f64 v[132:133], v[217:218], v[235:236], v[215:216]
	ds_load_b128 v[215:218], v208 offset:1056
	ds_load_b128 v[239:242], v208 offset:1072
	s_wait_dscnt 0x1
	v_mul_f64_e32 v[243:244], v[217:218], v[221:222]
	s_delay_alu instid0(VALU_DEP_1) | instskip(SKIP_1) | instid1(VALU_DEP_1)
	v_fma_f64 v[130:131], v[215:216], v[219:220], -v[243:244]
	v_mul_f64_e32 v[243:244], v[215:216], v[221:222]
	v_fma_f64 v[209:210], v[217:218], v[219:220], v[243:244]
	v_mul_f64_e32 v[243:244], v[217:218], v[225:226]
	s_delay_alu instid0(VALU_DEP_1) | instskip(SKIP_1) | instid1(VALU_DEP_1)
	v_fma_f64 v[128:129], v[215:216], v[223:224], -v[243:244]
	v_mul_f64_e32 v[243:244], v[215:216], v[225:226]
	v_fma_f64 v[126:127], v[217:218], v[223:224], v[243:244]
	;; [unrolled: 5-line block ×4, first 2 shown]
	ds_load_b128 v[215:218], v208 offset:2080
	ds_load_b128 v[243:246], v208 offset:2096
	s_wait_dscnt 0x1
	v_mul_f64_e32 v[247:248], v[217:218], v[221:222]
	s_delay_alu instid0(VALU_DEP_1) | instskip(SKIP_1) | instid1(VALU_DEP_1)
	v_fma_f64 v[116:117], v[215:216], v[219:220], -v[247:248]
	v_mul_f64_e32 v[247:248], v[215:216], v[221:222]
	v_fma_f64 v[114:115], v[217:218], v[219:220], v[247:248]
	v_mul_f64_e32 v[247:248], v[217:218], v[225:226]
	s_delay_alu instid0(VALU_DEP_1) | instskip(SKIP_1) | instid1(VALU_DEP_1)
	v_fma_f64 v[112:113], v[215:216], v[223:224], -v[247:248]
	v_mul_f64_e32 v[247:248], v[215:216], v[225:226]
	v_fma_f64 v[110:111], v[217:218], v[223:224], v[247:248]
	;; [unrolled: 5-line block ×4, first 2 shown]
	ds_load_b128 v[215:218], v208 offset:3104
	ds_load_b128 v[247:250], v208 offset:3120
	s_wait_dscnt 0x1
	v_mul_f64_e32 v[34:35], v[217:218], v[221:222]
	v_mul_f64_e32 v[221:222], v[215:216], v[221:222]
	s_delay_alu instid0(VALU_DEP_2) | instskip(NEXT) | instid1(VALU_DEP_2)
	v_fma_f64 v[100:101], v[215:216], v[219:220], -v[34:35]
	v_fma_f64 v[98:99], v[217:218], v[219:220], v[221:222]
	v_mul_f64_e32 v[219:220], v[217:218], v[225:226]
	s_delay_alu instid0(VALU_DEP_1) | instskip(SKIP_1) | instid1(VALU_DEP_1)
	v_fma_f64 v[96:97], v[215:216], v[223:224], -v[219:220]
	v_mul_f64_e32 v[219:220], v[215:216], v[225:226]
	v_fma_f64 v[94:95], v[217:218], v[223:224], v[219:220]
	v_mul_f64_e32 v[219:220], v[217:218], v[233:234]
	s_delay_alu instid0(VALU_DEP_1) | instskip(SKIP_1) | instid1(VALU_DEP_1)
	v_fma_f64 v[92:93], v[215:216], v[231:232], -v[219:220]
	v_mul_f64_e32 v[219:220], v[215:216], v[233:234]
	;; [unrolled: 5-line block ×3, first 2 shown]
	v_fma_f64 v[235:236], v[217:218], v[235:236], v[215:216]
	ds_load_b128 v[215:218], v255 offset:3072
	ds_load_b128 v[219:222], v255 offset:3328
	s_wait_dscnt 0x1
	v_mul_f64_e32 v[223:224], v[229:230], v[217:218]
	s_wait_dscnt 0x0
	v_mul_f64_e32 v[64:65], v[241:242], v[221:222]
	v_mul_f64_e32 v[62:63], v[239:240], v[217:218]
	;; [unrolled: 1-line block ×6, first 2 shown]
	v_fma_f64 v[237:238], v[227:228], v[215:216], -v[223:224]
	v_mul_f64_e32 v[223:224], v[227:228], v[217:218]
	v_fma_f64 v[64:65], v[239:240], v[219:220], -v[64:65]
	v_fma_f64 v[62:63], v[241:242], v[215:216], v[62:63]
	v_fma_f64 v[66:67], v[241:242], v[219:220], v[66:67]
	v_fma_f64 v[82:83], v[243:244], v[219:220], -v[82:83]
	v_fma_f64 v[80:81], v[245:246], v[215:216], v[80:81]
	v_fma_f64 v[84:85], v[245:246], v[219:220], v[84:85]
	;; [unrolled: 1-line block ×3, first 2 shown]
	v_mul_f64_e32 v[223:224], v[229:230], v[221:222]
	s_delay_alu instid0(VALU_DEP_1) | instskip(SKIP_1) | instid1(VALU_DEP_1)
	v_fma_f64 v[52:53], v[227:228], v[219:220], -v[223:224]
	v_mul_f64_e32 v[223:224], v[227:228], v[221:222]
	v_fma_f64 v[54:55], v[229:230], v[219:220], v[223:224]
	ds_load_b128 v[223:226], v255 offset:3584
	ds_load_b128 v[231:234], v255 offset:3840
	scratch_load_b64 v[34:35], off, off offset:32 th:TH_LOAD_LU ; 8-byte Folded Reload
	s_wait_dscnt 0x1
	v_mul_f64_e32 v[56:57], v[229:230], v[225:226]
	s_wait_dscnt 0x0
	v_mul_f64_e32 v[60:61], v[229:230], v[233:234]
	v_mul_f64_e32 v[58:59], v[227:228], v[225:226]
	;; [unrolled: 1-line block ×8, first 2 shown]
	v_fma_f64 v[56:57], v[227:228], v[223:224], -v[56:57]
	v_fma_f64 v[60:61], v[227:228], v[231:232], -v[60:61]
	v_mul_f64_e32 v[227:228], v[227:228], v[233:234]
	v_fma_f64 v[58:59], v[229:230], v[223:224], v[58:59]
	v_fma_f64 v[68:69], v[239:240], v[223:224], -v[68:69]
	v_fma_f64 v[78:79], v[239:240], v[231:232], -v[78:79]
	v_fma_f64 v[70:71], v[241:242], v[223:224], v[70:71]
	v_fma_f64 v[86:87], v[243:244], v[223:224], -v[86:87]
	v_fma_f64 v[90:91], v[243:244], v[231:232], -v[90:91]
	v_fma_f64 v[88:89], v[245:246], v[223:224], v[88:89]
	v_fma_f64 v[227:228], v[229:230], v[231:232], v[227:228]
	v_mul_f64_e32 v[229:230], v[241:242], v[217:218]
	s_delay_alu instid0(VALU_DEP_1) | instskip(SKIP_1) | instid1(VALU_DEP_1)
	v_fma_f64 v[229:230], v[239:240], v[215:216], -v[229:230]
	v_mul_f64_e32 v[239:240], v[239:240], v[233:234]
	v_fma_f64 v[239:240], v[241:242], v[231:232], v[239:240]
	v_mul_f64_e32 v[241:242], v[245:246], v[217:218]
	s_delay_alu instid0(VALU_DEP_1) | instskip(SKIP_1) | instid1(VALU_DEP_1)
	v_fma_f64 v[241:242], v[243:244], v[215:216], -v[241:242]
	v_mul_f64_e32 v[243:244], v[243:244], v[233:234]
	v_fma_f64 v[243:244], v[245:246], v[231:232], v[243:244]
	v_mul_f64_e32 v[245:246], v[249:250], v[217:218]
	v_mul_f64_e32 v[217:218], v[247:248], v[217:218]
	s_delay_alu instid0(VALU_DEP_2) | instskip(NEXT) | instid1(VALU_DEP_2)
	v_fma_f64 v[245:246], v[247:248], v[215:216], -v[245:246]
	v_fma_f64 v[215:216], v[249:250], v[215:216], v[217:218]
	v_mul_f64_e32 v[217:218], v[249:250], v[221:222]
	v_mul_f64_e32 v[221:222], v[247:248], v[221:222]
	s_delay_alu instid0(VALU_DEP_2) | instskip(NEXT) | instid1(VALU_DEP_2)
	v_fma_f64 v[217:218], v[247:248], v[219:220], -v[217:218]
	;; [unrolled: 5-line block ×4, first 2 shown]
	v_fma_f64 v[231:232], v[249:250], v[231:232], v[233:234]
	s_wait_loadcnt 0x0
	v_add_f64_e32 v[233:234], v[32:33], v[34:35]
	scratch_load_b64 v[32:33], off, off offset:40 th:TH_LOAD_LU ; 8-byte Folded Reload
	s_wait_loadcnt 0x0
	v_add_f64_e32 v[247:248], v[32:33], v[28:29]
	scratch_load_b64 v[28:29], off, off offset:48 th:TH_LOAD_LU ; 8-byte Folded Reload
	;; [unrolled: 3-line block ×5, first 2 shown]
	v_add_f64_e32 v[0:1], v[0:1], v[150:151]
	s_delay_alu instid0(VALU_DEP_1) | instskip(NEXT) | instid1(VALU_DEP_1)
	v_add_f64_e32 v[0:1], v[0:1], v[138:139]
	v_add_f64_e32 v[0:1], v[0:1], v[56:57]
	s_wait_loadcnt 0x0
	v_add_f64_e32 v[2:3], v[28:29], v[2:3]
	scratch_load_b64 v[28:29], off, off offset:80 th:TH_LOAD_LU ; 8-byte Folded Reload
	v_add_f64_e32 v[2:3], v[152:153], v[2:3]
	s_delay_alu instid0(VALU_DEP_1) | instskip(NEXT) | instid1(VALU_DEP_1)
	v_add_f64_e32 v[2:3], v[136:137], v[2:3]
	v_add_f64_e32 v[2:3], v[58:59], v[2:3]
	s_wait_loadcnt 0x0
	v_add_f64_e32 v[4:5], v[4:5], v[28:29]
	scratch_load_b64 v[28:29], off, off offset:88 th:TH_LOAD_LU ; 8-byte Folded Reload
	v_add_f64_e32 v[4:5], v[4:5], v[154:155]
	s_delay_alu instid0(VALU_DEP_1) | instskip(NEXT) | instid1(VALU_DEP_1)
	v_add_f64_e32 v[4:5], v[4:5], v[134:135]
	v_add_f64_e32 v[4:5], v[4:5], v[60:61]
	s_wait_loadcnt 0x0
	v_add_f64_e32 v[6:7], v[28:29], v[6:7]
	scratch_load_b64 v[28:29], off, off offset:96 th:TH_LOAD_LU ; 8-byte Folded Reload
	v_add_f64_e32 v[6:7], v[156:157], v[6:7]
	s_delay_alu instid0(VALU_DEP_1) | instskip(NEXT) | instid1(VALU_DEP_1)
	v_add_f64_e32 v[6:7], v[132:133], v[6:7]
	v_add_f64_e32 v[6:7], v[227:228], v[6:7]
	s_wait_loadcnt 0x0
	v_add_f64_e32 v[8:9], v[8:9], v[28:29]
	scratch_load_b64 v[28:29], off, off offset:104 th:TH_LOAD_LU ; 8-byte Folded Reload
	v_add_f64_e32 v[8:9], v[8:9], v[158:159]
	s_delay_alu instid0(VALU_DEP_1) | instskip(NEXT) | instid1(VALU_DEP_1)
	v_add_f64_e32 v[8:9], v[8:9], v[130:131]
	v_add_f64_e32 v[8:9], v[8:9], v[229:230]
	s_wait_loadcnt 0x0
	v_add_f64_e32 v[10:11], v[28:29], v[10:11]
	scratch_load_b64 v[28:29], off, off offset:112 th:TH_LOAD_LU ; 8-byte Folded Reload
	v_add_f64_e32 v[10:11], v[160:161], v[10:11]
	s_delay_alu instid0(VALU_DEP_1) | instskip(NEXT) | instid1(VALU_DEP_1)
	v_add_f64_e32 v[10:11], v[209:210], v[10:11]
	v_add_f64_e32 v[10:11], v[62:63], v[10:11]
	s_wait_loadcnt 0x0
	v_add_f64_e32 v[12:13], v[12:13], v[28:29]
	scratch_load_b64 v[28:29], off, off offset:120 th:TH_LOAD_LU ; 8-byte Folded Reload
	v_add_f64_e32 v[12:13], v[12:13], v[162:163]
	s_delay_alu instid0(VALU_DEP_1) | instskip(NEXT) | instid1(VALU_DEP_1)
	v_add_f64_e32 v[12:13], v[12:13], v[128:129]
	v_add_f64_e32 v[12:13], v[12:13], v[64:65]
	s_wait_loadcnt 0x0
	v_add_f64_e32 v[14:15], v[28:29], v[14:15]
	scratch_load_b64 v[28:29], off, off offset:128 th:TH_LOAD_LU ; 8-byte Folded Reload
	v_add_f64_e32 v[14:15], v[164:165], v[14:15]
	s_delay_alu instid0(VALU_DEP_1) | instskip(NEXT) | instid1(VALU_DEP_1)
	v_add_f64_e32 v[14:15], v[126:127], v[14:15]
	v_add_f64_e32 v[14:15], v[66:67], v[14:15]
	s_wait_loadcnt 0x0
	v_add_f64_e32 v[16:17], v[16:17], v[28:29]
	scratch_load_b64 v[28:29], off, off offset:136 th:TH_LOAD_LU ; 8-byte Folded Reload
	v_add_f64_e32 v[16:17], v[16:17], v[166:167]
	s_delay_alu instid0(VALU_DEP_1) | instskip(NEXT) | instid1(VALU_DEP_1)
	v_add_f64_e32 v[16:17], v[16:17], v[124:125]
	v_add_f64_e32 v[16:17], v[16:17], v[68:69]
	s_wait_loadcnt 0x0
	v_add_f64_e32 v[18:19], v[28:29], v[18:19]
	scratch_load_b64 v[28:29], off, off offset:144 th:TH_LOAD_LU ; 8-byte Folded Reload
	v_add_f64_e32 v[18:19], v[168:169], v[18:19]
	s_delay_alu instid0(VALU_DEP_1) | instskip(NEXT) | instid1(VALU_DEP_1)
	v_add_f64_e32 v[18:19], v[122:123], v[18:19]
	v_add_f64_e32 v[18:19], v[70:71], v[18:19]
	s_wait_loadcnt 0x0
	v_add_f64_e32 v[20:21], v[20:21], v[28:29]
	scratch_load_b64 v[28:29], off, off offset:152 th:TH_LOAD_LU ; 8-byte Folded Reload
	v_add_f64_e32 v[20:21], v[20:21], v[170:171]
	s_delay_alu instid0(VALU_DEP_1) | instskip(NEXT) | instid1(VALU_DEP_1)
	v_add_f64_e32 v[20:21], v[20:21], v[120:121]
	v_add_f64_e32 v[20:21], v[20:21], v[78:79]
	s_wait_loadcnt 0x0
	v_add_f64_e32 v[22:23], v[28:29], v[22:23]
	scratch_load_b64 v[28:29], off, off offset:160 th:TH_LOAD_LU ; 8-byte Folded Reload
	v_add_f64_e32 v[22:23], v[172:173], v[22:23]
	s_delay_alu instid0(VALU_DEP_1) | instskip(NEXT) | instid1(VALU_DEP_1)
	v_add_f64_e32 v[22:23], v[118:119], v[22:23]
	v_add_f64_e32 v[22:23], v[239:240], v[22:23]
	s_wait_loadcnt 0x0
	v_add_f64_e32 v[24:25], v[24:25], v[28:29]
	scratch_load_b64 v[28:29], off, off offset:168 th:TH_LOAD_LU ; 8-byte Folded Reload
	v_add_f64_e32 v[24:25], v[24:25], v[174:175]
	s_delay_alu instid0(VALU_DEP_1) | instskip(NEXT) | instid1(VALU_DEP_1)
	v_add_f64_e32 v[24:25], v[24:25], v[116:117]
	v_add_f64_e32 v[24:25], v[24:25], v[241:242]
	s_wait_loadcnt 0x0
	v_add_f64_e32 v[26:27], v[28:29], v[26:27]
	s_clause 0x1
	scratch_load_b64 v[28:29], off, off offset:16 th:TH_LOAD_LU
	scratch_load_b64 v[32:33], off, off offset:176 th:TH_LOAD_LU
	v_add_f64_e32 v[26:27], v[176:177], v[26:27]
	s_delay_alu instid0(VALU_DEP_1) | instskip(NEXT) | instid1(VALU_DEP_1)
	v_add_f64_e32 v[26:27], v[114:115], v[26:27]
	v_add_f64_e32 v[26:27], v[80:81], v[26:27]
	s_wait_loadcnt 0x0
	v_add_f64_e32 v[28:29], v[28:29], v[32:33]
	scratch_load_b64 v[32:33], off, off offset:184 th:TH_LOAD_LU ; 8-byte Folded Reload
	v_add_f64_e32 v[28:29], v[28:29], v[178:179]
	s_delay_alu instid0(VALU_DEP_1) | instskip(NEXT) | instid1(VALU_DEP_1)
	v_add_f64_e32 v[28:29], v[28:29], v[112:113]
	v_add_f64_e32 v[28:29], v[28:29], v[82:83]
	s_wait_loadcnt 0x0
	v_add_f64_e32 v[30:31], v[32:33], v[30:31]
	s_clause 0x1
	scratch_load_b64 v[32:33], off, off offset:8 th:TH_LOAD_LU
	scratch_load_b64 v[34:35], off, off offset:192 th:TH_LOAD_LU
	v_add_f64_e32 v[30:31], v[180:181], v[30:31]
	s_delay_alu instid0(VALU_DEP_1) | instskip(NEXT) | instid1(VALU_DEP_1)
	v_add_f64_e32 v[30:31], v[110:111], v[30:31]
	v_add_f64_e32 v[30:31], v[84:85], v[30:31]
	s_wait_loadcnt 0x0
	v_add_f64_e32 v[32:33], v[32:33], v[34:35]
	scratch_load_b64 v[34:35], off, off offset:200 th:TH_LOAD_LU ; 8-byte Folded Reload
	v_add_f64_e32 v[32:33], v[32:33], v[182:183]
	s_delay_alu instid0(VALU_DEP_1) | instskip(NEXT) | instid1(VALU_DEP_1)
	v_add_f64_e32 v[32:33], v[32:33], v[108:109]
	v_add_f64_e32 v[32:33], v[32:33], v[86:87]
	s_wait_loadcnt 0x0
	v_add_f64_e32 v[34:35], v[34:35], v[36:37]
	s_clause 0x1
	scratch_load_b64 v[36:37], off, off th:TH_LOAD_LU
	scratch_load_b64 v[251:252], off, off offset:208 th:TH_LOAD_LU
	v_add_f64_e32 v[34:35], v[184:185], v[34:35]
	s_delay_alu instid0(VALU_DEP_1) | instskip(SKIP_4) | instid1(VALU_DEP_1)
	v_add_f64_e32 v[34:35], v[106:107], v[34:35]
	s_wait_loadcnt 0x0
	v_add_f64_e32 v[36:37], v[36:37], v[251:252]
	scratch_load_b64 v[251:252], off, off offset:216 th:TH_LOAD_LU ; 8-byte Folded Reload
	v_add_f64_e32 v[36:37], v[36:37], v[186:187]
	v_add_f64_e32 v[36:37], v[36:37], v[104:105]
	s_wait_loadcnt 0x0
	v_add_f64_e32 v[38:39], v[251:252], v[38:39]
	scratch_load_b64 v[251:252], off, off offset:224 th:TH_LOAD_LU ; 8-byte Folded Reload
	v_add_f64_e32 v[38:39], v[188:189], v[38:39]
	s_delay_alu instid0(VALU_DEP_1) | instskip(NEXT) | instid1(VALU_DEP_1)
	v_add_f64_e32 v[38:39], v[102:103], v[38:39]
	v_add_f64_e32 v[38:39], v[243:244], v[38:39]
	s_wait_loadcnt 0x0
	v_add_f64_e32 v[40:41], v[40:41], v[251:252]
	scratch_load_b64 v[251:252], off, off offset:232 th:TH_LOAD_LU ; 8-byte Folded Reload
	v_add_f64_e32 v[40:41], v[40:41], v[190:191]
	s_delay_alu instid0(VALU_DEP_1) | instskip(NEXT) | instid1(VALU_DEP_1)
	v_add_f64_e32 v[40:41], v[40:41], v[100:101]
	v_add_f64_e32 v[40:41], v[40:41], v[245:246]
	s_wait_loadcnt 0x0
	v_add_f64_e32 v[42:43], v[251:252], v[42:43]
	scratch_load_b64 v[251:252], off, off offset:240 th:TH_LOAD_LU ; 8-byte Folded Reload
	v_add_f64_e32 v[42:43], v[192:193], v[42:43]
	s_delay_alu instid0(VALU_DEP_1) | instskip(NEXT) | instid1(VALU_DEP_1)
	v_add_f64_e32 v[42:43], v[98:99], v[42:43]
	v_add_f64_e32 v[42:43], v[215:216], v[42:43]
	s_wait_loadcnt 0x0
	v_add_f64_e32 v[44:45], v[44:45], v[251:252]
	scratch_load_b64 v[251:252], off, off offset:248 th:TH_LOAD_LU ; 8-byte Folded Reload
	v_add_f64_e32 v[44:45], v[44:45], v[194:195]
	s_delay_alu instid0(VALU_DEP_1) | instskip(NEXT) | instid1(VALU_DEP_1)
	v_add_f64_e32 v[44:45], v[44:45], v[96:97]
	v_add_f64_e32 v[44:45], v[44:45], v[217:218]
	s_wait_loadcnt 0x0
	v_add_f64_e32 v[46:47], v[251:252], v[46:47]
	scratch_load_b64 v[251:252], off, off offset:256 th:TH_LOAD_LU ; 8-byte Folded Reload
	v_add_f64_e32 v[46:47], v[196:197], v[46:47]
	s_delay_alu instid0(VALU_DEP_1) | instskip(NEXT) | instid1(VALU_DEP_1)
	v_add_f64_e32 v[46:47], v[94:95], v[46:47]
	v_add_f64_e32 v[46:47], v[219:220], v[46:47]
	s_wait_loadcnt 0x0
	v_add_f64_e32 v[74:75], v[74:75], v[251:252]
	scratch_load_b64 v[251:252], off, off offset:264 th:TH_LOAD_LU ; 8-byte Folded Reload
	v_add_f64_e32 v[74:75], v[74:75], v[198:199]
	s_delay_alu instid0(VALU_DEP_1) | instskip(NEXT) | instid1(VALU_DEP_1)
	v_add_f64_e32 v[74:75], v[74:75], v[92:93]
	v_add_f64_e32 v[183:184], v[74:75], v[221:222]
	s_wait_loadcnt 0x0
	v_add_f64_e32 v[251:252], v[251:252], v[253:254]
	scratch_load_b64 v[253:254], off, off offset:272 th:TH_LOAD_LU ; 8-byte Folded Reload
	v_add_f64_e32 v[150:151], v[200:201], v[251:252]
	s_delay_alu instid0(VALU_DEP_1)
	v_add_f64_e32 v[72:73], v[72:73], v[150:151]
	s_wait_loadcnt 0x0
	v_add_f64_e32 v[253:254], v[211:212], v[253:254]
	s_clause 0x2
	scratch_load_b64 v[211:212], off, off offset:24 th:TH_LOAD_LU
	scratch_load_b64 v[148:149], off, off offset:280 th:TH_LOAD_LU
	scratch_load_b32 v139, off, off offset:320
	v_add_f64_e32 v[152:153], v[253:254], v[202:203]
	v_add_f64_e32 v[253:254], v[223:224], v[72:73]
	s_delay_alu instid0(VALU_DEP_2)
	v_add_f64_e32 v[50:51], v[152:153], v[50:51]
	s_wait_loadcnt 0x1
	v_add_f64_e32 v[211:212], v[148:149], v[211:212]
	scratch_load_b64 v[148:149], off, off offset:288 th:TH_LOAD_LU ; 8-byte Folded Reload
	v_add_f64_e32 v[154:155], v[204:205], v[211:212]
	v_add_f64_e32 v[211:212], v[50:51], v[225:226]
	s_delay_alu instid0(VALU_DEP_2)
	v_add_f64_e32 v[92:93], v[235:236], v[154:155]
	v_add_f64_e32 v[153:154], v[88:89], v[34:35]
	;; [unrolled: 1-line block ×3, first 2 shown]
	s_clause 0x2
	scratch_store_b64 off, v[28:29], off offset:16
	scratch_store_b64 off, v[32:33], off offset:8
	scratch_store_b64 off, v[34:35], off
	s_wait_loadcnt 0x0
	v_add_f64_e32 v[233:234], v[233:234], v[148:149]
	scratch_load_b64 v[148:149], off, off offset:296 th:TH_LOAD_LU ; 8-byte Folded Reload
	v_add_f64_e32 v[146:147], v[233:234], v[146:147]
	s_delay_alu instid0(VALU_DEP_1) | instskip(SKIP_4) | instid1(VALU_DEP_1)
	v_add_f64_e32 v[185:186], v[146:147], v[237:238]
	s_wait_loadcnt 0x0
	v_add_f64_e32 v[247:248], v[148:149], v[247:248]
	scratch_load_b64 v[148:149], off, off offset:304 th:TH_LOAD_LU ; 8-byte Folded Reload
	v_add_f64_e32 v[144:145], v[144:145], v[247:248]
	v_add_f64_e32 v[187:188], v[48:49], v[144:145]
	s_wait_loadcnt 0x0
	v_add_f64_e32 v[249:250], v[249:250], v[148:149]
	scratch_load_b64 v[148:149], off, off offset:312 th:TH_LOAD_LU ; 8-byte Folded Reload
	v_add_f64_e32 v[142:143], v[249:250], v[142:143]
	s_wait_loadcnt 0x0
	v_add_f64_e32 v[148:149], v[148:149], v[206:207]
	s_delay_alu instid0(VALU_DEP_2) | instskip(NEXT) | instid1(VALU_DEP_2)
	v_add_f64_e32 v[206:207], v[142:143], v[52:53]
	v_add_f64_e32 v[140:141], v[140:141], v[148:149]
	s_delay_alu instid0(VALU_DEP_1)
	v_add_f64_e32 v[251:252], v[54:55], v[140:141]
	scratch_load_b32 v140, off, off offset:324 ; 4-byte Folded Reload
	v_add_f64_e32 v[141:142], v[231:232], v[92:93]
	s_wait_loadcnt 0x0
	s_wait_storecnt 0x0
	s_barrier_signal -1
	s_barrier_wait -1
	global_inv scope:SCOPE_SE
	s_wait_alu 0xfffe
	s_cbranch_vccnz .LBB268_5
; %bb.6:                                ;   in Loop: Header=BB268_3 Depth=1
	s_clause 0x1
	scratch_load_b64 v[167:168], off, off offset:328
	scratch_load_b64 v[36:37], off, off offset:336
	v_mov_b32_e32 v138, 0
	s_branch .LBB268_8
.LBB268_7:                              ;   in Loop: Header=BB268_3 Depth=1
	v_mov_b32_e32 v28, 0
	v_dual_mov_b32 v32, 0 :: v_dual_mov_b32 v153, 0
	v_dual_mov_b32 v34, 0 :: v_dual_mov_b32 v29, 0
	;; [unrolled: 1-line block ×5, first 2 shown]
	v_mov_b32_e32 v0, 0
	v_mov_b32_e32 v4, 0
	;; [unrolled: 1-line block ×8, first 2 shown]
	v_dual_mov_b32 v44, 0 :: v_dual_mov_b32 v183, 0
	v_dual_mov_b32 v211, 0 :: v_dual_mov_b32 v186, 0
	;; [unrolled: 1-line block ×3, first 2 shown]
	v_mov_b32_e32 v251, 0
	v_dual_mov_b32 v1, 0 :: v_dual_mov_b32 v2, 0
	v_dual_mov_b32 v5, 0 :: v_dual_mov_b32 v6, 0
	;; [unrolled: 1-line block ×13, first 2 shown]
	v_mov_b32_e32 v7, 0
	v_mov_b32_e32 v11, 0
	;; [unrolled: 1-line block ×6, first 2 shown]
	s_clause 0x2
	scratch_store_b64 off, v[28:29], off offset:16
	scratch_store_b64 off, v[32:33], off offset:8
	scratch_store_b64 off, v[34:35], off
	v_mov_b32_e32 v31, 0
	v_mov_b32_e32 v39, 0
	v_mov_b32_e32 v43, 0
	v_dual_mov_b32 v47, 0 :: v_dual_mov_b32 v254, 0
	v_mov_b32_e32 v142, 0
.LBB268_8:                              ;   in Loop: Header=BB268_3 Depth=1
	s_wait_loadcnt 0x0
	v_add_co_u32 v76, vcc_lo, v36, s4
	v_dual_mov_b32 v160, v23 :: v_dual_mov_b32 v159, v22
	v_dual_mov_b32 v158, v27 :: v_dual_mov_b32 v157, v26
	;; [unrolled: 1-line block ×15, first 2 shown]
	s_wait_alu 0xfffd
	v_add_co_ci_u32_e64 v77, null, s5, v37, vcc_lo
	s_and_not1_b32 vcc_lo, exec_lo, s23
	s_mov_b32 s1, -1
                                        ; implicit-def: $vgpr72_vgpr73
                                        ; implicit-def: $vgpr74_vgpr75
	s_wait_alu 0xfffe
	s_cbranch_vccz .LBB268_10
; %bb.9:                                ;   in Loop: Header=BB268_3 Depth=1
	s_and_not1_b32 vcc_lo, exec_lo, s1
	s_wait_alu 0xfffe
	s_cbranch_vccnz .LBB268_2
	s_branch .LBB268_11
.LBB268_10:                             ;   in Loop: Header=BB268_3 Depth=1
	v_mul_f64_e32 v[0:1], s[40:41], v[187:188]
	v_dual_mov_b32 v10, v179 :: v_dual_mov_b32 v11, v180
	v_dual_mov_b32 v14, v175 :: v_dual_mov_b32 v15, v176
	;; [unrolled: 1-line block ×3, first 2 shown]
	s_delay_alu instid0(VALU_DEP_3) | instskip(SKIP_1) | instid1(VALU_DEP_4)
	v_mul_f64_e32 v[8:9], s[40:41], v[10:11]
	v_mul_f64_e32 v[10:11], s[38:39], v[10:11]
	;; [unrolled: 1-line block ×4, first 2 shown]
	v_dual_mov_b32 v75, v17 :: v_dual_mov_b32 v74, v16
	v_mul_f64_e32 v[16:17], s[40:41], v[18:19]
	v_mul_f64_e32 v[18:19], s[38:39], v[18:19]
	v_dual_mov_b32 v22, v165 :: v_dual_mov_b32 v23, v166
	v_dual_mov_b32 v73, v21 :: v_dual_mov_b32 v72, v20
	s_clause 0x1
	scratch_load_b64 v[32:33], off, off offset:344
	scratch_load_b64 v[34:35], off, off offset:352
	v_mul_f64_e32 v[20:21], s[40:41], v[22:23]
	v_mul_f64_e32 v[22:23], s[38:39], v[22:23]
	;; [unrolled: 1-line block ×5, first 2 shown]
	v_dual_mov_b32 v26, v161 :: v_dual_mov_b32 v27, v162
	v_dual_mov_b32 v42, v155 :: v_dual_mov_b32 v43, v156
	v_dual_mov_b32 v71, v25 :: v_dual_mov_b32 v70, v24
	s_delay_alu instid0(VALU_DEP_3)
	v_mul_f64_e32 v[24:25], s[40:41], v[26:27]
	v_dual_mov_b32 v38, v157 :: v_dual_mov_b32 v39, v158
	v_dual_mov_b32 v63, v41 :: v_dual_mov_b32 v62, v40
	v_mul_f64_e32 v[40:41], s[40:41], v[42:43]
	v_fma_f64 v[78:79], s[38:39], v[185:186], -v[0:1]
	v_dual_mov_b32 v0, v177 :: v_dual_mov_b32 v1, v178
	v_dual_mov_b32 v54, v149 :: v_dual_mov_b32 v55, v150
	;; [unrolled: 1-line block ×4, first 2 shown]
	s_delay_alu instid0(VALU_DEP_4) | instskip(SKIP_4) | instid1(VALU_DEP_4)
	v_fma_f64 v[88:89], s[40:41], v[0:1], v[10:11]
	v_dual_mov_b32 v10, v173 :: v_dual_mov_b32 v11, v174
	v_mul_f64_e32 v[44:45], s[40:41], v[153:154]
	v_dual_mov_b32 v50, v151 :: v_dual_mov_b32 v51, v152
	v_dual_mov_b32 v60, v147 :: v_dual_mov_b32 v61, v148
	v_fma_f64 v[90:91], s[38:39], v[10:11], -v[12:13]
	v_fma_f64 v[92:93], s[40:41], v[10:11], v[14:15]
	v_dual_mov_b32 v10, v169 :: v_dual_mov_b32 v11, v170
	scratch_load_b64 v[12:13], off, off     ; 8-byte Folded Reload
	v_mul_f64_e32 v[26:27], s[38:39], v[26:27]
	v_mul_f64_e32 v[36:37], s[40:41], v[38:39]
	;; [unrolled: 1-line block ×3, first 2 shown]
	v_fma_f64 v[94:95], s[38:39], v[10:11], -v[16:17]
	v_fma_f64 v[96:97], s[40:41], v[10:11], v[18:19]
	v_dual_mov_b32 v10, v163 :: v_dual_mov_b32 v11, v164
	scratch_load_b64 v[18:19], off, off offset:8 ; 8-byte Folded Reload
	v_mul_f64_e32 v[46:47], s[38:39], v[153:154]
	v_mul_f64_e32 v[52:53], s[40:41], v[54:55]
	;; [unrolled: 1-line block ×3, first 2 shown]
	v_fma_f64 v[100:101], s[40:41], v[10:11], v[22:23]
	scratch_load_b64 v[22:23], off, off offset:16 ; 8-byte Folded Reload
	v_fma_f64 v[80:81], s[40:41], v[185:186], v[2:3]
	v_fma_f64 v[82:83], s[38:39], v[206:207], -v[4:5]
	v_fma_f64 v[86:87], s[38:39], v[0:1], -v[8:9]
	v_mul_f64_e32 v[2:3], s[40:41], v[253:254]
	v_mul_f64_e32 v[4:5], s[38:39], v[253:254]
	v_mul_f64_e32 v[8:9], s[38:39], v[141:142]
	v_mul_f64_e32 v[28:29], s[40:41], v[30:31]
	v_mul_f64_e32 v[30:31], s[38:39], v[30:31]
	v_mul_f64_e32 v[42:43], s[38:39], v[42:43]
	v_mul_f64_e32 v[48:49], s[40:41], v[50:51]
	v_mul_f64_e32 v[50:51], s[38:39], v[50:51]
	v_mul_f64_e32 v[56:57], s[40:41], v[60:61]
	v_fma_f64 v[84:85], s[40:41], v[206:207], v[6:7]
	v_mul_f64_e32 v[0:1], s[38:39], v[60:61]
	v_mul_f64_e32 v[6:7], s[40:41], v[141:142]
	v_dual_mov_b32 v16, v74 :: v_dual_mov_b32 v17, v75
	v_fma_f64 v[98:99], s[38:39], v[10:11], -v[20:21]
	v_dual_mov_b32 v20, v72 :: v_dual_mov_b32 v21, v73
	s_delay_alu instid0(VALU_DEP_3) | instskip(SKIP_2) | instid1(VALU_DEP_2)
	v_fma_f64 v[102:103], s[38:39], v[16:17], -v[24:25]
	v_dual_mov_b32 v24, v70 :: v_dual_mov_b32 v25, v71
	v_fma_f64 v[104:105], s[40:41], v[16:17], v[26:27]
	v_fma_f64 v[110:111], s[38:39], v[24:25], -v[36:37]
	v_fma_f64 v[112:113], s[40:41], v[24:25], v[38:39]
	v_fma_f64 v[134:135], s[38:39], v[183:184], -v[2:3]
	v_fma_f64 v[136:137], s[40:41], v[183:184], v[4:5]
	v_fma_f64 v[72:73], s[40:41], v[211:212], v[8:9]
	v_fma_f64 v[106:107], s[38:39], v[20:21], -v[28:29]
	v_fma_f64 v[108:109], s[40:41], v[20:21], v[30:31]
	s_wait_loadcnt 0x4
	v_lshlrev_b64_e32 v[32:33], 4, v[32:33]
	s_wait_loadcnt 0x3
	v_lshlrev_b64_e32 v[34:35], 4, v[34:35]
	s_delay_alu instid0(VALU_DEP_2) | instskip(SKIP_1) | instid1(VALU_DEP_3)
	v_add_co_u32 v32, vcc_lo, v76, v32
	s_wait_alu 0xfffd
	v_add_co_ci_u32_e64 v33, null, v77, v33, vcc_lo
	s_delay_alu instid0(VALU_DEP_2) | instskip(SKIP_1) | instid1(VALU_DEP_2)
	v_add_co_u32 v10, vcc_lo, v32, v34
	s_wait_alu 0xfffd
	v_add_co_ci_u32_e64 v11, null, v33, v35, vcc_lo
	v_add_co_u32 v14, vcc_lo, v32, s18
	s_wait_alu 0xfffd
	v_add_co_ci_u32_e64 v15, null, s19, v33, vcc_lo
	s_wait_loadcnt 0x2
	v_fma_f64 v[122:123], s[38:39], v[12:13], -v[48:49]
	v_fma_f64 v[124:125], s[40:41], v[12:13], v[50:51]
	v_add_co_u32 v12, vcc_lo, v14, v34
	s_wait_alu 0xfffd
	v_add_co_ci_u32_e64 v13, null, v15, v35, vcc_lo
	v_add_co_u32 v4, vcc_lo, v14, s18
	s_wait_loadcnt 0x1
	v_fma_f64 v[118:119], s[38:39], v[18:19], -v[44:45]
	v_dual_mov_b32 v44, v58 :: v_dual_mov_b32 v45, v59
	v_fma_f64 v[120:121], s[40:41], v[18:19], v[46:47]
	s_wait_alu 0xfffd
	v_add_co_ci_u32_e64 v5, null, s19, v15, vcc_lo
	s_wait_loadcnt 0x0
	v_fma_f64 v[114:115], s[38:39], v[22:23], -v[40:41]
	v_dual_mov_b32 v40, v62 :: v_dual_mov_b32 v41, v63
	v_fma_f64 v[116:117], s[40:41], v[22:23], v[42:43]
	v_fma_f64 v[130:131], s[38:39], v[44:45], -v[56:57]
	v_fma_f64 v[132:133], s[40:41], v[44:45], v[0:1]
	v_fma_f64 v[0:1], s[38:39], v[211:212], -v[6:7]
	v_fma_f64 v[126:127], s[38:39], v[40:41], -v[52:53]
	v_fma_f64 v[128:129], s[40:41], v[40:41], v[54:55]
	v_add_co_u32 v2, vcc_lo, v4, v34
	s_wait_alu 0xfffd
	v_add_co_ci_u32_e64 v3, null, v5, v35, vcc_lo
	v_add_co_u32 v4, vcc_lo, v4, s18
	s_wait_alu 0xfffd
	v_add_co_ci_u32_e64 v5, null, s19, v5, vcc_lo
	s_clause 0x5
	flat_store_b128 v[10:11], v[78:81]
	flat_store_b128 v[10:11], v[82:85] offset:256
	flat_store_b128 v[10:11], v[86:89] offset:512
	;; [unrolled: 1-line block ×3, first 2 shown]
	flat_store_b128 v[12:13], v[94:97]
	flat_store_b128 v[12:13], v[98:101] offset:256
	v_add_co_u32 v4, vcc_lo, v4, v34
	s_wait_alu 0xfffd
	v_add_co_ci_u32_e64 v5, null, v5, v35, vcc_lo
	s_clause 0x1
	flat_store_b128 v[12:13], v[102:105] offset:512
	flat_store_b128 v[12:13], v[106:109] offset:768
	v_add_co_u32 v74, vcc_lo, 0x300, v4
	s_wait_alu 0xfffd
	v_add_co_ci_u32_e64 v75, null, 0, v5, vcc_lo
	s_clause 0x7
	flat_store_b128 v[2:3], v[110:113]
	flat_store_b128 v[2:3], v[114:117] offset:256
	flat_store_b128 v[2:3], v[118:121] offset:512
	;; [unrolled: 1-line block ×3, first 2 shown]
	flat_store_b128 v[4:5], v[126:129]
	flat_store_b128 v[4:5], v[130:133] offset:256
	flat_store_b128 v[4:5], v[134:137] offset:512
	flat_store_b64 v[4:5], v[0:1] offset:768
	s_cbranch_execnz .LBB268_2
.LBB268_11:                             ;   in Loop: Header=BB268_3 Depth=1
	s_clause 0x1
	scratch_load_b64 v[0:1], off, off offset:352
	scratch_load_b64 v[4:5], off, off offset:376
	v_add_co_u32 v2, vcc_lo, v167, s12
	s_wait_alu 0xfffd
	v_add_co_ci_u32_e64 v3, null, s13, v168, vcc_lo
	v_mul_f64_e32 v[6:7], s[38:39], v[187:188]
	v_dual_mov_b32 v19, v17 :: v_dual_mov_b32 v18, v16
	scratch_load_b64 v[22:23], off, off offset:16 th:TH_LOAD_LU ; 8-byte Folded Reload
	v_fma_f64 v[6:7], s[40:41], v[185:186], v[6:7]
	s_wait_loadcnt 0x2
	v_lshlrev_b64_e32 v[0:1], 4, v[0:1]
	s_wait_loadcnt 0x1
	v_add_co_u32 v14, vcc_lo, v2, v4
	s_wait_alu 0xfffd
	v_add_co_ci_u32_e64 v15, null, v3, v5, vcc_lo
	v_mul_f64_e32 v[4:5], s[40:41], v[187:188]
	s_delay_alu instid0(VALU_DEP_3) | instskip(SKIP_1) | instid1(VALU_DEP_3)
	v_add_co_u32 v2, vcc_lo, v14, v0
	s_wait_alu 0xfffd
	v_add_co_ci_u32_e64 v3, null, v15, v1, vcc_lo
	flat_load_b128 v[72:75], v[2:3]
	v_fma_f64 v[4:5], s[38:39], v[185:186], -v[4:5]
	s_wait_loadcnt_dscnt 0x0
	v_mul_f64_e32 v[8:9], s[8:9], v[74:75]
	v_mul_f64_e32 v[10:11], s[6:7], v[74:75]
	s_delay_alu instid0(VALU_DEP_2) | instskip(NEXT) | instid1(VALU_DEP_2)
	v_fma_f64 v[8:9], s[6:7], v[72:73], -v[8:9]
	v_fma_f64 v[10:11], s[8:9], v[72:73], v[10:11]
	s_delay_alu instid0(VALU_DEP_2) | instskip(SKIP_4) | instid1(VALU_DEP_2)
	v_add_f64_e32 v[68:69], v[4:5], v[8:9]
	scratch_load_b64 v[4:5], off, off offset:344 ; 8-byte Folded Reload
	v_add_f64_e32 v[70:71], v[6:7], v[10:11]
	v_mul_f64_e32 v[6:7], s[40:41], v[251:252]
	v_mul_f64_e32 v[8:9], s[38:39], v[251:252]
	v_fma_f64 v[6:7], s[38:39], v[206:207], -v[6:7]
	s_delay_alu instid0(VALU_DEP_2) | instskip(SKIP_2) | instid1(VALU_DEP_1)
	v_fma_f64 v[8:9], s[40:41], v[206:207], v[8:9]
	s_wait_loadcnt 0x0
	v_lshlrev_b64_e32 v[4:5], 4, v[4:5]
	v_add_co_u32 v16, vcc_lo, v76, v4
	s_wait_alu 0xfffd
	s_delay_alu instid0(VALU_DEP_2) | instskip(NEXT) | instid1(VALU_DEP_2)
	v_add_co_ci_u32_e64 v17, null, v77, v5, vcc_lo
	v_add_co_u32 v4, vcc_lo, v16, v0
	s_wait_alu 0xfffd
	s_delay_alu instid0(VALU_DEP_2)
	v_add_co_ci_u32_e64 v5, null, v17, v1, vcc_lo
	v_add_co_u32 v14, vcc_lo, v14, s14
	s_wait_alu 0xfffd
	v_add_co_ci_u32_e64 v15, null, s15, v15, vcc_lo
	flat_store_b128 v[4:5], v[68:71]
	flat_load_b128 v[68:71], v[2:3] offset:256
	s_wait_loadcnt_dscnt 0x0
	v_mul_f64_e32 v[10:11], s[8:9], v[70:71]
	v_mul_f64_e32 v[12:13], s[6:7], v[70:71]
	s_delay_alu instid0(VALU_DEP_2) | instskip(NEXT) | instid1(VALU_DEP_2)
	v_fma_f64 v[10:11], s[6:7], v[68:69], -v[10:11]
	v_fma_f64 v[12:13], s[8:9], v[68:69], v[12:13]
	s_delay_alu instid0(VALU_DEP_2) | instskip(NEXT) | instid1(VALU_DEP_2)
	v_add_f64_e32 v[64:65], v[6:7], v[10:11]
	v_add_f64_e32 v[66:67], v[8:9], v[12:13]
	v_mul_f64_e32 v[6:7], s[40:41], v[179:180]
	v_mul_f64_e32 v[8:9], s[38:39], v[179:180]
	flat_store_b128 v[4:5], v[64:67] offset:256
	flat_load_b128 v[64:67], v[2:3] offset:512
	v_fma_f64 v[6:7], s[38:39], v[177:178], -v[6:7]
	v_fma_f64 v[8:9], s[40:41], v[177:178], v[8:9]
	s_wait_loadcnt_dscnt 0x0
	v_mul_f64_e32 v[10:11], s[8:9], v[66:67]
	v_mul_f64_e32 v[12:13], s[6:7], v[66:67]
	s_delay_alu instid0(VALU_DEP_2) | instskip(NEXT) | instid1(VALU_DEP_2)
	v_fma_f64 v[10:11], s[6:7], v[64:65], -v[10:11]
	v_fma_f64 v[12:13], s[8:9], v[64:65], v[12:13]
	s_delay_alu instid0(VALU_DEP_2) | instskip(NEXT) | instid1(VALU_DEP_2)
	v_add_f64_e32 v[60:61], v[6:7], v[10:11]
	v_add_f64_e32 v[62:63], v[8:9], v[12:13]
	v_mul_f64_e32 v[6:7], s[38:39], v[175:176]
	flat_store_b128 v[4:5], v[60:63] offset:512
	flat_load_b128 v[60:63], v[2:3] offset:768
	v_mul_f64_e32 v[2:3], s[40:41], v[175:176]
	v_fma_f64 v[6:7], s[40:41], v[173:174], v[6:7]
	s_delay_alu instid0(VALU_DEP_2) | instskip(SKIP_3) | instid1(VALU_DEP_2)
	v_fma_f64 v[2:3], s[38:39], v[173:174], -v[2:3]
	s_wait_loadcnt_dscnt 0x0
	v_mul_f64_e32 v[8:9], s[8:9], v[62:63]
	v_mul_f64_e32 v[10:11], s[6:7], v[62:63]
	v_fma_f64 v[8:9], s[6:7], v[60:61], -v[8:9]
	s_delay_alu instid0(VALU_DEP_2) | instskip(NEXT) | instid1(VALU_DEP_2)
	v_fma_f64 v[10:11], s[8:9], v[60:61], v[10:11]
	v_add_f64_e32 v[56:57], v[2:3], v[8:9]
	s_delay_alu instid0(VALU_DEP_2)
	v_add_f64_e32 v[58:59], v[6:7], v[10:11]
	v_add_co_u32 v2, vcc_lo, v14, v0
	s_wait_alu 0xfffd
	v_add_co_ci_u32_e64 v3, null, v15, v1, vcc_lo
	v_mul_f64_e32 v[6:7], s[38:39], v[171:172]
	v_add_co_u32 v16, vcc_lo, v16, s18
	s_wait_alu 0xfffd
	v_add_co_ci_u32_e64 v17, null, s19, v17, vcc_lo
	flat_store_b128 v[4:5], v[56:59] offset:768
	flat_load_b128 v[56:59], v[2:3]
	v_mul_f64_e32 v[4:5], s[40:41], v[171:172]
	v_fma_f64 v[6:7], s[40:41], v[169:170], v[6:7]
	s_delay_alu instid0(VALU_DEP_2) | instskip(SKIP_3) | instid1(VALU_DEP_2)
	v_fma_f64 v[4:5], s[38:39], v[169:170], -v[4:5]
	s_wait_loadcnt_dscnt 0x0
	v_mul_f64_e32 v[8:9], s[8:9], v[58:59]
	v_mul_f64_e32 v[10:11], s[6:7], v[58:59]
	v_fma_f64 v[8:9], s[6:7], v[56:57], -v[8:9]
	s_delay_alu instid0(VALU_DEP_2) | instskip(NEXT) | instid1(VALU_DEP_2)
	v_fma_f64 v[10:11], s[8:9], v[56:57], v[10:11]
	v_add_f64_e32 v[50:51], v[4:5], v[8:9]
	s_delay_alu instid0(VALU_DEP_2)
	v_add_f64_e32 v[52:53], v[6:7], v[10:11]
	v_add_co_u32 v4, vcc_lo, v16, v0
	s_wait_alu 0xfffd
	v_add_co_ci_u32_e64 v5, null, v17, v1, vcc_lo
	v_mul_f64_e32 v[6:7], s[40:41], v[165:166]
	v_mul_f64_e32 v[8:9], s[38:39], v[165:166]
	v_add_co_u32 v14, vcc_lo, v14, s14
	s_wait_alu 0xfffd
	v_add_co_ci_u32_e64 v15, null, s15, v15, vcc_lo
	flat_store_b128 v[4:5], v[50:53]
	flat_load_b128 v[50:53], v[2:3] offset:256
	v_fma_f64 v[6:7], s[38:39], v[163:164], -v[6:7]
	v_fma_f64 v[8:9], s[40:41], v[163:164], v[8:9]
	s_wait_loadcnt_dscnt 0x0
	v_mul_f64_e32 v[10:11], s[8:9], v[52:53]
	v_mul_f64_e32 v[12:13], s[6:7], v[52:53]
	s_delay_alu instid0(VALU_DEP_2) | instskip(NEXT) | instid1(VALU_DEP_2)
	v_fma_f64 v[10:11], s[6:7], v[50:51], -v[10:11]
	v_fma_f64 v[12:13], s[8:9], v[50:51], v[12:13]
	s_delay_alu instid0(VALU_DEP_2) | instskip(NEXT) | instid1(VALU_DEP_2)
	v_add_f64_e32 v[46:47], v[6:7], v[10:11]
	v_add_f64_e32 v[48:49], v[8:9], v[12:13]
	v_mul_f64_e32 v[6:7], s[40:41], v[161:162]
	v_mul_f64_e32 v[8:9], s[38:39], v[161:162]
	flat_store_b128 v[4:5], v[46:49] offset:256
	flat_load_b128 v[46:49], v[2:3] offset:512
	v_fma_f64 v[6:7], s[38:39], v[18:19], -v[6:7]
	v_fma_f64 v[8:9], s[40:41], v[18:19], v[8:9]
	v_dual_mov_b32 v18, v40 :: v_dual_mov_b32 v19, v41
	s_wait_loadcnt_dscnt 0x0
	v_mul_f64_e32 v[10:11], s[8:9], v[48:49]
	v_mul_f64_e32 v[12:13], s[6:7], v[48:49]
	s_delay_alu instid0(VALU_DEP_2) | instskip(NEXT) | instid1(VALU_DEP_2)
	v_fma_f64 v[10:11], s[6:7], v[46:47], -v[10:11]
	v_fma_f64 v[12:13], s[8:9], v[46:47], v[12:13]
	v_dual_mov_b32 v47, v45 :: v_dual_mov_b32 v46, v44
	s_delay_alu instid0(VALU_DEP_3) | instskip(NEXT) | instid1(VALU_DEP_3)
	v_add_f64_e32 v[42:43], v[6:7], v[10:11]
	v_add_f64_e32 v[44:45], v[8:9], v[12:13]
	v_mul_f64_e32 v[6:7], s[38:39], v[159:160]
	flat_store_b128 v[4:5], v[42:45] offset:512
	flat_load_b128 v[42:45], v[2:3] offset:768
	v_mul_f64_e32 v[2:3], s[40:41], v[159:160]
	v_fma_f64 v[6:7], s[40:41], v[20:21], v[6:7]
	s_delay_alu instid0(VALU_DEP_2) | instskip(SKIP_4) | instid1(VALU_DEP_2)
	v_fma_f64 v[2:3], s[38:39], v[20:21], -v[2:3]
	scratch_load_b64 v[20:21], off, off th:TH_LOAD_LU ; 8-byte Folded Reload
	s_wait_loadcnt_dscnt 0x100
	v_mul_f64_e32 v[8:9], s[8:9], v[44:45]
	v_mul_f64_e32 v[10:11], s[6:7], v[44:45]
	v_fma_f64 v[8:9], s[6:7], v[42:43], -v[8:9]
	s_delay_alu instid0(VALU_DEP_2) | instskip(NEXT) | instid1(VALU_DEP_2)
	v_fma_f64 v[10:11], s[8:9], v[42:43], v[10:11]
	v_add_f64_e32 v[38:39], v[2:3], v[8:9]
	s_delay_alu instid0(VALU_DEP_2)
	v_add_f64_e32 v[40:41], v[6:7], v[10:11]
	v_add_co_u32 v2, vcc_lo, v14, v0
	s_wait_alu 0xfffd
	v_add_co_ci_u32_e64 v3, null, v15, v1, vcc_lo
	v_mul_f64_e32 v[6:7], s[38:39], v[157:158]
	v_add_co_u32 v16, vcc_lo, v16, s18
	s_wait_alu 0xfffd
	v_add_co_ci_u32_e64 v17, null, s19, v17, vcc_lo
	flat_store_b128 v[4:5], v[38:41] offset:768
	flat_load_b128 v[38:41], v[2:3]
	v_mul_f64_e32 v[4:5], s[40:41], v[157:158]
	v_fma_f64 v[6:7], s[40:41], v[24:25], v[6:7]
	s_delay_alu instid0(VALU_DEP_2) | instskip(SKIP_3) | instid1(VALU_DEP_2)
	v_fma_f64 v[4:5], s[38:39], v[24:25], -v[4:5]
	s_wait_loadcnt_dscnt 0x0
	v_mul_f64_e32 v[8:9], s[8:9], v[40:41]
	v_mul_f64_e32 v[10:11], s[6:7], v[40:41]
	v_fma_f64 v[8:9], s[6:7], v[38:39], -v[8:9]
	s_delay_alu instid0(VALU_DEP_2) | instskip(NEXT) | instid1(VALU_DEP_2)
	v_fma_f64 v[10:11], s[8:9], v[38:39], v[10:11]
	v_add_f64_e32 v[34:35], v[4:5], v[8:9]
	s_delay_alu instid0(VALU_DEP_2)
	v_add_f64_e32 v[36:37], v[6:7], v[10:11]
	v_add_co_u32 v4, vcc_lo, v16, v0
	s_wait_alu 0xfffd
	v_add_co_ci_u32_e64 v5, null, v17, v1, vcc_lo
	v_mul_f64_e32 v[6:7], s[40:41], v[155:156]
	v_mul_f64_e32 v[8:9], s[38:39], v[155:156]
	flat_store_b128 v[4:5], v[34:37]
	flat_load_b128 v[34:37], v[2:3] offset:256
	v_fma_f64 v[6:7], s[38:39], v[22:23], -v[6:7]
	v_fma_f64 v[8:9], s[40:41], v[22:23], v[8:9]
	scratch_load_b64 v[22:23], off, off offset:8 th:TH_LOAD_LU ; 8-byte Folded Reload
	s_wait_loadcnt_dscnt 0x100
	v_mul_f64_e32 v[10:11], s[8:9], v[36:37]
	v_mul_f64_e32 v[12:13], s[6:7], v[36:37]
	s_delay_alu instid0(VALU_DEP_2) | instskip(NEXT) | instid1(VALU_DEP_2)
	v_fma_f64 v[10:11], s[6:7], v[34:35], -v[10:11]
	v_fma_f64 v[12:13], s[8:9], v[34:35], v[12:13]
	s_delay_alu instid0(VALU_DEP_2) | instskip(NEXT) | instid1(VALU_DEP_2)
	v_add_f64_e32 v[30:31], v[6:7], v[10:11]
	v_add_f64_e32 v[32:33], v[8:9], v[12:13]
	v_mul_f64_e32 v[6:7], s[40:41], v[153:154]
	v_mul_f64_e32 v[8:9], s[38:39], v[153:154]
	flat_store_b128 v[4:5], v[30:33] offset:256
	flat_load_b128 v[30:33], v[2:3] offset:512
	s_wait_loadcnt 0x1
	v_fma_f64 v[6:7], s[38:39], v[22:23], -v[6:7]
	v_fma_f64 v[8:9], s[40:41], v[22:23], v[8:9]
	s_wait_loadcnt_dscnt 0x0
	v_mul_f64_e32 v[10:11], s[8:9], v[32:33]
	v_mul_f64_e32 v[12:13], s[6:7], v[32:33]
	s_delay_alu instid0(VALU_DEP_2) | instskip(NEXT) | instid1(VALU_DEP_2)
	v_fma_f64 v[10:11], s[6:7], v[30:31], -v[10:11]
	v_fma_f64 v[12:13], s[8:9], v[30:31], v[12:13]
	s_delay_alu instid0(VALU_DEP_2) | instskip(NEXT) | instid1(VALU_DEP_2)
	v_add_f64_e32 v[26:27], v[6:7], v[10:11]
	v_add_f64_e32 v[28:29], v[8:9], v[12:13]
	v_mul_f64_e32 v[6:7], s[38:39], v[151:152]
	flat_store_b128 v[4:5], v[26:29] offset:512
	flat_load_b128 v[26:29], v[2:3] offset:768
	v_mul_f64_e32 v[2:3], s[40:41], v[151:152]
	v_fma_f64 v[6:7], s[40:41], v[20:21], v[6:7]
	s_delay_alu instid0(VALU_DEP_2) | instskip(SKIP_3) | instid1(VALU_DEP_2)
	v_fma_f64 v[2:3], s[38:39], v[20:21], -v[2:3]
	s_wait_loadcnt_dscnt 0x0
	v_mul_f64_e32 v[8:9], s[8:9], v[28:29]
	v_mul_f64_e32 v[10:11], s[6:7], v[28:29]
	v_fma_f64 v[8:9], s[6:7], v[26:27], -v[8:9]
	s_delay_alu instid0(VALU_DEP_2) | instskip(NEXT) | instid1(VALU_DEP_2)
	v_fma_f64 v[10:11], s[8:9], v[26:27], v[10:11]
	v_add_f64_e32 v[22:23], v[2:3], v[8:9]
	s_delay_alu instid0(VALU_DEP_2) | instskip(SKIP_4) | instid1(VALU_DEP_3)
	v_add_f64_e32 v[24:25], v[6:7], v[10:11]
	v_add_co_u32 v2, vcc_lo, v14, s14
	s_wait_alu 0xfffd
	v_add_co_ci_u32_e64 v3, null, s15, v15, vcc_lo
	v_mul_f64_e32 v[6:7], s[38:39], v[149:150]
	v_add_co_u32 v2, vcc_lo, v2, v0
	s_wait_alu 0xfffd
	s_delay_alu instid0(VALU_DEP_3) | instskip(SKIP_4) | instid1(VALU_DEP_2)
	v_add_co_ci_u32_e64 v3, null, v3, v1, vcc_lo
	flat_store_b128 v[4:5], v[22:25] offset:768
	flat_load_b128 v[22:25], v[2:3]
	v_mul_f64_e32 v[4:5], s[40:41], v[149:150]
	v_fma_f64 v[6:7], s[40:41], v[18:19], v[6:7]
	v_fma_f64 v[4:5], s[38:39], v[18:19], -v[4:5]
	s_wait_loadcnt_dscnt 0x0
	v_mul_f64_e32 v[8:9], s[8:9], v[24:25]
	v_mul_f64_e32 v[10:11], s[6:7], v[24:25]
	s_delay_alu instid0(VALU_DEP_2) | instskip(NEXT) | instid1(VALU_DEP_2)
	v_fma_f64 v[8:9], s[6:7], v[22:23], -v[8:9]
	v_fma_f64 v[10:11], s[8:9], v[22:23], v[10:11]
	s_delay_alu instid0(VALU_DEP_2) | instskip(NEXT) | instid1(VALU_DEP_2)
	v_add_f64_e32 v[18:19], v[4:5], v[8:9]
	v_add_f64_e32 v[20:21], v[6:7], v[10:11]
	v_add_co_u32 v4, vcc_lo, v16, s18
	s_wait_alu 0xfffd
	v_add_co_ci_u32_e64 v5, null, s19, v17, vcc_lo
	v_mul_f64_e32 v[6:7], s[38:39], v[147:148]
	s_delay_alu instid0(VALU_DEP_3) | instskip(SKIP_1) | instid1(VALU_DEP_3)
	v_add_co_u32 v0, vcc_lo, v4, v0
	s_wait_alu 0xfffd
	v_add_co_ci_u32_e64 v1, null, v5, v1, vcc_lo
	v_mul_f64_e32 v[4:5], s[40:41], v[147:148]
	s_delay_alu instid0(VALU_DEP_3) | instskip(SKIP_1) | instid1(VALU_DEP_3)
	v_add_co_u32 v74, vcc_lo, 0x300, v0
	s_wait_alu 0xfffd
	v_add_co_ci_u32_e64 v75, null, 0, v1, vcc_lo
	flat_store_b128 v[0:1], v[18:21]
	flat_load_b128 v[18:21], v[2:3] offset:256
	v_fma_f64 v[6:7], s[40:41], v[46:47], v[6:7]
	v_fma_f64 v[4:5], s[38:39], v[46:47], -v[4:5]
	s_wait_loadcnt_dscnt 0x0
	v_mul_f64_e32 v[8:9], s[8:9], v[20:21]
	v_mul_f64_e32 v[10:11], s[6:7], v[20:21]
	s_delay_alu instid0(VALU_DEP_2) | instskip(NEXT) | instid1(VALU_DEP_2)
	v_fma_f64 v[8:9], s[6:7], v[18:19], -v[8:9]
	v_fma_f64 v[10:11], s[8:9], v[18:19], v[10:11]
	s_delay_alu instid0(VALU_DEP_2) | instskip(NEXT) | instid1(VALU_DEP_2)
	v_add_f64_e32 v[14:15], v[4:5], v[8:9]
	v_add_f64_e32 v[16:17], v[6:7], v[10:11]
	v_mul_f64_e32 v[4:5], s[40:41], v[253:254]
	v_mul_f64_e32 v[6:7], s[38:39], v[253:254]
	flat_store_b128 v[0:1], v[14:17] offset:256
	flat_load_b128 v[14:17], v[2:3] offset:512
	v_fma_f64 v[4:5], s[38:39], v[183:184], -v[4:5]
	v_fma_f64 v[6:7], s[40:41], v[183:184], v[6:7]
	s_wait_loadcnt_dscnt 0x0
	v_mul_f64_e32 v[8:9], s[8:9], v[16:17]
	v_mul_f64_e32 v[10:11], s[6:7], v[16:17]
	s_delay_alu instid0(VALU_DEP_2) | instskip(NEXT) | instid1(VALU_DEP_2)
	v_fma_f64 v[8:9], s[6:7], v[14:15], -v[8:9]
	v_fma_f64 v[12:13], s[8:9], v[14:15], v[10:11]
	s_delay_alu instid0(VALU_DEP_2) | instskip(NEXT) | instid1(VALU_DEP_2)
	v_add_f64_e32 v[10:11], v[4:5], v[8:9]
	v_add_f64_e32 v[12:13], v[6:7], v[12:13]
	v_mul_f64_e32 v[4:5], s[38:39], v[141:142]
	flat_store_b128 v[0:1], v[10:13] offset:512
	flat_load_b128 v[10:13], v[2:3] offset:768
	v_mul_f64_e32 v[2:3], s[40:41], v[141:142]
	v_fma_f64 v[4:5], s[40:41], v[211:212], v[4:5]
	s_delay_alu instid0(VALU_DEP_2) | instskip(SKIP_3) | instid1(VALU_DEP_2)
	v_fma_f64 v[2:3], s[38:39], v[211:212], -v[2:3]
	s_wait_loadcnt_dscnt 0x0
	v_mul_f64_e32 v[6:7], s[8:9], v[12:13]
	v_mul_f64_e32 v[8:9], s[6:7], v[12:13]
	v_fma_f64 v[6:7], s[6:7], v[10:11], -v[6:7]
	s_delay_alu instid0(VALU_DEP_2) | instskip(NEXT) | instid1(VALU_DEP_2)
	v_fma_f64 v[8:9], s[8:9], v[10:11], v[8:9]
	v_add_f64_e32 v[2:3], v[2:3], v[6:7]
	s_delay_alu instid0(VALU_DEP_2)
	v_add_f64_e32 v[72:73], v[4:5], v[8:9]
	flat_store_b64 v[0:1], v[2:3] offset:768
	s_branch .LBB268_2
.LBB268_12:
	s_nop 0
	s_sendmsg sendmsg(MSG_DEALLOC_VGPRS)
	s_endpgm
	.section	.rodata,"a",@progbits
	.p2align	6, 0x0
	.amdhsa_kernel _ZN12_GLOBAL__N_127rocblas_gemm_batched_kernelI19rocblas_complex_numIdELi16ELi16ELi64ELi64ELi4ELi64ELi4ELi4ELi64ELc67ELc78EKPKS2_S5_KPS2_EEvlllT_PT11_llSA_llS8_PT12_llPT13_lli
		.amdhsa_group_segment_fixed_size 8192
		.amdhsa_private_segment_fixed_size 388
		.amdhsa_kernarg_size 156
		.amdhsa_user_sgpr_count 2
		.amdhsa_user_sgpr_dispatch_ptr 0
		.amdhsa_user_sgpr_queue_ptr 0
		.amdhsa_user_sgpr_kernarg_segment_ptr 1
		.amdhsa_user_sgpr_dispatch_id 0
		.amdhsa_user_sgpr_private_segment_size 0
		.amdhsa_wavefront_size32 1
		.amdhsa_uses_dynamic_stack 0
		.amdhsa_enable_private_segment 1
		.amdhsa_system_sgpr_workgroup_id_x 1
		.amdhsa_system_sgpr_workgroup_id_y 1
		.amdhsa_system_sgpr_workgroup_id_z 1
		.amdhsa_system_sgpr_workgroup_info 0
		.amdhsa_system_vgpr_workitem_id 1
		.amdhsa_next_free_vgpr 256
		.amdhsa_next_free_sgpr 52
		.amdhsa_reserve_vcc 1
		.amdhsa_float_round_mode_32 0
		.amdhsa_float_round_mode_16_64 0
		.amdhsa_float_denorm_mode_32 3
		.amdhsa_float_denorm_mode_16_64 3
		.amdhsa_fp16_overflow 0
		.amdhsa_workgroup_processor_mode 1
		.amdhsa_memory_ordered 1
		.amdhsa_forward_progress 1
		.amdhsa_inst_pref_size 69
		.amdhsa_round_robin_scheduling 0
		.amdhsa_exception_fp_ieee_invalid_op 0
		.amdhsa_exception_fp_denorm_src 0
		.amdhsa_exception_fp_ieee_div_zero 0
		.amdhsa_exception_fp_ieee_overflow 0
		.amdhsa_exception_fp_ieee_underflow 0
		.amdhsa_exception_fp_ieee_inexact 0
		.amdhsa_exception_int_div_zero 0
	.end_amdhsa_kernel
	.section	.text._ZN12_GLOBAL__N_127rocblas_gemm_batched_kernelI19rocblas_complex_numIdELi16ELi16ELi64ELi64ELi4ELi64ELi4ELi4ELi64ELc67ELc78EKPKS2_S5_KPS2_EEvlllT_PT11_llSA_llS8_PT12_llPT13_lli,"axG",@progbits,_ZN12_GLOBAL__N_127rocblas_gemm_batched_kernelI19rocblas_complex_numIdELi16ELi16ELi64ELi64ELi4ELi64ELi4ELi4ELi64ELc67ELc78EKPKS2_S5_KPS2_EEvlllT_PT11_llSA_llS8_PT12_llPT13_lli,comdat
.Lfunc_end268:
	.size	_ZN12_GLOBAL__N_127rocblas_gemm_batched_kernelI19rocblas_complex_numIdELi16ELi16ELi64ELi64ELi4ELi64ELi4ELi4ELi64ELc67ELc78EKPKS2_S5_KPS2_EEvlllT_PT11_llSA_llS8_PT12_llPT13_lli, .Lfunc_end268-_ZN12_GLOBAL__N_127rocblas_gemm_batched_kernelI19rocblas_complex_numIdELi16ELi16ELi64ELi64ELi4ELi64ELi4ELi4ELi64ELc67ELc78EKPKS2_S5_KPS2_EEvlllT_PT11_llSA_llS8_PT12_llPT13_lli
                                        ; -- End function
	.set _ZN12_GLOBAL__N_127rocblas_gemm_batched_kernelI19rocblas_complex_numIdELi16ELi16ELi64ELi64ELi4ELi64ELi4ELi4ELi64ELc67ELc78EKPKS2_S5_KPS2_EEvlllT_PT11_llSA_llS8_PT12_llPT13_lli.num_vgpr, 256
	.set _ZN12_GLOBAL__N_127rocblas_gemm_batched_kernelI19rocblas_complex_numIdELi16ELi16ELi64ELi64ELi4ELi64ELi4ELi4ELi64ELc67ELc78EKPKS2_S5_KPS2_EEvlllT_PT11_llSA_llS8_PT12_llPT13_lli.num_agpr, 0
	.set _ZN12_GLOBAL__N_127rocblas_gemm_batched_kernelI19rocblas_complex_numIdELi16ELi16ELi64ELi64ELi4ELi64ELi4ELi4ELi64ELc67ELc78EKPKS2_S5_KPS2_EEvlllT_PT11_llSA_llS8_PT12_llPT13_lli.numbered_sgpr, 52
	.set _ZN12_GLOBAL__N_127rocblas_gemm_batched_kernelI19rocblas_complex_numIdELi16ELi16ELi64ELi64ELi4ELi64ELi4ELi4ELi64ELc67ELc78EKPKS2_S5_KPS2_EEvlllT_PT11_llSA_llS8_PT12_llPT13_lli.num_named_barrier, 0
	.set _ZN12_GLOBAL__N_127rocblas_gemm_batched_kernelI19rocblas_complex_numIdELi16ELi16ELi64ELi64ELi4ELi64ELi4ELi4ELi64ELc67ELc78EKPKS2_S5_KPS2_EEvlllT_PT11_llSA_llS8_PT12_llPT13_lli.private_seg_size, 388
	.set _ZN12_GLOBAL__N_127rocblas_gemm_batched_kernelI19rocblas_complex_numIdELi16ELi16ELi64ELi64ELi4ELi64ELi4ELi4ELi64ELc67ELc78EKPKS2_S5_KPS2_EEvlllT_PT11_llSA_llS8_PT12_llPT13_lli.uses_vcc, 1
	.set _ZN12_GLOBAL__N_127rocblas_gemm_batched_kernelI19rocblas_complex_numIdELi16ELi16ELi64ELi64ELi4ELi64ELi4ELi4ELi64ELc67ELc78EKPKS2_S5_KPS2_EEvlllT_PT11_llSA_llS8_PT12_llPT13_lli.uses_flat_scratch, 1
	.set _ZN12_GLOBAL__N_127rocblas_gemm_batched_kernelI19rocblas_complex_numIdELi16ELi16ELi64ELi64ELi4ELi64ELi4ELi4ELi64ELc67ELc78EKPKS2_S5_KPS2_EEvlllT_PT11_llSA_llS8_PT12_llPT13_lli.has_dyn_sized_stack, 0
	.set _ZN12_GLOBAL__N_127rocblas_gemm_batched_kernelI19rocblas_complex_numIdELi16ELi16ELi64ELi64ELi4ELi64ELi4ELi4ELi64ELc67ELc78EKPKS2_S5_KPS2_EEvlllT_PT11_llSA_llS8_PT12_llPT13_lli.has_recursion, 0
	.set _ZN12_GLOBAL__N_127rocblas_gemm_batched_kernelI19rocblas_complex_numIdELi16ELi16ELi64ELi64ELi4ELi64ELi4ELi4ELi64ELc67ELc78EKPKS2_S5_KPS2_EEvlllT_PT11_llSA_llS8_PT12_llPT13_lli.has_indirect_call, 0
	.section	.AMDGPU.csdata,"",@progbits
; Kernel info:
; codeLenInByte = 8808
; TotalNumSgprs: 54
; NumVgprs: 256
; ScratchSize: 388
; MemoryBound: 0
; FloatMode: 240
; IeeeMode: 1
; LDSByteSize: 8192 bytes/workgroup (compile time only)
; SGPRBlocks: 0
; VGPRBlocks: 31
; NumSGPRsForWavesPerEU: 54
; NumVGPRsForWavesPerEU: 256
; Occupancy: 5
; WaveLimiterHint : 1
; COMPUTE_PGM_RSRC2:SCRATCH_EN: 1
; COMPUTE_PGM_RSRC2:USER_SGPR: 2
; COMPUTE_PGM_RSRC2:TRAP_HANDLER: 0
; COMPUTE_PGM_RSRC2:TGID_X_EN: 1
; COMPUTE_PGM_RSRC2:TGID_Y_EN: 1
; COMPUTE_PGM_RSRC2:TGID_Z_EN: 1
; COMPUTE_PGM_RSRC2:TIDIG_COMP_CNT: 1
	.section	.text._ZN12_GLOBAL__N_127rocblas_gemm_batched_kernelI19rocblas_complex_numIdELi16ELi16ELi64ELi64ELi4ELi64ELi4ELi4ELi64ELc67ELc84EKPKS2_S5_KPS2_EEvlllT_PT11_llSA_llS8_PT12_llPT13_lli,"axG",@progbits,_ZN12_GLOBAL__N_127rocblas_gemm_batched_kernelI19rocblas_complex_numIdELi16ELi16ELi64ELi64ELi4ELi64ELi4ELi4ELi64ELc67ELc84EKPKS2_S5_KPS2_EEvlllT_PT11_llSA_llS8_PT12_llPT13_lli,comdat
	.globl	_ZN12_GLOBAL__N_127rocblas_gemm_batched_kernelI19rocblas_complex_numIdELi16ELi16ELi64ELi64ELi4ELi64ELi4ELi4ELi64ELc67ELc84EKPKS2_S5_KPS2_EEvlllT_PT11_llSA_llS8_PT12_llPT13_lli ; -- Begin function _ZN12_GLOBAL__N_127rocblas_gemm_batched_kernelI19rocblas_complex_numIdELi16ELi16ELi64ELi64ELi4ELi64ELi4ELi4ELi64ELc67ELc84EKPKS2_S5_KPS2_EEvlllT_PT11_llSA_llS8_PT12_llPT13_lli
	.p2align	8
	.type	_ZN12_GLOBAL__N_127rocblas_gemm_batched_kernelI19rocblas_complex_numIdELi16ELi16ELi64ELi64ELi4ELi64ELi4ELi4ELi64ELc67ELc84EKPKS2_S5_KPS2_EEvlllT_PT11_llSA_llS8_PT12_llPT13_lli,@function
_ZN12_GLOBAL__N_127rocblas_gemm_batched_kernelI19rocblas_complex_numIdELi16ELi16ELi64ELi64ELi4ELi64ELi4ELi4ELi64ELc67ELc84EKPKS2_S5_KPS2_EEvlllT_PT11_llSA_llS8_PT12_llPT13_lli: ; @_ZN12_GLOBAL__N_127rocblas_gemm_batched_kernelI19rocblas_complex_numIdELi16ELi16ELi64ELi64ELi4ELi64ELi4ELi4ELi64ELc67ELc84EKPKS2_S5_KPS2_EEvlllT_PT11_llSA_llS8_PT12_llPT13_lli
; %bb.0:
	s_load_b32 s24, s[0:1], 0x98
	s_lshr_b32 s2, ttmp7, 16
	s_wait_kmcnt 0x0
	s_cmp_ge_i32 s2, s24
	s_cbranch_scc1 .LBB269_12
; %bb.1:
	v_dual_mov_b32 v138, 0 :: v_dual_and_b32 v1, 0x3ff, v0
	v_bfe_u32 v2, v0, 10, 10
	s_clause 0x2
	s_load_b512 s[4:19], s[0:1], 0x50
	s_load_b512 s[36:51], s[0:1], 0x10
	s_load_b64 s[20:21], s[0:1], 0x90
	s_mov_b32 s22, ttmp9
	s_ashr_i32 s23, ttmp9, 31
	s_lshl_b32 s25, ttmp7, 6
	v_lshl_add_u32 v10, v2, 4, v1
	s_lshl_b64 s[0:1], s[22:23], 6
	s_and_b32 s22, s25, 0x3fffc0
	v_lshl_add_u32 v208, v2, 6, 0x1000
	v_add_nc_u32_e32 v13, s22, v2
	v_lshrrev_b32_e32 v12, 2, v10
	v_and_b32_e32 v14, 63, v10
	v_lshlrev_b32_e32 v255, 4, v1
	s_mov_b32 s3, 0
	s_delay_alu instid0(VALU_DEP_3)
	v_add_co_u32 v2, s22, v12, s22
	s_wait_alu 0xf1ff
	v_add_co_ci_u32_e64 v3, null, 0, 0, s22
	v_add_co_u32 v4, s22, s0, v1
	s_wait_alu 0xf1ff
	v_add_co_ci_u32_e64 v5, null, s1, 0, s22
	s_wait_kmcnt 0x0
	v_mad_co_u64_u32 v[16:17], null, v13, s18, 0
	v_and_b32_e32 v0, 3, v0
	v_or_b32_e32 v1, s0, v14
	scratch_store_b64 off, v[4:5], off offset:344 ; 8-byte Folded Spill
	v_mad_co_u64_u32 v[6:7], null, v13, s12, 0
	v_mad_co_u64_u32 v[4:5], null, s50, v0, v[2:3]
	v_mul_lo_u32 v2, s45, v1
	v_mad_co_u64_u32 v[8:9], null, s44, v1, 0
	v_mov_b32_e32 v3, v17
	v_lshlrev_b32_e32 v11, 4, v0
	v_cmp_eq_f64_e64 s23, s[6:7], 0
	v_cmp_eq_f64_e64 s25, s[8:9], 0
	v_lshrrev_b32_e32 v1, 6, v10
	s_mul_i32 s0, s44, s1
	v_lshl_or_b32 v15, v12, 6, v11
	v_mad_co_u64_u32 v[10:11], null, s51, v0, v[5:6]
	s_wait_alu 0xfffe
	v_add3_u32 v9, v9, s0, v2
	v_mad_co_u64_u32 v[11:12], null, v13, s19, v[3:4]
	v_mad_co_u64_u32 v[12:13], null, v13, s13, v[7:8]
	s_delay_alu instid0(VALU_DEP_3) | instskip(SKIP_2) | instid1(VALU_DEP_4)
	v_lshlrev_b64_e32 v[7:8], 4, v[8:9]
	v_dual_mov_b32 v5, v10 :: v_dual_lshlrev_b32 v14, 4, v14
	s_lshl_b64 s[0:1], s[46:47], 4
	v_dual_mov_b32 v17, v11 :: v_dual_add_nc_u32 v140, 0x1000, v15
	s_wait_alu 0xfffe
	s_delay_alu instid0(VALU_DEP_3)
	v_add_co_u32 v0, vcc_lo, v7, s0
	v_lshl_or_b32 v139, v1, 10, v14
	v_lshlrev_b32_e32 v1, 4, v1
	v_add_co_ci_u32_e64 v2, null, s1, v8, vcc_lo
	v_lshlrev_b64_e32 v[4:5], 4, v[4:5]
	s_lshl_b64 s[0:1], s[4:5], 4
	s_delay_alu instid0(VALU_DEP_3)
	v_add_co_u32 v0, vcc_lo, v0, v1
	s_wait_alu 0xfffd
	v_add_co_ci_u32_e64 v1, null, 0, v2, vcc_lo
	v_cmp_gt_i64_e64 s4, s[36:37], 0
	scratch_store_b64 off, v[16:17], off offset:352 ; 8-byte Folded Spill
	v_or_b32_e32 v0, 8, v0
	scratch_store_b32 off, v1, off offset:360 ; 4-byte Folded Spill
	s_wait_alu 0xfffe
	v_add_co_u32 v1, vcc_lo, s0, v4
	v_mov_b32_e32 v7, v12
	scratch_store_b32 off, v0, off offset:364 ; 4-byte Folded Spill
	v_cndmask_b32_e64 v0, 0, 1, s4
	scratch_store_b32 off, v1, off offset:368 ; 4-byte Folded Spill
	s_wait_alu 0xfffd
	v_add_co_ci_u32_e64 v1, null, s1, v5, vcc_lo
	s_and_b32 s25, s23, s25
	v_cmp_ne_u32_e64 s0, 1, v0
	s_lshl_b64 s[22:23], s[18:19], 4
	scratch_store_b32 off, v1, off offset:372 ; 4-byte Folded Spill
	v_lshlrev_b64_e32 v[0:1], 4, v[6:7]
	s_lshl_b64 s[18:19], s[12:13], 4
	s_lshl_b64 s[4:5], s[50:51], 6
	;; [unrolled: 1-line block ×4, first 2 shown]
	s_wait_alu 0xfffe
	s_lshl_b64 s[18:19], s[18:19], 4
	s_lshl_b64 s[20:21], s[22:23], 4
	s_clause 0x2
	scratch_store_b64 off, v[0:1], off offset:376
	scratch_store_b32 off, v139, off offset:320
	scratch_store_b32 off, v140, off offset:324
	s_branch .LBB269_3
.LBB269_2:                              ;   in Loop: Header=BB269_3 Depth=1
	s_add_co_i32 s2, s2, 0x10000
	flat_store_b64 v[74:75], v[72:73] offset:8
	s_cmp_lt_i32 s2, s24
	s_cbranch_scc0 .LBB269_12
.LBB269_3:                              ; =>This Loop Header: Depth=1
                                        ;     Child Loop BB269_5 Depth 2
	s_lshl_b64 s[22:23], s[2:3], 3
	s_and_b32 vcc_lo, exec_lo, s0
	s_wait_alu 0xfffe
	s_add_nc_u64 s[26:27], s[10:11], s[22:23]
	s_add_nc_u64 s[28:29], s[16:17], s[22:23]
	s_clause 0x1
	global_load_b64 v[167:168], v138, s[26:27]
	global_load_b64 v[36:37], v138, s[28:29]
	s_cbranch_vccnz .LBB269_7
; %bb.4:                                ;   in Loop: Header=BB269_3 Depth=1
	v_mov_b32_e32 v38, 0
	v_dual_mov_b32 v39, 0 :: v_dual_mov_b32 v0, 0
	v_mov_b32_e32 v1, 0
	s_wait_loadcnt 0x0
	s_clause 0x1
	scratch_store_b64 off, v[36:37], off offset:336
	scratch_store_b64 off, v[167:168], off offset:328
	v_mov_b32_e32 v153, 0
	v_mov_b32_e32 v154, 0
	;; [unrolled: 1-line block ×3, first 2 shown]
	scratch_store_b64 off, v[0:1], off      ; 8-byte Folded Spill
	v_mov_b32_e32 v0, 0
	v_mov_b32_e32 v1, 0
	;; [unrolled: 1-line block ×3, first 2 shown]
	s_add_nc_u64 s[26:27], s[42:43], s[22:23]
	s_add_nc_u64 s[22:23], s[48:49], s[22:23]
	s_clause 0x1
	global_load_b64 v[74:75], v138, s[26:27]
	global_load_b64 v[76:77], v138, s[22:23]
	scratch_store_b64 off, v[0:1], off offset:8 ; 8-byte Folded Spill
	v_mov_b32_e32 v0, 0
	v_mov_b32_e32 v1, 0
	;; [unrolled: 1-line block ×3, first 2 shown]
	v_dual_mov_b32 v253, 0 :: v_dual_mov_b32 v46, 0
	v_mov_b32_e32 v42, 0
	scratch_store_b64 off, v[0:1], off offset:16 ; 8-byte Folded Spill
	scratch_load_b32 v0, off, off offset:364 ; 4-byte Folded Reload
	v_mov_b32_e32 v26, 0
	v_mov_b32_e32 v22, 0
	;; [unrolled: 1-line block ×6, first 2 shown]
	v_dual_mov_b32 v142, 0 :: v_dual_mov_b32 v211, 0
	v_dual_mov_b32 v254, 0 :: v_dual_mov_b32 v183, 0
	;; [unrolled: 1-line block ×14, first 2 shown]
	v_mov_b32_e32 v41, 0
	v_mov_b32_e32 v25, 0
	;; [unrolled: 1-line block ×7, first 2 shown]
	v_dual_mov_b32 v3, 0 :: v_dual_mov_b32 v252, 0
	v_dual_mov_b32 v207, 0 :: v_dual_mov_b32 v188, 0
	v_mov_b32_e32 v186, 0
	s_mov_b64 s[22:23], 0
	s_wait_loadcnt 0x0
	v_add_co_u32 v213, vcc_lo, v74, v0
	scratch_load_b32 v0, off, off offset:360 ; 4-byte Folded Reload
	s_wait_loadcnt 0x0
	s_wait_alu 0xfffd
	v_add_co_ci_u32_e64 v214, null, v75, v0, vcc_lo
	scratch_load_b32 v0, off, off offset:368 ; 4-byte Folded Reload
	s_wait_loadcnt 0x0
	v_add_co_u32 v76, vcc_lo, v76, v0
	scratch_load_b32 v0, off, off offset:372 ; 4-byte Folded Reload
	s_wait_loadcnt 0x0
	s_wait_alu 0xfffd
	v_add_co_ci_u32_e64 v77, null, v77, v0, vcc_lo
	v_mov_b32_e32 v0, 0
	v_mov_b32_e32 v1, 0
.LBB269_5:                              ;   Parent Loop BB269_3 Depth=1
                                        ; =>  This Inner Loop Header: Depth=2
	flat_load_b128 v[78:81], v[213:214] offset:-8
	flat_load_b128 v[82:85], v[76:77]
	scratch_store_b64 off, v[141:142], off offset:24 ; 8-byte Folded Spill
	v_dual_mov_b32 v36, v153 :: v_dual_mov_b32 v37, v154
	v_dual_mov_b32 v74, v183 :: v_dual_mov_b32 v75, v184
	s_wait_alu 0xfffe
	s_add_nc_u64 s[22:23], s[22:23], 4
	v_add_co_u32 v213, s1, v213, 64
	s_wait_alu 0xf1ff
	v_add_co_ci_u32_e64 v214, null, 0, v214, s1
	s_wait_alu 0xfffe
	v_cmp_lt_i64_e64 s1, s[22:23], s[36:37]
	v_add_co_u32 v76, vcc_lo, v76, s4
	s_wait_alu 0xfffd
	v_add_co_ci_u32_e64 v77, null, s5, v77, vcc_lo
	s_and_b32 vcc_lo, exec_lo, s1
	s_wait_loadcnt_dscnt 0x101
	v_xor_b32_e32 v81, 0x80000000, v81
	s_wait_loadcnt_dscnt 0x0
	ds_store_2addr_b64 v140, v[82:83], v[84:85] offset1:1
	ds_store_b128 v139, v[78:81]
	s_wait_storecnt_dscnt 0x0
	s_barrier_signal -1
	s_barrier_wait -1
	global_inv scope:SCOPE_SE
	ds_load_b128 v[92:95], v208
	ds_load_b128 v[128:131], v255
	ds_load_b128 v[132:135], v255 offset:256
	ds_load_b128 v[156:159], v208 offset:16
	s_wait_dscnt 0x2
	v_mul_f64_e32 v[78:79], v[94:95], v[130:131]
	v_mul_f64_e32 v[80:81], v[92:93], v[130:131]
	s_wait_dscnt 0x1
	v_mul_f64_e32 v[82:83], v[94:95], v[134:135]
	v_mul_f64_e32 v[84:85], v[92:93], v[134:135]
	s_delay_alu instid0(VALU_DEP_4)
	v_fma_f64 v[28:29], v[92:93], v[128:129], -v[78:79]
	scratch_store_b64 off, v[28:29], off offset:32 ; 8-byte Folded Spill
	v_fma_f64 v[28:29], v[94:95], v[128:129], v[80:81]
	scratch_store_b64 off, v[28:29], off offset:40 ; 8-byte Folded Spill
	v_fma_f64 v[28:29], v[92:93], v[132:133], -v[82:83]
	scratch_store_b64 off, v[28:29], off offset:48 ; 8-byte Folded Spill
	v_fma_f64 v[28:29], v[94:95], v[132:133], v[84:85]
	scratch_store_b64 off, v[28:29], off offset:56 ; 8-byte Folded Spill
	ds_load_b128 v[136:139], v255 offset:512
	ds_load_b128 v[140:143], v255 offset:768
	s_wait_dscnt 0x1
	v_mul_f64_e32 v[86:87], v[94:95], v[138:139]
	v_mul_f64_e32 v[88:89], v[92:93], v[138:139]
	s_wait_dscnt 0x0
	v_mul_f64_e32 v[90:91], v[94:95], v[142:143]
	s_delay_alu instid0(VALU_DEP_3)
	v_fma_f64 v[28:29], v[92:93], v[136:137], -v[86:87]
	scratch_store_b64 off, v[28:29], off offset:64 ; 8-byte Folded Spill
	v_fma_f64 v[28:29], v[94:95], v[136:137], v[88:89]
	scratch_store_b64 off, v[28:29], off offset:72 ; 8-byte Folded Spill
	v_fma_f64 v[28:29], v[92:93], v[140:141], -v[90:91]
	v_mul_f64_e32 v[92:93], v[92:93], v[142:143]
	scratch_store_b64 off, v[28:29], off offset:80 ; 8-byte Folded Spill
	v_fma_f64 v[28:29], v[94:95], v[140:141], v[92:93]
	scratch_store_b64 off, v[28:29], off offset:88 ; 8-byte Folded Spill
	ds_load_b128 v[108:111], v208 offset:1024
	ds_load_b128 v[172:175], v208 offset:1040
	;; [unrolled: 1-line block ×3, first 2 shown]
	s_wait_dscnt 0x2
	v_mul_f64_e32 v[94:95], v[110:111], v[130:131]
	v_mul_f64_e32 v[96:97], v[108:109], v[130:131]
	;; [unrolled: 1-line block ×7, first 2 shown]
	v_fma_f64 v[28:29], v[108:109], v[128:129], -v[94:95]
	scratch_store_b64 off, v[28:29], off offset:96 ; 8-byte Folded Spill
	v_fma_f64 v[28:29], v[110:111], v[128:129], v[96:97]
	scratch_store_b64 off, v[28:29], off offset:104 ; 8-byte Folded Spill
	v_fma_f64 v[28:29], v[108:109], v[132:133], -v[98:99]
	scratch_store_b64 off, v[28:29], off offset:112 ; 8-byte Folded Spill
	v_fma_f64 v[28:29], v[110:111], v[132:133], v[100:101]
	scratch_store_b64 off, v[28:29], off offset:120 ; 8-byte Folded Spill
	;; [unrolled: 4-line block ×3, first 2 shown]
	v_fma_f64 v[28:29], v[108:109], v[140:141], -v[106:107]
	v_mul_f64_e32 v[108:109], v[108:109], v[142:143]
	scratch_store_b64 off, v[28:29], off offset:144 ; 8-byte Folded Spill
	v_fma_f64 v[28:29], v[110:111], v[140:141], v[108:109]
	scratch_store_b64 off, v[28:29], off offset:152 ; 8-byte Folded Spill
	v_dual_mov_b32 v28, v187 :: v_dual_mov_b32 v29, v188
	ds_load_b128 v[188:191], v208 offset:2064
	s_wait_dscnt 0x1
	v_mul_f64_e32 v[110:111], v[126:127], v[130:131]
	v_mul_f64_e32 v[112:113], v[124:125], v[130:131]
	;; [unrolled: 1-line block ×7, first 2 shown]
	v_fma_f64 v[32:33], v[124:125], v[128:129], -v[110:111]
	scratch_store_b64 off, v[32:33], off offset:160 ; 8-byte Folded Spill
	v_fma_f64 v[32:33], v[126:127], v[128:129], v[112:113]
	scratch_store_b64 off, v[32:33], off offset:168 ; 8-byte Folded Spill
	v_fma_f64 v[32:33], v[124:125], v[132:133], -v[114:115]
	scratch_store_b64 off, v[32:33], off offset:176 ; 8-byte Folded Spill
	v_fma_f64 v[32:33], v[126:127], v[132:133], v[116:117]
	scratch_store_b64 off, v[32:33], off offset:184 ; 8-byte Folded Spill
	;; [unrolled: 4-line block ×3, first 2 shown]
	v_fma_f64 v[32:33], v[124:125], v[140:141], -v[122:123]
	v_mul_f64_e32 v[124:125], v[124:125], v[142:143]
	scratch_store_b64 off, v[32:33], off offset:208 ; 8-byte Folded Spill
	v_fma_f64 v[32:33], v[126:127], v[140:141], v[124:125]
	scratch_store_b64 off, v[32:33], off offset:216 ; 8-byte Folded Spill
	ds_load_b128 v[144:147], v208 offset:3072
	ds_load_b128 v[215:218], v208 offset:3088
	s_wait_dscnt 0x1
	v_mul_f64_e32 v[126:127], v[146:147], v[130:131]
	v_mul_f64_e32 v[130:131], v[144:145], v[130:131]
	s_delay_alu instid0(VALU_DEP_2)
	v_fma_f64 v[32:33], v[144:145], v[128:129], -v[126:127]
	scratch_store_b64 off, v[32:33], off offset:224 ; 8-byte Folded Spill
	v_fma_f64 v[32:33], v[146:147], v[128:129], v[130:131]
	v_mul_f64_e32 v[130:131], v[146:147], v[134:135]
	v_mul_f64_e32 v[134:135], v[144:145], v[134:135]
	scratch_store_b64 off, v[32:33], off offset:232 ; 8-byte Folded Spill
	v_fma_f64 v[32:33], v[144:145], v[132:133], -v[130:131]
	scratch_store_b64 off, v[32:33], off offset:240 ; 8-byte Folded Spill
	v_fma_f64 v[32:33], v[146:147], v[132:133], v[134:135]
	v_mul_f64_e32 v[134:135], v[146:147], v[138:139]
	v_mul_f64_e32 v[138:139], v[144:145], v[138:139]
	scratch_store_b64 off, v[32:33], off offset:248 ; 8-byte Folded Spill
	;; [unrolled: 6-line block ×3, first 2 shown]
	v_fma_f64 v[32:33], v[144:145], v[140:141], -v[138:139]
	scratch_store_b64 off, v[32:33], off offset:272 ; 8-byte Folded Spill
	v_fma_f64 v[32:33], v[146:147], v[140:141], v[142:143]
	scratch_store_b64 off, v[32:33], off offset:280 ; 8-byte Folded Spill
	ds_load_b128 v[192:195], v255 offset:1024
	ds_load_b128 v[196:199], v255 offset:1280
	s_wait_dscnt 0x1
	v_mul_f64_e32 v[142:143], v[158:159], v[194:195]
	v_mul_f64_e32 v[144:145], v[156:157], v[194:195]
	s_wait_dscnt 0x0
	v_mul_f64_e32 v[146:147], v[158:159], v[198:199]
	v_mul_f64_e32 v[148:149], v[156:157], v[198:199]
	;; [unrolled: 1-line block ×8, first 2 shown]
	v_fma_f64 v[32:33], v[156:157], v[192:193], -v[142:143]
	v_fma_f64 v[162:163], v[172:173], v[196:197], -v[162:163]
	v_fma_f64 v[160:161], v[174:175], v[192:193], v[160:161]
	v_fma_f64 v[164:165], v[174:175], v[196:197], v[164:165]
	v_fma_f64 v[178:179], v[188:189], v[196:197], -v[178:179]
	v_fma_f64 v[176:177], v[190:191], v[192:193], v[176:177]
	v_fma_f64 v[180:181], v[190:191], v[196:197], v[180:181]
	scratch_store_b64 off, v[32:33], off offset:288 ; 8-byte Folded Spill
	v_fma_f64 v[32:33], v[158:159], v[192:193], v[144:145]
	scratch_store_b64 off, v[32:33], off offset:296 ; 8-byte Folded Spill
	v_fma_f64 v[32:33], v[156:157], v[196:197], -v[146:147]
	scratch_store_b64 off, v[32:33], off offset:304 ; 8-byte Folded Spill
	v_fma_f64 v[32:33], v[158:159], v[196:197], v[148:149]
	scratch_store_b64 off, v[32:33], off offset:312 ; 8-byte Folded Spill
	ds_load_b128 v[200:203], v255 offset:1536
	ds_load_b128 v[219:222], v255 offset:1792
	v_dual_mov_b32 v32, v185 :: v_dual_mov_b32 v33, v186
	s_wait_dscnt 0x1
	v_mul_f64_e32 v[150:151], v[158:159], v[202:203]
	s_wait_dscnt 0x0
	v_mul_f64_e32 v[154:155], v[158:159], v[221:222]
	v_mul_f64_e32 v[152:153], v[156:157], v[202:203]
	;; [unrolled: 1-line block ×9, first 2 shown]
	v_fma_f64 v[150:151], v[156:157], v[200:201], -v[150:151]
	v_fma_f64 v[154:155], v[156:157], v[219:220], -v[154:155]
	v_mul_f64_e32 v[156:157], v[156:157], v[221:222]
	v_fma_f64 v[152:153], v[158:159], v[200:201], v[152:153]
	v_fma_f64 v[166:167], v[172:173], v[200:201], -v[166:167]
	v_fma_f64 v[170:171], v[172:173], v[219:220], -v[170:171]
	v_fma_f64 v[168:169], v[174:175], v[200:201], v[168:169]
	v_fma_f64 v[182:183], v[188:189], v[200:201], -v[182:183]
	v_fma_f64 v[186:187], v[188:189], v[219:220], -v[186:187]
	v_fma_f64 v[184:185], v[190:191], v[200:201], v[184:185]
	v_fma_f64 v[204:205], v[217:218], v[219:220], v[204:205]
	;; [unrolled: 1-line block ×3, first 2 shown]
	v_mul_f64_e32 v[158:159], v[174:175], v[194:195]
	s_delay_alu instid0(VALU_DEP_1) | instskip(SKIP_1) | instid1(VALU_DEP_1)
	v_fma_f64 v[158:159], v[172:173], v[192:193], -v[158:159]
	v_mul_f64_e32 v[172:173], v[172:173], v[221:222]
	v_fma_f64 v[172:173], v[174:175], v[219:220], v[172:173]
	v_mul_f64_e32 v[174:175], v[190:191], v[194:195]
	s_delay_alu instid0(VALU_DEP_1) | instskip(SKIP_1) | instid1(VALU_DEP_1)
	v_fma_f64 v[174:175], v[188:189], v[192:193], -v[174:175]
	v_mul_f64_e32 v[188:189], v[188:189], v[221:222]
	v_fma_f64 v[188:189], v[190:191], v[219:220], v[188:189]
	v_mul_f64_e32 v[190:191], v[217:218], v[194:195]
	v_mul_f64_e32 v[194:195], v[215:216], v[194:195]
	s_delay_alu instid0(VALU_DEP_2) | instskip(NEXT) | instid1(VALU_DEP_2)
	v_fma_f64 v[190:191], v[215:216], v[192:193], -v[190:191]
	v_fma_f64 v[192:193], v[217:218], v[192:193], v[194:195]
	v_mul_f64_e32 v[194:195], v[217:218], v[198:199]
	v_mul_f64_e32 v[198:199], v[215:216], v[198:199]
	s_delay_alu instid0(VALU_DEP_2) | instskip(NEXT) | instid1(VALU_DEP_2)
	v_fma_f64 v[194:195], v[215:216], v[196:197], -v[194:195]
	;; [unrolled: 5-line block ×3, first 2 shown]
	v_fma_f64 v[200:201], v[217:218], v[200:201], v[202:203]
	v_mul_f64_e32 v[202:203], v[217:218], v[221:222]
	s_delay_alu instid0(VALU_DEP_1)
	v_fma_f64 v[202:203], v[215:216], v[219:220], -v[202:203]
	ds_load_b128 v[215:218], v208 offset:32
	ds_load_b128 v[219:222], v255 offset:2048
	;; [unrolled: 1-line block ×4, first 2 shown]
	s_wait_dscnt 0x2
	v_mul_f64_e32 v[231:232], v[217:218], v[221:222]
	s_delay_alu instid0(VALU_DEP_1) | instskip(SKIP_1) | instid1(VALU_DEP_1)
	v_fma_f64 v[146:147], v[215:216], v[219:220], -v[231:232]
	v_mul_f64_e32 v[231:232], v[215:216], v[221:222]
	v_fma_f64 v[144:145], v[217:218], v[219:220], v[231:232]
	s_wait_dscnt 0x1
	v_mul_f64_e32 v[231:232], v[217:218], v[225:226]
	s_delay_alu instid0(VALU_DEP_1) | instskip(SKIP_1) | instid1(VALU_DEP_1)
	v_fma_f64 v[142:143], v[215:216], v[223:224], -v[231:232]
	v_mul_f64_e32 v[231:232], v[215:216], v[225:226]
	v_fma_f64 v[140:141], v[217:218], v[223:224], v[231:232]
	ds_load_b128 v[231:234], v255 offset:2560
	ds_load_b128 v[235:238], v255 offset:2816
	s_wait_dscnt 0x1
	v_mul_f64_e32 v[239:240], v[217:218], v[233:234]
	s_delay_alu instid0(VALU_DEP_1) | instskip(SKIP_1) | instid1(VALU_DEP_1)
	v_fma_f64 v[138:139], v[215:216], v[231:232], -v[239:240]
	v_mul_f64_e32 v[239:240], v[215:216], v[233:234]
	v_fma_f64 v[136:137], v[217:218], v[231:232], v[239:240]
	s_wait_dscnt 0x0
	v_mul_f64_e32 v[239:240], v[217:218], v[237:238]
	s_delay_alu instid0(VALU_DEP_1) | instskip(SKIP_1) | instid1(VALU_DEP_1)
	v_fma_f64 v[134:135], v[215:216], v[235:236], -v[239:240]
	v_mul_f64_e32 v[215:216], v[215:216], v[237:238]
	v_fma_f64 v[132:133], v[217:218], v[235:236], v[215:216]
	ds_load_b128 v[215:218], v208 offset:1056
	ds_load_b128 v[239:242], v208 offset:1072
	s_wait_dscnt 0x1
	v_mul_f64_e32 v[243:244], v[217:218], v[221:222]
	s_delay_alu instid0(VALU_DEP_1) | instskip(SKIP_1) | instid1(VALU_DEP_1)
	v_fma_f64 v[130:131], v[215:216], v[219:220], -v[243:244]
	v_mul_f64_e32 v[243:244], v[215:216], v[221:222]
	v_fma_f64 v[209:210], v[217:218], v[219:220], v[243:244]
	v_mul_f64_e32 v[243:244], v[217:218], v[225:226]
	s_delay_alu instid0(VALU_DEP_1) | instskip(SKIP_1) | instid1(VALU_DEP_1)
	v_fma_f64 v[128:129], v[215:216], v[223:224], -v[243:244]
	v_mul_f64_e32 v[243:244], v[215:216], v[225:226]
	v_fma_f64 v[126:127], v[217:218], v[223:224], v[243:244]
	;; [unrolled: 5-line block ×4, first 2 shown]
	ds_load_b128 v[215:218], v208 offset:2080
	ds_load_b128 v[243:246], v208 offset:2096
	s_wait_dscnt 0x1
	v_mul_f64_e32 v[247:248], v[217:218], v[221:222]
	s_delay_alu instid0(VALU_DEP_1) | instskip(SKIP_1) | instid1(VALU_DEP_1)
	v_fma_f64 v[116:117], v[215:216], v[219:220], -v[247:248]
	v_mul_f64_e32 v[247:248], v[215:216], v[221:222]
	v_fma_f64 v[114:115], v[217:218], v[219:220], v[247:248]
	v_mul_f64_e32 v[247:248], v[217:218], v[225:226]
	s_delay_alu instid0(VALU_DEP_1) | instskip(SKIP_1) | instid1(VALU_DEP_1)
	v_fma_f64 v[112:113], v[215:216], v[223:224], -v[247:248]
	v_mul_f64_e32 v[247:248], v[215:216], v[225:226]
	v_fma_f64 v[110:111], v[217:218], v[223:224], v[247:248]
	;; [unrolled: 5-line block ×4, first 2 shown]
	ds_load_b128 v[215:218], v208 offset:3104
	ds_load_b128 v[247:250], v208 offset:3120
	s_wait_dscnt 0x1
	v_mul_f64_e32 v[34:35], v[217:218], v[221:222]
	v_mul_f64_e32 v[221:222], v[215:216], v[221:222]
	s_delay_alu instid0(VALU_DEP_2) | instskip(NEXT) | instid1(VALU_DEP_2)
	v_fma_f64 v[100:101], v[215:216], v[219:220], -v[34:35]
	v_fma_f64 v[98:99], v[217:218], v[219:220], v[221:222]
	v_mul_f64_e32 v[219:220], v[217:218], v[225:226]
	s_delay_alu instid0(VALU_DEP_1) | instskip(SKIP_1) | instid1(VALU_DEP_1)
	v_fma_f64 v[96:97], v[215:216], v[223:224], -v[219:220]
	v_mul_f64_e32 v[219:220], v[215:216], v[225:226]
	v_fma_f64 v[94:95], v[217:218], v[223:224], v[219:220]
	v_mul_f64_e32 v[219:220], v[217:218], v[233:234]
	s_delay_alu instid0(VALU_DEP_1) | instskip(SKIP_1) | instid1(VALU_DEP_1)
	v_fma_f64 v[92:93], v[215:216], v[231:232], -v[219:220]
	v_mul_f64_e32 v[219:220], v[215:216], v[233:234]
	;; [unrolled: 5-line block ×3, first 2 shown]
	v_fma_f64 v[235:236], v[217:218], v[235:236], v[215:216]
	ds_load_b128 v[215:218], v255 offset:3072
	ds_load_b128 v[219:222], v255 offset:3328
	s_wait_dscnt 0x1
	v_mul_f64_e32 v[223:224], v[229:230], v[217:218]
	s_wait_dscnt 0x0
	v_mul_f64_e32 v[64:65], v[241:242], v[221:222]
	v_mul_f64_e32 v[62:63], v[239:240], v[217:218]
	;; [unrolled: 1-line block ×6, first 2 shown]
	v_fma_f64 v[237:238], v[227:228], v[215:216], -v[223:224]
	v_mul_f64_e32 v[223:224], v[227:228], v[217:218]
	v_fma_f64 v[64:65], v[239:240], v[219:220], -v[64:65]
	v_fma_f64 v[62:63], v[241:242], v[215:216], v[62:63]
	v_fma_f64 v[66:67], v[241:242], v[219:220], v[66:67]
	v_fma_f64 v[82:83], v[243:244], v[219:220], -v[82:83]
	v_fma_f64 v[80:81], v[245:246], v[215:216], v[80:81]
	v_fma_f64 v[84:85], v[245:246], v[219:220], v[84:85]
	;; [unrolled: 1-line block ×3, first 2 shown]
	v_mul_f64_e32 v[223:224], v[229:230], v[221:222]
	s_delay_alu instid0(VALU_DEP_1) | instskip(SKIP_1) | instid1(VALU_DEP_1)
	v_fma_f64 v[52:53], v[227:228], v[219:220], -v[223:224]
	v_mul_f64_e32 v[223:224], v[227:228], v[221:222]
	v_fma_f64 v[54:55], v[229:230], v[219:220], v[223:224]
	ds_load_b128 v[223:226], v255 offset:3584
	ds_load_b128 v[231:234], v255 offset:3840
	scratch_load_b64 v[34:35], off, off offset:32 th:TH_LOAD_LU ; 8-byte Folded Reload
	s_wait_dscnt 0x1
	v_mul_f64_e32 v[56:57], v[229:230], v[225:226]
	s_wait_dscnt 0x0
	v_mul_f64_e32 v[60:61], v[229:230], v[233:234]
	v_mul_f64_e32 v[58:59], v[227:228], v[225:226]
	;; [unrolled: 1-line block ×8, first 2 shown]
	v_fma_f64 v[56:57], v[227:228], v[223:224], -v[56:57]
	v_fma_f64 v[60:61], v[227:228], v[231:232], -v[60:61]
	v_mul_f64_e32 v[227:228], v[227:228], v[233:234]
	v_fma_f64 v[58:59], v[229:230], v[223:224], v[58:59]
	v_fma_f64 v[68:69], v[239:240], v[223:224], -v[68:69]
	v_fma_f64 v[78:79], v[239:240], v[231:232], -v[78:79]
	v_fma_f64 v[70:71], v[241:242], v[223:224], v[70:71]
	v_fma_f64 v[86:87], v[243:244], v[223:224], -v[86:87]
	v_fma_f64 v[90:91], v[243:244], v[231:232], -v[90:91]
	v_fma_f64 v[88:89], v[245:246], v[223:224], v[88:89]
	v_fma_f64 v[227:228], v[229:230], v[231:232], v[227:228]
	v_mul_f64_e32 v[229:230], v[241:242], v[217:218]
	s_delay_alu instid0(VALU_DEP_1) | instskip(SKIP_1) | instid1(VALU_DEP_1)
	v_fma_f64 v[229:230], v[239:240], v[215:216], -v[229:230]
	v_mul_f64_e32 v[239:240], v[239:240], v[233:234]
	v_fma_f64 v[239:240], v[241:242], v[231:232], v[239:240]
	v_mul_f64_e32 v[241:242], v[245:246], v[217:218]
	s_delay_alu instid0(VALU_DEP_1) | instskip(SKIP_1) | instid1(VALU_DEP_1)
	v_fma_f64 v[241:242], v[243:244], v[215:216], -v[241:242]
	v_mul_f64_e32 v[243:244], v[243:244], v[233:234]
	v_fma_f64 v[243:244], v[245:246], v[231:232], v[243:244]
	v_mul_f64_e32 v[245:246], v[249:250], v[217:218]
	v_mul_f64_e32 v[217:218], v[247:248], v[217:218]
	s_delay_alu instid0(VALU_DEP_2) | instskip(NEXT) | instid1(VALU_DEP_2)
	v_fma_f64 v[245:246], v[247:248], v[215:216], -v[245:246]
	v_fma_f64 v[215:216], v[249:250], v[215:216], v[217:218]
	v_mul_f64_e32 v[217:218], v[249:250], v[221:222]
	v_mul_f64_e32 v[221:222], v[247:248], v[221:222]
	s_delay_alu instid0(VALU_DEP_2) | instskip(NEXT) | instid1(VALU_DEP_2)
	v_fma_f64 v[217:218], v[247:248], v[219:220], -v[217:218]
	;; [unrolled: 5-line block ×4, first 2 shown]
	v_fma_f64 v[231:232], v[249:250], v[231:232], v[233:234]
	s_wait_loadcnt 0x0
	v_add_f64_e32 v[233:234], v[32:33], v[34:35]
	scratch_load_b64 v[32:33], off, off offset:40 th:TH_LOAD_LU ; 8-byte Folded Reload
	s_wait_loadcnt 0x0
	v_add_f64_e32 v[247:248], v[32:33], v[28:29]
	scratch_load_b64 v[28:29], off, off offset:48 th:TH_LOAD_LU ; 8-byte Folded Reload
	;; [unrolled: 3-line block ×5, first 2 shown]
	v_add_f64_e32 v[0:1], v[0:1], v[150:151]
	s_delay_alu instid0(VALU_DEP_1) | instskip(NEXT) | instid1(VALU_DEP_1)
	v_add_f64_e32 v[0:1], v[0:1], v[138:139]
	v_add_f64_e32 v[0:1], v[0:1], v[56:57]
	s_wait_loadcnt 0x0
	v_add_f64_e32 v[2:3], v[28:29], v[2:3]
	scratch_load_b64 v[28:29], off, off offset:80 th:TH_LOAD_LU ; 8-byte Folded Reload
	v_add_f64_e32 v[2:3], v[152:153], v[2:3]
	s_delay_alu instid0(VALU_DEP_1) | instskip(NEXT) | instid1(VALU_DEP_1)
	v_add_f64_e32 v[2:3], v[136:137], v[2:3]
	v_add_f64_e32 v[2:3], v[58:59], v[2:3]
	s_wait_loadcnt 0x0
	v_add_f64_e32 v[4:5], v[4:5], v[28:29]
	scratch_load_b64 v[28:29], off, off offset:88 th:TH_LOAD_LU ; 8-byte Folded Reload
	;; [unrolled: 7-line block ×12, first 2 shown]
	v_add_f64_e32 v[24:25], v[24:25], v[174:175]
	s_delay_alu instid0(VALU_DEP_1) | instskip(NEXT) | instid1(VALU_DEP_1)
	v_add_f64_e32 v[24:25], v[24:25], v[116:117]
	v_add_f64_e32 v[24:25], v[24:25], v[241:242]
	s_wait_loadcnt 0x0
	v_add_f64_e32 v[26:27], v[28:29], v[26:27]
	s_clause 0x1
	scratch_load_b64 v[28:29], off, off offset:16 th:TH_LOAD_LU
	scratch_load_b64 v[32:33], off, off offset:176 th:TH_LOAD_LU
	v_add_f64_e32 v[26:27], v[176:177], v[26:27]
	s_delay_alu instid0(VALU_DEP_1) | instskip(NEXT) | instid1(VALU_DEP_1)
	v_add_f64_e32 v[26:27], v[114:115], v[26:27]
	v_add_f64_e32 v[26:27], v[80:81], v[26:27]
	s_wait_loadcnt 0x0
	v_add_f64_e32 v[28:29], v[28:29], v[32:33]
	scratch_load_b64 v[32:33], off, off offset:184 th:TH_LOAD_LU ; 8-byte Folded Reload
	v_add_f64_e32 v[28:29], v[28:29], v[178:179]
	s_delay_alu instid0(VALU_DEP_1) | instskip(NEXT) | instid1(VALU_DEP_1)
	v_add_f64_e32 v[28:29], v[28:29], v[112:113]
	v_add_f64_e32 v[28:29], v[28:29], v[82:83]
	s_wait_loadcnt 0x0
	v_add_f64_e32 v[30:31], v[32:33], v[30:31]
	s_clause 0x1
	scratch_load_b64 v[32:33], off, off offset:8 th:TH_LOAD_LU
	scratch_load_b64 v[34:35], off, off offset:192 th:TH_LOAD_LU
	v_add_f64_e32 v[30:31], v[180:181], v[30:31]
	s_delay_alu instid0(VALU_DEP_1) | instskip(NEXT) | instid1(VALU_DEP_1)
	v_add_f64_e32 v[30:31], v[110:111], v[30:31]
	v_add_f64_e32 v[30:31], v[84:85], v[30:31]
	s_wait_loadcnt 0x0
	v_add_f64_e32 v[32:33], v[32:33], v[34:35]
	scratch_load_b64 v[34:35], off, off offset:200 th:TH_LOAD_LU ; 8-byte Folded Reload
	v_add_f64_e32 v[32:33], v[32:33], v[182:183]
	s_delay_alu instid0(VALU_DEP_1) | instskip(NEXT) | instid1(VALU_DEP_1)
	v_add_f64_e32 v[32:33], v[32:33], v[108:109]
	v_add_f64_e32 v[32:33], v[32:33], v[86:87]
	s_wait_loadcnt 0x0
	v_add_f64_e32 v[34:35], v[34:35], v[36:37]
	s_clause 0x1
	scratch_load_b64 v[36:37], off, off th:TH_LOAD_LU
	scratch_load_b64 v[251:252], off, off offset:208 th:TH_LOAD_LU
	v_add_f64_e32 v[34:35], v[184:185], v[34:35]
	s_delay_alu instid0(VALU_DEP_1) | instskip(SKIP_4) | instid1(VALU_DEP_1)
	v_add_f64_e32 v[34:35], v[106:107], v[34:35]
	s_wait_loadcnt 0x0
	v_add_f64_e32 v[36:37], v[36:37], v[251:252]
	scratch_load_b64 v[251:252], off, off offset:216 th:TH_LOAD_LU ; 8-byte Folded Reload
	v_add_f64_e32 v[36:37], v[36:37], v[186:187]
	v_add_f64_e32 v[36:37], v[36:37], v[104:105]
	s_wait_loadcnt 0x0
	v_add_f64_e32 v[38:39], v[251:252], v[38:39]
	scratch_load_b64 v[251:252], off, off offset:224 th:TH_LOAD_LU ; 8-byte Folded Reload
	v_add_f64_e32 v[38:39], v[188:189], v[38:39]
	s_delay_alu instid0(VALU_DEP_1) | instskip(NEXT) | instid1(VALU_DEP_1)
	v_add_f64_e32 v[38:39], v[102:103], v[38:39]
	v_add_f64_e32 v[38:39], v[243:244], v[38:39]
	s_wait_loadcnt 0x0
	v_add_f64_e32 v[40:41], v[40:41], v[251:252]
	scratch_load_b64 v[251:252], off, off offset:232 th:TH_LOAD_LU ; 8-byte Folded Reload
	v_add_f64_e32 v[40:41], v[40:41], v[190:191]
	s_delay_alu instid0(VALU_DEP_1) | instskip(NEXT) | instid1(VALU_DEP_1)
	;; [unrolled: 7-line block ×6, first 2 shown]
	v_add_f64_e32 v[74:75], v[74:75], v[92:93]
	v_add_f64_e32 v[183:184], v[74:75], v[221:222]
	s_wait_loadcnt 0x0
	v_add_f64_e32 v[251:252], v[251:252], v[253:254]
	scratch_load_b64 v[253:254], off, off offset:272 th:TH_LOAD_LU ; 8-byte Folded Reload
	v_add_f64_e32 v[150:151], v[200:201], v[251:252]
	s_delay_alu instid0(VALU_DEP_1)
	v_add_f64_e32 v[72:73], v[72:73], v[150:151]
	s_wait_loadcnt 0x0
	v_add_f64_e32 v[253:254], v[211:212], v[253:254]
	s_clause 0x2
	scratch_load_b64 v[211:212], off, off offset:24 th:TH_LOAD_LU
	scratch_load_b64 v[148:149], off, off offset:280 th:TH_LOAD_LU
	scratch_load_b32 v139, off, off offset:320
	v_add_f64_e32 v[152:153], v[253:254], v[202:203]
	v_add_f64_e32 v[253:254], v[223:224], v[72:73]
	s_delay_alu instid0(VALU_DEP_2)
	v_add_f64_e32 v[50:51], v[152:153], v[50:51]
	s_wait_loadcnt 0x1
	v_add_f64_e32 v[211:212], v[148:149], v[211:212]
	scratch_load_b64 v[148:149], off, off offset:288 th:TH_LOAD_LU ; 8-byte Folded Reload
	v_add_f64_e32 v[154:155], v[204:205], v[211:212]
	v_add_f64_e32 v[211:212], v[50:51], v[225:226]
	s_delay_alu instid0(VALU_DEP_2)
	v_add_f64_e32 v[92:93], v[235:236], v[154:155]
	v_add_f64_e32 v[153:154], v[88:89], v[34:35]
	;; [unrolled: 1-line block ×3, first 2 shown]
	s_clause 0x2
	scratch_store_b64 off, v[28:29], off offset:16
	scratch_store_b64 off, v[32:33], off offset:8
	scratch_store_b64 off, v[34:35], off
	s_wait_loadcnt 0x0
	v_add_f64_e32 v[233:234], v[233:234], v[148:149]
	scratch_load_b64 v[148:149], off, off offset:296 th:TH_LOAD_LU ; 8-byte Folded Reload
	v_add_f64_e32 v[146:147], v[233:234], v[146:147]
	s_delay_alu instid0(VALU_DEP_1) | instskip(SKIP_4) | instid1(VALU_DEP_1)
	v_add_f64_e32 v[185:186], v[146:147], v[237:238]
	s_wait_loadcnt 0x0
	v_add_f64_e32 v[247:248], v[148:149], v[247:248]
	scratch_load_b64 v[148:149], off, off offset:304 th:TH_LOAD_LU ; 8-byte Folded Reload
	v_add_f64_e32 v[144:145], v[144:145], v[247:248]
	v_add_f64_e32 v[187:188], v[48:49], v[144:145]
	s_wait_loadcnt 0x0
	v_add_f64_e32 v[249:250], v[249:250], v[148:149]
	scratch_load_b64 v[148:149], off, off offset:312 th:TH_LOAD_LU ; 8-byte Folded Reload
	v_add_f64_e32 v[142:143], v[249:250], v[142:143]
	s_wait_loadcnt 0x0
	v_add_f64_e32 v[148:149], v[148:149], v[206:207]
	s_delay_alu instid0(VALU_DEP_2) | instskip(NEXT) | instid1(VALU_DEP_2)
	v_add_f64_e32 v[206:207], v[142:143], v[52:53]
	v_add_f64_e32 v[140:141], v[140:141], v[148:149]
	s_delay_alu instid0(VALU_DEP_1)
	v_add_f64_e32 v[251:252], v[54:55], v[140:141]
	scratch_load_b32 v140, off, off offset:324 ; 4-byte Folded Reload
	v_add_f64_e32 v[141:142], v[231:232], v[92:93]
	s_wait_loadcnt 0x0
	s_wait_storecnt 0x0
	s_barrier_signal -1
	s_barrier_wait -1
	global_inv scope:SCOPE_SE
	s_wait_alu 0xfffe
	s_cbranch_vccnz .LBB269_5
; %bb.6:                                ;   in Loop: Header=BB269_3 Depth=1
	s_clause 0x1
	scratch_load_b64 v[167:168], off, off offset:328
	scratch_load_b64 v[36:37], off, off offset:336
	v_mov_b32_e32 v138, 0
	s_branch .LBB269_8
.LBB269_7:                              ;   in Loop: Header=BB269_3 Depth=1
	v_mov_b32_e32 v28, 0
	v_dual_mov_b32 v32, 0 :: v_dual_mov_b32 v153, 0
	v_dual_mov_b32 v34, 0 :: v_dual_mov_b32 v29, 0
	;; [unrolled: 1-line block ×5, first 2 shown]
	v_mov_b32_e32 v0, 0
	v_mov_b32_e32 v4, 0
	;; [unrolled: 1-line block ×8, first 2 shown]
	v_dual_mov_b32 v44, 0 :: v_dual_mov_b32 v183, 0
	v_dual_mov_b32 v211, 0 :: v_dual_mov_b32 v186, 0
	;; [unrolled: 1-line block ×3, first 2 shown]
	v_mov_b32_e32 v251, 0
	v_dual_mov_b32 v1, 0 :: v_dual_mov_b32 v2, 0
	v_dual_mov_b32 v5, 0 :: v_dual_mov_b32 v6, 0
	;; [unrolled: 1-line block ×13, first 2 shown]
	v_mov_b32_e32 v7, 0
	v_mov_b32_e32 v11, 0
	;; [unrolled: 1-line block ×6, first 2 shown]
	s_clause 0x2
	scratch_store_b64 off, v[28:29], off offset:16
	scratch_store_b64 off, v[32:33], off offset:8
	scratch_store_b64 off, v[34:35], off
	v_mov_b32_e32 v31, 0
	v_mov_b32_e32 v39, 0
	;; [unrolled: 1-line block ×3, first 2 shown]
	v_dual_mov_b32 v47, 0 :: v_dual_mov_b32 v254, 0
	v_mov_b32_e32 v142, 0
.LBB269_8:                              ;   in Loop: Header=BB269_3 Depth=1
	s_wait_loadcnt 0x0
	v_add_co_u32 v76, vcc_lo, v36, s12
	v_dual_mov_b32 v160, v23 :: v_dual_mov_b32 v159, v22
	v_dual_mov_b32 v158, v27 :: v_dual_mov_b32 v157, v26
	;; [unrolled: 1-line block ×15, first 2 shown]
	s_wait_alu 0xfffd
	v_add_co_ci_u32_e64 v77, null, s13, v37, vcc_lo
	s_and_not1_b32 vcc_lo, exec_lo, s25
	s_mov_b32 s1, -1
                                        ; implicit-def: $vgpr72_vgpr73
                                        ; implicit-def: $vgpr74_vgpr75
	s_wait_alu 0xfffe
	s_cbranch_vccz .LBB269_10
; %bb.9:                                ;   in Loop: Header=BB269_3 Depth=1
	s_and_not1_b32 vcc_lo, exec_lo, s1
	s_wait_alu 0xfffe
	s_cbranch_vccnz .LBB269_2
	s_branch .LBB269_11
.LBB269_10:                             ;   in Loop: Header=BB269_3 Depth=1
	v_mul_f64_e32 v[0:1], s[40:41], v[187:188]
	v_dual_mov_b32 v10, v179 :: v_dual_mov_b32 v11, v180
	v_dual_mov_b32 v14, v175 :: v_dual_mov_b32 v15, v176
	;; [unrolled: 1-line block ×3, first 2 shown]
	s_delay_alu instid0(VALU_DEP_3) | instskip(SKIP_1) | instid1(VALU_DEP_4)
	v_mul_f64_e32 v[8:9], s[40:41], v[10:11]
	v_mul_f64_e32 v[10:11], s[38:39], v[10:11]
	;; [unrolled: 1-line block ×4, first 2 shown]
	v_dual_mov_b32 v75, v17 :: v_dual_mov_b32 v74, v16
	v_mul_f64_e32 v[16:17], s[40:41], v[18:19]
	v_mul_f64_e32 v[18:19], s[38:39], v[18:19]
	v_dual_mov_b32 v22, v165 :: v_dual_mov_b32 v23, v166
	v_dual_mov_b32 v73, v21 :: v_dual_mov_b32 v72, v20
	s_clause 0x1
	scratch_load_b64 v[32:33], off, off offset:352
	scratch_load_b64 v[34:35], off, off offset:344
	v_mul_f64_e32 v[20:21], s[40:41], v[22:23]
	v_mul_f64_e32 v[22:23], s[38:39], v[22:23]
	;; [unrolled: 1-line block ×5, first 2 shown]
	v_dual_mov_b32 v26, v161 :: v_dual_mov_b32 v27, v162
	v_dual_mov_b32 v42, v155 :: v_dual_mov_b32 v43, v156
	;; [unrolled: 1-line block ×3, first 2 shown]
	s_delay_alu instid0(VALU_DEP_3)
	v_mul_f64_e32 v[24:25], s[40:41], v[26:27]
	v_dual_mov_b32 v38, v157 :: v_dual_mov_b32 v39, v158
	v_dual_mov_b32 v63, v41 :: v_dual_mov_b32 v62, v40
	v_mul_f64_e32 v[40:41], s[40:41], v[42:43]
	v_fma_f64 v[78:79], s[38:39], v[185:186], -v[0:1]
	v_dual_mov_b32 v0, v177 :: v_dual_mov_b32 v1, v178
	v_dual_mov_b32 v54, v149 :: v_dual_mov_b32 v55, v150
	;; [unrolled: 1-line block ×4, first 2 shown]
	s_delay_alu instid0(VALU_DEP_4) | instskip(SKIP_4) | instid1(VALU_DEP_4)
	v_fma_f64 v[88:89], s[40:41], v[0:1], v[10:11]
	v_dual_mov_b32 v10, v173 :: v_dual_mov_b32 v11, v174
	v_mul_f64_e32 v[44:45], s[40:41], v[153:154]
	v_dual_mov_b32 v50, v151 :: v_dual_mov_b32 v51, v152
	v_dual_mov_b32 v60, v147 :: v_dual_mov_b32 v61, v148
	v_fma_f64 v[90:91], s[38:39], v[10:11], -v[12:13]
	v_fma_f64 v[92:93], s[40:41], v[10:11], v[14:15]
	v_dual_mov_b32 v10, v169 :: v_dual_mov_b32 v11, v170
	scratch_load_b64 v[12:13], off, off     ; 8-byte Folded Reload
	v_mul_f64_e32 v[26:27], s[38:39], v[26:27]
	v_mul_f64_e32 v[36:37], s[40:41], v[38:39]
	;; [unrolled: 1-line block ×3, first 2 shown]
	v_fma_f64 v[94:95], s[38:39], v[10:11], -v[16:17]
	v_fma_f64 v[96:97], s[40:41], v[10:11], v[18:19]
	v_dual_mov_b32 v10, v163 :: v_dual_mov_b32 v11, v164
	scratch_load_b64 v[18:19], off, off offset:8 ; 8-byte Folded Reload
	v_mul_f64_e32 v[46:47], s[38:39], v[153:154]
	v_mul_f64_e32 v[52:53], s[40:41], v[54:55]
	;; [unrolled: 1-line block ×3, first 2 shown]
	v_fma_f64 v[100:101], s[40:41], v[10:11], v[22:23]
	scratch_load_b64 v[22:23], off, off offset:16 ; 8-byte Folded Reload
	v_fma_f64 v[80:81], s[40:41], v[185:186], v[2:3]
	v_fma_f64 v[82:83], s[38:39], v[206:207], -v[4:5]
	v_fma_f64 v[86:87], s[38:39], v[0:1], -v[8:9]
	v_mul_f64_e32 v[2:3], s[40:41], v[253:254]
	v_mul_f64_e32 v[4:5], s[38:39], v[253:254]
	;; [unrolled: 1-line block ×9, first 2 shown]
	v_fma_f64 v[84:85], s[40:41], v[206:207], v[6:7]
	v_mul_f64_e32 v[0:1], s[38:39], v[60:61]
	v_mul_f64_e32 v[6:7], s[40:41], v[141:142]
	v_dual_mov_b32 v16, v74 :: v_dual_mov_b32 v17, v75
	v_fma_f64 v[98:99], s[38:39], v[10:11], -v[20:21]
	v_dual_mov_b32 v20, v72 :: v_dual_mov_b32 v21, v73
	s_delay_alu instid0(VALU_DEP_3) | instskip(SKIP_2) | instid1(VALU_DEP_2)
	v_fma_f64 v[102:103], s[38:39], v[16:17], -v[24:25]
	v_dual_mov_b32 v24, v70 :: v_dual_mov_b32 v25, v71
	v_fma_f64 v[104:105], s[40:41], v[16:17], v[26:27]
	v_fma_f64 v[110:111], s[38:39], v[24:25], -v[36:37]
	v_fma_f64 v[112:113], s[40:41], v[24:25], v[38:39]
	v_fma_f64 v[134:135], s[38:39], v[183:184], -v[2:3]
	v_fma_f64 v[136:137], s[40:41], v[183:184], v[4:5]
	v_fma_f64 v[72:73], s[40:41], v[211:212], v[8:9]
	v_fma_f64 v[106:107], s[38:39], v[20:21], -v[28:29]
	v_fma_f64 v[108:109], s[40:41], v[20:21], v[30:31]
	s_wait_loadcnt 0x4
	v_lshlrev_b64_e32 v[32:33], 4, v[32:33]
	s_wait_loadcnt 0x3
	v_lshlrev_b64_e32 v[34:35], 4, v[34:35]
	s_delay_alu instid0(VALU_DEP_2) | instskip(SKIP_1) | instid1(VALU_DEP_3)
	v_add_co_u32 v32, vcc_lo, v76, v32
	s_wait_alu 0xfffd
	v_add_co_ci_u32_e64 v33, null, v77, v33, vcc_lo
	s_delay_alu instid0(VALU_DEP_2) | instskip(SKIP_1) | instid1(VALU_DEP_2)
	v_add_co_u32 v10, vcc_lo, v32, v34
	s_wait_alu 0xfffd
	v_add_co_ci_u32_e64 v11, null, v33, v35, vcc_lo
	v_add_co_u32 v14, vcc_lo, v32, s20
	s_wait_alu 0xfffd
	v_add_co_ci_u32_e64 v15, null, s21, v33, vcc_lo
	s_wait_loadcnt 0x2
	v_fma_f64 v[122:123], s[38:39], v[12:13], -v[48:49]
	v_fma_f64 v[124:125], s[40:41], v[12:13], v[50:51]
	v_add_co_u32 v12, vcc_lo, v14, v34
	s_wait_alu 0xfffd
	v_add_co_ci_u32_e64 v13, null, v15, v35, vcc_lo
	v_add_co_u32 v4, vcc_lo, v14, s20
	s_wait_loadcnt 0x1
	v_fma_f64 v[118:119], s[38:39], v[18:19], -v[44:45]
	v_dual_mov_b32 v44, v58 :: v_dual_mov_b32 v45, v59
	v_fma_f64 v[120:121], s[40:41], v[18:19], v[46:47]
	s_wait_alu 0xfffd
	v_add_co_ci_u32_e64 v5, null, s21, v15, vcc_lo
	s_wait_loadcnt 0x0
	v_fma_f64 v[114:115], s[38:39], v[22:23], -v[40:41]
	v_dual_mov_b32 v40, v62 :: v_dual_mov_b32 v41, v63
	v_fma_f64 v[116:117], s[40:41], v[22:23], v[42:43]
	v_fma_f64 v[130:131], s[38:39], v[44:45], -v[56:57]
	v_fma_f64 v[132:133], s[40:41], v[44:45], v[0:1]
	v_fma_f64 v[0:1], s[38:39], v[211:212], -v[6:7]
	v_fma_f64 v[126:127], s[38:39], v[40:41], -v[52:53]
	v_fma_f64 v[128:129], s[40:41], v[40:41], v[54:55]
	v_add_co_u32 v2, vcc_lo, v4, v34
	s_wait_alu 0xfffd
	v_add_co_ci_u32_e64 v3, null, v5, v35, vcc_lo
	v_add_co_u32 v4, vcc_lo, v4, s20
	s_wait_alu 0xfffd
	v_add_co_ci_u32_e64 v5, null, s21, v5, vcc_lo
	s_clause 0x5
	flat_store_b128 v[10:11], v[78:81]
	flat_store_b128 v[10:11], v[82:85] offset:256
	flat_store_b128 v[10:11], v[86:89] offset:512
	;; [unrolled: 1-line block ×3, first 2 shown]
	flat_store_b128 v[12:13], v[94:97]
	flat_store_b128 v[12:13], v[98:101] offset:256
	v_add_co_u32 v4, vcc_lo, v4, v34
	s_wait_alu 0xfffd
	v_add_co_ci_u32_e64 v5, null, v5, v35, vcc_lo
	s_clause 0x1
	flat_store_b128 v[12:13], v[102:105] offset:512
	flat_store_b128 v[12:13], v[106:109] offset:768
	v_add_co_u32 v74, vcc_lo, 0x300, v4
	s_wait_alu 0xfffd
	v_add_co_ci_u32_e64 v75, null, 0, v5, vcc_lo
	s_clause 0x7
	flat_store_b128 v[2:3], v[110:113]
	flat_store_b128 v[2:3], v[114:117] offset:256
	flat_store_b128 v[2:3], v[118:121] offset:512
	;; [unrolled: 1-line block ×3, first 2 shown]
	flat_store_b128 v[4:5], v[126:129]
	flat_store_b128 v[4:5], v[130:133] offset:256
	flat_store_b128 v[4:5], v[134:137] offset:512
	flat_store_b64 v[4:5], v[0:1] offset:768
	s_cbranch_execnz .LBB269_2
.LBB269_11:                             ;   in Loop: Header=BB269_3 Depth=1
	s_clause 0x2
	scratch_load_b64 v[0:1], off, off offset:344
	scratch_load_b64 v[4:5], off, off offset:376
	scratch_load_b64 v[22:23], off, off offset:16 th:TH_LOAD_LU
	v_add_co_u32 v2, vcc_lo, v167, s14
	s_wait_alu 0xfffd
	v_add_co_ci_u32_e64 v3, null, s15, v168, vcc_lo
	v_mul_f64_e32 v[6:7], s[38:39], v[187:188]
	v_dual_mov_b32 v19, v17 :: v_dual_mov_b32 v18, v16
	s_delay_alu instid0(VALU_DEP_2)
	v_fma_f64 v[6:7], s[40:41], v[185:186], v[6:7]
	s_wait_loadcnt 0x2
	v_lshlrev_b64_e32 v[0:1], 4, v[0:1]
	s_wait_loadcnt 0x1
	v_add_co_u32 v14, vcc_lo, v2, v4
	s_wait_alu 0xfffd
	v_add_co_ci_u32_e64 v15, null, v3, v5, vcc_lo
	v_mul_f64_e32 v[4:5], s[40:41], v[187:188]
	s_delay_alu instid0(VALU_DEP_3) | instskip(SKIP_1) | instid1(VALU_DEP_3)
	v_add_co_u32 v2, vcc_lo, v14, v0
	s_wait_alu 0xfffd
	v_add_co_ci_u32_e64 v3, null, v15, v1, vcc_lo
	flat_load_b128 v[72:75], v[2:3]
	v_fma_f64 v[4:5], s[38:39], v[185:186], -v[4:5]
	s_wait_loadcnt_dscnt 0x0
	v_mul_f64_e32 v[8:9], s[8:9], v[74:75]
	v_mul_f64_e32 v[10:11], s[6:7], v[74:75]
	s_delay_alu instid0(VALU_DEP_2) | instskip(NEXT) | instid1(VALU_DEP_2)
	v_fma_f64 v[8:9], s[6:7], v[72:73], -v[8:9]
	v_fma_f64 v[10:11], s[8:9], v[72:73], v[10:11]
	s_delay_alu instid0(VALU_DEP_2) | instskip(SKIP_4) | instid1(VALU_DEP_2)
	v_add_f64_e32 v[68:69], v[4:5], v[8:9]
	scratch_load_b64 v[4:5], off, off offset:352 ; 8-byte Folded Reload
	v_add_f64_e32 v[70:71], v[6:7], v[10:11]
	v_mul_f64_e32 v[6:7], s[40:41], v[251:252]
	v_mul_f64_e32 v[8:9], s[38:39], v[251:252]
	v_fma_f64 v[6:7], s[38:39], v[206:207], -v[6:7]
	s_delay_alu instid0(VALU_DEP_2) | instskip(SKIP_2) | instid1(VALU_DEP_1)
	v_fma_f64 v[8:9], s[40:41], v[206:207], v[8:9]
	s_wait_loadcnt 0x0
	v_lshlrev_b64_e32 v[4:5], 4, v[4:5]
	v_add_co_u32 v16, vcc_lo, v76, v4
	s_wait_alu 0xfffd
	s_delay_alu instid0(VALU_DEP_2) | instskip(NEXT) | instid1(VALU_DEP_2)
	v_add_co_ci_u32_e64 v17, null, v77, v5, vcc_lo
	v_add_co_u32 v4, vcc_lo, v16, v0
	s_wait_alu 0xfffd
	s_delay_alu instid0(VALU_DEP_2)
	v_add_co_ci_u32_e64 v5, null, v17, v1, vcc_lo
	v_add_co_u32 v14, vcc_lo, v14, s18
	s_wait_alu 0xfffd
	v_add_co_ci_u32_e64 v15, null, s19, v15, vcc_lo
	flat_store_b128 v[4:5], v[68:71]
	flat_load_b128 v[68:71], v[2:3] offset:256
	s_wait_loadcnt_dscnt 0x0
	v_mul_f64_e32 v[10:11], s[8:9], v[70:71]
	v_mul_f64_e32 v[12:13], s[6:7], v[70:71]
	s_delay_alu instid0(VALU_DEP_2) | instskip(NEXT) | instid1(VALU_DEP_2)
	v_fma_f64 v[10:11], s[6:7], v[68:69], -v[10:11]
	v_fma_f64 v[12:13], s[8:9], v[68:69], v[12:13]
	s_delay_alu instid0(VALU_DEP_2) | instskip(NEXT) | instid1(VALU_DEP_2)
	v_add_f64_e32 v[64:65], v[6:7], v[10:11]
	v_add_f64_e32 v[66:67], v[8:9], v[12:13]
	v_mul_f64_e32 v[6:7], s[40:41], v[179:180]
	v_mul_f64_e32 v[8:9], s[38:39], v[179:180]
	flat_store_b128 v[4:5], v[64:67] offset:256
	flat_load_b128 v[64:67], v[2:3] offset:512
	v_fma_f64 v[6:7], s[38:39], v[177:178], -v[6:7]
	v_fma_f64 v[8:9], s[40:41], v[177:178], v[8:9]
	s_wait_loadcnt_dscnt 0x0
	v_mul_f64_e32 v[10:11], s[8:9], v[66:67]
	v_mul_f64_e32 v[12:13], s[6:7], v[66:67]
	s_delay_alu instid0(VALU_DEP_2) | instskip(NEXT) | instid1(VALU_DEP_2)
	v_fma_f64 v[10:11], s[6:7], v[64:65], -v[10:11]
	v_fma_f64 v[12:13], s[8:9], v[64:65], v[12:13]
	s_delay_alu instid0(VALU_DEP_2) | instskip(NEXT) | instid1(VALU_DEP_2)
	v_add_f64_e32 v[60:61], v[6:7], v[10:11]
	v_add_f64_e32 v[62:63], v[8:9], v[12:13]
	v_mul_f64_e32 v[6:7], s[38:39], v[175:176]
	flat_store_b128 v[4:5], v[60:63] offset:512
	flat_load_b128 v[60:63], v[2:3] offset:768
	v_mul_f64_e32 v[2:3], s[40:41], v[175:176]
	v_fma_f64 v[6:7], s[40:41], v[173:174], v[6:7]
	s_delay_alu instid0(VALU_DEP_2) | instskip(SKIP_3) | instid1(VALU_DEP_2)
	v_fma_f64 v[2:3], s[38:39], v[173:174], -v[2:3]
	s_wait_loadcnt_dscnt 0x0
	v_mul_f64_e32 v[8:9], s[8:9], v[62:63]
	v_mul_f64_e32 v[10:11], s[6:7], v[62:63]
	v_fma_f64 v[8:9], s[6:7], v[60:61], -v[8:9]
	s_delay_alu instid0(VALU_DEP_2) | instskip(NEXT) | instid1(VALU_DEP_2)
	v_fma_f64 v[10:11], s[8:9], v[60:61], v[10:11]
	v_add_f64_e32 v[56:57], v[2:3], v[8:9]
	s_delay_alu instid0(VALU_DEP_2)
	v_add_f64_e32 v[58:59], v[6:7], v[10:11]
	v_add_co_u32 v2, vcc_lo, v14, v0
	s_wait_alu 0xfffd
	v_add_co_ci_u32_e64 v3, null, v15, v1, vcc_lo
	v_mul_f64_e32 v[6:7], s[38:39], v[171:172]
	v_add_co_u32 v16, vcc_lo, v16, s20
	s_wait_alu 0xfffd
	v_add_co_ci_u32_e64 v17, null, s21, v17, vcc_lo
	flat_store_b128 v[4:5], v[56:59] offset:768
	flat_load_b128 v[56:59], v[2:3]
	v_mul_f64_e32 v[4:5], s[40:41], v[171:172]
	v_fma_f64 v[6:7], s[40:41], v[169:170], v[6:7]
	s_delay_alu instid0(VALU_DEP_2) | instskip(SKIP_3) | instid1(VALU_DEP_2)
	v_fma_f64 v[4:5], s[38:39], v[169:170], -v[4:5]
	s_wait_loadcnt_dscnt 0x0
	v_mul_f64_e32 v[8:9], s[8:9], v[58:59]
	v_mul_f64_e32 v[10:11], s[6:7], v[58:59]
	v_fma_f64 v[8:9], s[6:7], v[56:57], -v[8:9]
	s_delay_alu instid0(VALU_DEP_2) | instskip(NEXT) | instid1(VALU_DEP_2)
	v_fma_f64 v[10:11], s[8:9], v[56:57], v[10:11]
	v_add_f64_e32 v[50:51], v[4:5], v[8:9]
	s_delay_alu instid0(VALU_DEP_2)
	v_add_f64_e32 v[52:53], v[6:7], v[10:11]
	v_add_co_u32 v4, vcc_lo, v16, v0
	s_wait_alu 0xfffd
	v_add_co_ci_u32_e64 v5, null, v17, v1, vcc_lo
	v_mul_f64_e32 v[6:7], s[40:41], v[165:166]
	v_mul_f64_e32 v[8:9], s[38:39], v[165:166]
	v_add_co_u32 v14, vcc_lo, v14, s18
	s_wait_alu 0xfffd
	v_add_co_ci_u32_e64 v15, null, s19, v15, vcc_lo
	flat_store_b128 v[4:5], v[50:53]
	flat_load_b128 v[50:53], v[2:3] offset:256
	v_fma_f64 v[6:7], s[38:39], v[163:164], -v[6:7]
	v_fma_f64 v[8:9], s[40:41], v[163:164], v[8:9]
	s_wait_loadcnt_dscnt 0x0
	v_mul_f64_e32 v[10:11], s[8:9], v[52:53]
	v_mul_f64_e32 v[12:13], s[6:7], v[52:53]
	s_delay_alu instid0(VALU_DEP_2) | instskip(NEXT) | instid1(VALU_DEP_2)
	v_fma_f64 v[10:11], s[6:7], v[50:51], -v[10:11]
	v_fma_f64 v[12:13], s[8:9], v[50:51], v[12:13]
	s_delay_alu instid0(VALU_DEP_2) | instskip(NEXT) | instid1(VALU_DEP_2)
	v_add_f64_e32 v[46:47], v[6:7], v[10:11]
	v_add_f64_e32 v[48:49], v[8:9], v[12:13]
	v_mul_f64_e32 v[6:7], s[40:41], v[161:162]
	v_mul_f64_e32 v[8:9], s[38:39], v[161:162]
	flat_store_b128 v[4:5], v[46:49] offset:256
	flat_load_b128 v[46:49], v[2:3] offset:512
	v_fma_f64 v[6:7], s[38:39], v[18:19], -v[6:7]
	v_fma_f64 v[8:9], s[40:41], v[18:19], v[8:9]
	v_dual_mov_b32 v18, v40 :: v_dual_mov_b32 v19, v41
	s_wait_loadcnt_dscnt 0x0
	v_mul_f64_e32 v[10:11], s[8:9], v[48:49]
	v_mul_f64_e32 v[12:13], s[6:7], v[48:49]
	s_delay_alu instid0(VALU_DEP_2) | instskip(NEXT) | instid1(VALU_DEP_2)
	v_fma_f64 v[10:11], s[6:7], v[46:47], -v[10:11]
	v_fma_f64 v[12:13], s[8:9], v[46:47], v[12:13]
	v_dual_mov_b32 v47, v45 :: v_dual_mov_b32 v46, v44
	s_delay_alu instid0(VALU_DEP_3) | instskip(NEXT) | instid1(VALU_DEP_3)
	v_add_f64_e32 v[42:43], v[6:7], v[10:11]
	v_add_f64_e32 v[44:45], v[8:9], v[12:13]
	v_mul_f64_e32 v[6:7], s[38:39], v[159:160]
	flat_store_b128 v[4:5], v[42:45] offset:512
	flat_load_b128 v[42:45], v[2:3] offset:768
	v_mul_f64_e32 v[2:3], s[40:41], v[159:160]
	v_fma_f64 v[6:7], s[40:41], v[20:21], v[6:7]
	s_delay_alu instid0(VALU_DEP_2) | instskip(SKIP_4) | instid1(VALU_DEP_2)
	v_fma_f64 v[2:3], s[38:39], v[20:21], -v[2:3]
	scratch_load_b64 v[20:21], off, off th:TH_LOAD_LU ; 8-byte Folded Reload
	s_wait_loadcnt_dscnt 0x100
	v_mul_f64_e32 v[8:9], s[8:9], v[44:45]
	v_mul_f64_e32 v[10:11], s[6:7], v[44:45]
	v_fma_f64 v[8:9], s[6:7], v[42:43], -v[8:9]
	s_delay_alu instid0(VALU_DEP_2) | instskip(NEXT) | instid1(VALU_DEP_2)
	v_fma_f64 v[10:11], s[8:9], v[42:43], v[10:11]
	v_add_f64_e32 v[38:39], v[2:3], v[8:9]
	s_delay_alu instid0(VALU_DEP_2)
	v_add_f64_e32 v[40:41], v[6:7], v[10:11]
	v_add_co_u32 v2, vcc_lo, v14, v0
	s_wait_alu 0xfffd
	v_add_co_ci_u32_e64 v3, null, v15, v1, vcc_lo
	v_mul_f64_e32 v[6:7], s[38:39], v[157:158]
	v_add_co_u32 v16, vcc_lo, v16, s20
	s_wait_alu 0xfffd
	v_add_co_ci_u32_e64 v17, null, s21, v17, vcc_lo
	flat_store_b128 v[4:5], v[38:41] offset:768
	flat_load_b128 v[38:41], v[2:3]
	v_mul_f64_e32 v[4:5], s[40:41], v[157:158]
	v_fma_f64 v[6:7], s[40:41], v[24:25], v[6:7]
	s_delay_alu instid0(VALU_DEP_2) | instskip(SKIP_3) | instid1(VALU_DEP_2)
	v_fma_f64 v[4:5], s[38:39], v[24:25], -v[4:5]
	s_wait_loadcnt_dscnt 0x0
	v_mul_f64_e32 v[8:9], s[8:9], v[40:41]
	v_mul_f64_e32 v[10:11], s[6:7], v[40:41]
	v_fma_f64 v[8:9], s[6:7], v[38:39], -v[8:9]
	s_delay_alu instid0(VALU_DEP_2) | instskip(NEXT) | instid1(VALU_DEP_2)
	v_fma_f64 v[10:11], s[8:9], v[38:39], v[10:11]
	v_add_f64_e32 v[34:35], v[4:5], v[8:9]
	s_delay_alu instid0(VALU_DEP_2)
	v_add_f64_e32 v[36:37], v[6:7], v[10:11]
	v_add_co_u32 v4, vcc_lo, v16, v0
	s_wait_alu 0xfffd
	v_add_co_ci_u32_e64 v5, null, v17, v1, vcc_lo
	v_mul_f64_e32 v[6:7], s[40:41], v[155:156]
	v_mul_f64_e32 v[8:9], s[38:39], v[155:156]
	flat_store_b128 v[4:5], v[34:37]
	flat_load_b128 v[34:37], v[2:3] offset:256
	v_fma_f64 v[6:7], s[38:39], v[22:23], -v[6:7]
	v_fma_f64 v[8:9], s[40:41], v[22:23], v[8:9]
	scratch_load_b64 v[22:23], off, off offset:8 th:TH_LOAD_LU ; 8-byte Folded Reload
	s_wait_loadcnt_dscnt 0x100
	v_mul_f64_e32 v[10:11], s[8:9], v[36:37]
	v_mul_f64_e32 v[12:13], s[6:7], v[36:37]
	s_delay_alu instid0(VALU_DEP_2) | instskip(NEXT) | instid1(VALU_DEP_2)
	v_fma_f64 v[10:11], s[6:7], v[34:35], -v[10:11]
	v_fma_f64 v[12:13], s[8:9], v[34:35], v[12:13]
	s_delay_alu instid0(VALU_DEP_2) | instskip(NEXT) | instid1(VALU_DEP_2)
	v_add_f64_e32 v[30:31], v[6:7], v[10:11]
	v_add_f64_e32 v[32:33], v[8:9], v[12:13]
	v_mul_f64_e32 v[6:7], s[40:41], v[153:154]
	v_mul_f64_e32 v[8:9], s[38:39], v[153:154]
	flat_store_b128 v[4:5], v[30:33] offset:256
	flat_load_b128 v[30:33], v[2:3] offset:512
	s_wait_loadcnt 0x1
	v_fma_f64 v[6:7], s[38:39], v[22:23], -v[6:7]
	v_fma_f64 v[8:9], s[40:41], v[22:23], v[8:9]
	s_wait_loadcnt_dscnt 0x0
	v_mul_f64_e32 v[10:11], s[8:9], v[32:33]
	v_mul_f64_e32 v[12:13], s[6:7], v[32:33]
	s_delay_alu instid0(VALU_DEP_2) | instskip(NEXT) | instid1(VALU_DEP_2)
	v_fma_f64 v[10:11], s[6:7], v[30:31], -v[10:11]
	v_fma_f64 v[12:13], s[8:9], v[30:31], v[12:13]
	s_delay_alu instid0(VALU_DEP_2) | instskip(NEXT) | instid1(VALU_DEP_2)
	v_add_f64_e32 v[26:27], v[6:7], v[10:11]
	v_add_f64_e32 v[28:29], v[8:9], v[12:13]
	v_mul_f64_e32 v[6:7], s[38:39], v[151:152]
	flat_store_b128 v[4:5], v[26:29] offset:512
	flat_load_b128 v[26:29], v[2:3] offset:768
	v_mul_f64_e32 v[2:3], s[40:41], v[151:152]
	v_fma_f64 v[6:7], s[40:41], v[20:21], v[6:7]
	s_delay_alu instid0(VALU_DEP_2) | instskip(SKIP_3) | instid1(VALU_DEP_2)
	v_fma_f64 v[2:3], s[38:39], v[20:21], -v[2:3]
	s_wait_loadcnt_dscnt 0x0
	v_mul_f64_e32 v[8:9], s[8:9], v[28:29]
	v_mul_f64_e32 v[10:11], s[6:7], v[28:29]
	v_fma_f64 v[8:9], s[6:7], v[26:27], -v[8:9]
	s_delay_alu instid0(VALU_DEP_2) | instskip(NEXT) | instid1(VALU_DEP_2)
	v_fma_f64 v[10:11], s[8:9], v[26:27], v[10:11]
	v_add_f64_e32 v[22:23], v[2:3], v[8:9]
	s_delay_alu instid0(VALU_DEP_2) | instskip(SKIP_4) | instid1(VALU_DEP_3)
	v_add_f64_e32 v[24:25], v[6:7], v[10:11]
	v_add_co_u32 v2, vcc_lo, v14, s18
	s_wait_alu 0xfffd
	v_add_co_ci_u32_e64 v3, null, s19, v15, vcc_lo
	v_mul_f64_e32 v[6:7], s[38:39], v[149:150]
	v_add_co_u32 v2, vcc_lo, v2, v0
	s_wait_alu 0xfffd
	s_delay_alu instid0(VALU_DEP_3) | instskip(SKIP_4) | instid1(VALU_DEP_2)
	v_add_co_ci_u32_e64 v3, null, v3, v1, vcc_lo
	flat_store_b128 v[4:5], v[22:25] offset:768
	flat_load_b128 v[22:25], v[2:3]
	v_mul_f64_e32 v[4:5], s[40:41], v[149:150]
	v_fma_f64 v[6:7], s[40:41], v[18:19], v[6:7]
	v_fma_f64 v[4:5], s[38:39], v[18:19], -v[4:5]
	s_wait_loadcnt_dscnt 0x0
	v_mul_f64_e32 v[8:9], s[8:9], v[24:25]
	v_mul_f64_e32 v[10:11], s[6:7], v[24:25]
	s_delay_alu instid0(VALU_DEP_2) | instskip(NEXT) | instid1(VALU_DEP_2)
	v_fma_f64 v[8:9], s[6:7], v[22:23], -v[8:9]
	v_fma_f64 v[10:11], s[8:9], v[22:23], v[10:11]
	s_delay_alu instid0(VALU_DEP_2) | instskip(NEXT) | instid1(VALU_DEP_2)
	v_add_f64_e32 v[18:19], v[4:5], v[8:9]
	v_add_f64_e32 v[20:21], v[6:7], v[10:11]
	v_add_co_u32 v4, vcc_lo, v16, s20
	s_wait_alu 0xfffd
	v_add_co_ci_u32_e64 v5, null, s21, v17, vcc_lo
	v_mul_f64_e32 v[6:7], s[38:39], v[147:148]
	s_delay_alu instid0(VALU_DEP_3) | instskip(SKIP_1) | instid1(VALU_DEP_3)
	v_add_co_u32 v0, vcc_lo, v4, v0
	s_wait_alu 0xfffd
	v_add_co_ci_u32_e64 v1, null, v5, v1, vcc_lo
	v_mul_f64_e32 v[4:5], s[40:41], v[147:148]
	s_delay_alu instid0(VALU_DEP_3) | instskip(SKIP_1) | instid1(VALU_DEP_3)
	v_add_co_u32 v74, vcc_lo, 0x300, v0
	s_wait_alu 0xfffd
	v_add_co_ci_u32_e64 v75, null, 0, v1, vcc_lo
	flat_store_b128 v[0:1], v[18:21]
	flat_load_b128 v[18:21], v[2:3] offset:256
	v_fma_f64 v[6:7], s[40:41], v[46:47], v[6:7]
	v_fma_f64 v[4:5], s[38:39], v[46:47], -v[4:5]
	s_wait_loadcnt_dscnt 0x0
	v_mul_f64_e32 v[8:9], s[8:9], v[20:21]
	v_mul_f64_e32 v[10:11], s[6:7], v[20:21]
	s_delay_alu instid0(VALU_DEP_2) | instskip(NEXT) | instid1(VALU_DEP_2)
	v_fma_f64 v[8:9], s[6:7], v[18:19], -v[8:9]
	v_fma_f64 v[10:11], s[8:9], v[18:19], v[10:11]
	s_delay_alu instid0(VALU_DEP_2) | instskip(NEXT) | instid1(VALU_DEP_2)
	v_add_f64_e32 v[14:15], v[4:5], v[8:9]
	v_add_f64_e32 v[16:17], v[6:7], v[10:11]
	v_mul_f64_e32 v[4:5], s[40:41], v[253:254]
	v_mul_f64_e32 v[6:7], s[38:39], v[253:254]
	flat_store_b128 v[0:1], v[14:17] offset:256
	flat_load_b128 v[14:17], v[2:3] offset:512
	v_fma_f64 v[4:5], s[38:39], v[183:184], -v[4:5]
	v_fma_f64 v[6:7], s[40:41], v[183:184], v[6:7]
	s_wait_loadcnt_dscnt 0x0
	v_mul_f64_e32 v[8:9], s[8:9], v[16:17]
	v_mul_f64_e32 v[10:11], s[6:7], v[16:17]
	s_delay_alu instid0(VALU_DEP_2) | instskip(NEXT) | instid1(VALU_DEP_2)
	v_fma_f64 v[8:9], s[6:7], v[14:15], -v[8:9]
	v_fma_f64 v[12:13], s[8:9], v[14:15], v[10:11]
	s_delay_alu instid0(VALU_DEP_2) | instskip(NEXT) | instid1(VALU_DEP_2)
	v_add_f64_e32 v[10:11], v[4:5], v[8:9]
	v_add_f64_e32 v[12:13], v[6:7], v[12:13]
	v_mul_f64_e32 v[4:5], s[38:39], v[141:142]
	flat_store_b128 v[0:1], v[10:13] offset:512
	flat_load_b128 v[10:13], v[2:3] offset:768
	v_mul_f64_e32 v[2:3], s[40:41], v[141:142]
	v_fma_f64 v[4:5], s[40:41], v[211:212], v[4:5]
	s_delay_alu instid0(VALU_DEP_2) | instskip(SKIP_3) | instid1(VALU_DEP_2)
	v_fma_f64 v[2:3], s[38:39], v[211:212], -v[2:3]
	s_wait_loadcnt_dscnt 0x0
	v_mul_f64_e32 v[6:7], s[8:9], v[12:13]
	v_mul_f64_e32 v[8:9], s[6:7], v[12:13]
	v_fma_f64 v[6:7], s[6:7], v[10:11], -v[6:7]
	s_delay_alu instid0(VALU_DEP_2) | instskip(NEXT) | instid1(VALU_DEP_2)
	v_fma_f64 v[8:9], s[8:9], v[10:11], v[8:9]
	v_add_f64_e32 v[2:3], v[2:3], v[6:7]
	s_delay_alu instid0(VALU_DEP_2)
	v_add_f64_e32 v[72:73], v[4:5], v[8:9]
	flat_store_b64 v[0:1], v[2:3] offset:768
	s_branch .LBB269_2
.LBB269_12:
	s_nop 0
	s_sendmsg sendmsg(MSG_DEALLOC_VGPRS)
	s_endpgm
	.section	.rodata,"a",@progbits
	.p2align	6, 0x0
	.amdhsa_kernel _ZN12_GLOBAL__N_127rocblas_gemm_batched_kernelI19rocblas_complex_numIdELi16ELi16ELi64ELi64ELi4ELi64ELi4ELi4ELi64ELc67ELc84EKPKS2_S5_KPS2_EEvlllT_PT11_llSA_llS8_PT12_llPT13_lli
		.amdhsa_group_segment_fixed_size 8192
		.amdhsa_private_segment_fixed_size 388
		.amdhsa_kernarg_size 156
		.amdhsa_user_sgpr_count 2
		.amdhsa_user_sgpr_dispatch_ptr 0
		.amdhsa_user_sgpr_queue_ptr 0
		.amdhsa_user_sgpr_kernarg_segment_ptr 1
		.amdhsa_user_sgpr_dispatch_id 0
		.amdhsa_user_sgpr_private_segment_size 0
		.amdhsa_wavefront_size32 1
		.amdhsa_uses_dynamic_stack 0
		.amdhsa_enable_private_segment 1
		.amdhsa_system_sgpr_workgroup_id_x 1
		.amdhsa_system_sgpr_workgroup_id_y 1
		.amdhsa_system_sgpr_workgroup_id_z 1
		.amdhsa_system_sgpr_workgroup_info 0
		.amdhsa_system_vgpr_workitem_id 1
		.amdhsa_next_free_vgpr 256
		.amdhsa_next_free_sgpr 52
		.amdhsa_reserve_vcc 1
		.amdhsa_float_round_mode_32 0
		.amdhsa_float_round_mode_16_64 0
		.amdhsa_float_denorm_mode_32 3
		.amdhsa_float_denorm_mode_16_64 3
		.amdhsa_fp16_overflow 0
		.amdhsa_workgroup_processor_mode 1
		.amdhsa_memory_ordered 1
		.amdhsa_forward_progress 1
		.amdhsa_inst_pref_size 69
		.amdhsa_round_robin_scheduling 0
		.amdhsa_exception_fp_ieee_invalid_op 0
		.amdhsa_exception_fp_denorm_src 0
		.amdhsa_exception_fp_ieee_div_zero 0
		.amdhsa_exception_fp_ieee_overflow 0
		.amdhsa_exception_fp_ieee_underflow 0
		.amdhsa_exception_fp_ieee_inexact 0
		.amdhsa_exception_int_div_zero 0
	.end_amdhsa_kernel
	.section	.text._ZN12_GLOBAL__N_127rocblas_gemm_batched_kernelI19rocblas_complex_numIdELi16ELi16ELi64ELi64ELi4ELi64ELi4ELi4ELi64ELc67ELc84EKPKS2_S5_KPS2_EEvlllT_PT11_llSA_llS8_PT12_llPT13_lli,"axG",@progbits,_ZN12_GLOBAL__N_127rocblas_gemm_batched_kernelI19rocblas_complex_numIdELi16ELi16ELi64ELi64ELi4ELi64ELi4ELi4ELi64ELc67ELc84EKPKS2_S5_KPS2_EEvlllT_PT11_llSA_llS8_PT12_llPT13_lli,comdat
.Lfunc_end269:
	.size	_ZN12_GLOBAL__N_127rocblas_gemm_batched_kernelI19rocblas_complex_numIdELi16ELi16ELi64ELi64ELi4ELi64ELi4ELi4ELi64ELc67ELc84EKPKS2_S5_KPS2_EEvlllT_PT11_llSA_llS8_PT12_llPT13_lli, .Lfunc_end269-_ZN12_GLOBAL__N_127rocblas_gemm_batched_kernelI19rocblas_complex_numIdELi16ELi16ELi64ELi64ELi4ELi64ELi4ELi4ELi64ELc67ELc84EKPKS2_S5_KPS2_EEvlllT_PT11_llSA_llS8_PT12_llPT13_lli
                                        ; -- End function
	.set _ZN12_GLOBAL__N_127rocblas_gemm_batched_kernelI19rocblas_complex_numIdELi16ELi16ELi64ELi64ELi4ELi64ELi4ELi4ELi64ELc67ELc84EKPKS2_S5_KPS2_EEvlllT_PT11_llSA_llS8_PT12_llPT13_lli.num_vgpr, 256
	.set _ZN12_GLOBAL__N_127rocblas_gemm_batched_kernelI19rocblas_complex_numIdELi16ELi16ELi64ELi64ELi4ELi64ELi4ELi4ELi64ELc67ELc84EKPKS2_S5_KPS2_EEvlllT_PT11_llSA_llS8_PT12_llPT13_lli.num_agpr, 0
	.set _ZN12_GLOBAL__N_127rocblas_gemm_batched_kernelI19rocblas_complex_numIdELi16ELi16ELi64ELi64ELi4ELi64ELi4ELi4ELi64ELc67ELc84EKPKS2_S5_KPS2_EEvlllT_PT11_llSA_llS8_PT12_llPT13_lli.numbered_sgpr, 52
	.set _ZN12_GLOBAL__N_127rocblas_gemm_batched_kernelI19rocblas_complex_numIdELi16ELi16ELi64ELi64ELi4ELi64ELi4ELi4ELi64ELc67ELc84EKPKS2_S5_KPS2_EEvlllT_PT11_llSA_llS8_PT12_llPT13_lli.num_named_barrier, 0
	.set _ZN12_GLOBAL__N_127rocblas_gemm_batched_kernelI19rocblas_complex_numIdELi16ELi16ELi64ELi64ELi4ELi64ELi4ELi4ELi64ELc67ELc84EKPKS2_S5_KPS2_EEvlllT_PT11_llSA_llS8_PT12_llPT13_lli.private_seg_size, 388
	.set _ZN12_GLOBAL__N_127rocblas_gemm_batched_kernelI19rocblas_complex_numIdELi16ELi16ELi64ELi64ELi4ELi64ELi4ELi4ELi64ELc67ELc84EKPKS2_S5_KPS2_EEvlllT_PT11_llSA_llS8_PT12_llPT13_lli.uses_vcc, 1
	.set _ZN12_GLOBAL__N_127rocblas_gemm_batched_kernelI19rocblas_complex_numIdELi16ELi16ELi64ELi64ELi4ELi64ELi4ELi4ELi64ELc67ELc84EKPKS2_S5_KPS2_EEvlllT_PT11_llSA_llS8_PT12_llPT13_lli.uses_flat_scratch, 1
	.set _ZN12_GLOBAL__N_127rocblas_gemm_batched_kernelI19rocblas_complex_numIdELi16ELi16ELi64ELi64ELi4ELi64ELi4ELi4ELi64ELc67ELc84EKPKS2_S5_KPS2_EEvlllT_PT11_llSA_llS8_PT12_llPT13_lli.has_dyn_sized_stack, 0
	.set _ZN12_GLOBAL__N_127rocblas_gemm_batched_kernelI19rocblas_complex_numIdELi16ELi16ELi64ELi64ELi4ELi64ELi4ELi4ELi64ELc67ELc84EKPKS2_S5_KPS2_EEvlllT_PT11_llSA_llS8_PT12_llPT13_lli.has_recursion, 0
	.set _ZN12_GLOBAL__N_127rocblas_gemm_batched_kernelI19rocblas_complex_numIdELi16ELi16ELi64ELi64ELi4ELi64ELi4ELi4ELi64ELc67ELc84EKPKS2_S5_KPS2_EEvlllT_PT11_llSA_llS8_PT12_llPT13_lli.has_indirect_call, 0
	.section	.AMDGPU.csdata,"",@progbits
; Kernel info:
; codeLenInByte = 8800
; TotalNumSgprs: 54
; NumVgprs: 256
; ScratchSize: 388
; MemoryBound: 0
; FloatMode: 240
; IeeeMode: 1
; LDSByteSize: 8192 bytes/workgroup (compile time only)
; SGPRBlocks: 0
; VGPRBlocks: 31
; NumSGPRsForWavesPerEU: 54
; NumVGPRsForWavesPerEU: 256
; Occupancy: 5
; WaveLimiterHint : 1
; COMPUTE_PGM_RSRC2:SCRATCH_EN: 1
; COMPUTE_PGM_RSRC2:USER_SGPR: 2
; COMPUTE_PGM_RSRC2:TRAP_HANDLER: 0
; COMPUTE_PGM_RSRC2:TGID_X_EN: 1
; COMPUTE_PGM_RSRC2:TGID_Y_EN: 1
; COMPUTE_PGM_RSRC2:TGID_Z_EN: 1
; COMPUTE_PGM_RSRC2:TIDIG_COMP_CNT: 1
	.section	.text._ZN12_GLOBAL__N_127rocblas_gemm_batched_kernelI19rocblas_complex_numIdELi16ELi16ELi64ELi64ELi4ELi64ELi4ELi4ELi64ELc78ELc67EKPKS2_S5_KPS2_EEvlllT_PT11_llSA_llS8_PT12_llPT13_lli,"axG",@progbits,_ZN12_GLOBAL__N_127rocblas_gemm_batched_kernelI19rocblas_complex_numIdELi16ELi16ELi64ELi64ELi4ELi64ELi4ELi4ELi64ELc78ELc67EKPKS2_S5_KPS2_EEvlllT_PT11_llSA_llS8_PT12_llPT13_lli,comdat
	.globl	_ZN12_GLOBAL__N_127rocblas_gemm_batched_kernelI19rocblas_complex_numIdELi16ELi16ELi64ELi64ELi4ELi64ELi4ELi4ELi64ELc78ELc67EKPKS2_S5_KPS2_EEvlllT_PT11_llSA_llS8_PT12_llPT13_lli ; -- Begin function _ZN12_GLOBAL__N_127rocblas_gemm_batched_kernelI19rocblas_complex_numIdELi16ELi16ELi64ELi64ELi4ELi64ELi4ELi4ELi64ELc78ELc67EKPKS2_S5_KPS2_EEvlllT_PT11_llSA_llS8_PT12_llPT13_lli
	.p2align	8
	.type	_ZN12_GLOBAL__N_127rocblas_gemm_batched_kernelI19rocblas_complex_numIdELi16ELi16ELi64ELi64ELi4ELi64ELi4ELi4ELi64ELc78ELc67EKPKS2_S5_KPS2_EEvlllT_PT11_llSA_llS8_PT12_llPT13_lli,@function
_ZN12_GLOBAL__N_127rocblas_gemm_batched_kernelI19rocblas_complex_numIdELi16ELi16ELi64ELi64ELi4ELi64ELi4ELi4ELi64ELc78ELc67EKPKS2_S5_KPS2_EEvlllT_PT11_llSA_llS8_PT12_llPT13_lli: ; @_ZN12_GLOBAL__N_127rocblas_gemm_batched_kernelI19rocblas_complex_numIdELi16ELi16ELi64ELi64ELi4ELi64ELi4ELi4ELi64ELc78ELc67EKPKS2_S5_KPS2_EEvlllT_PT11_llSA_llS8_PT12_llPT13_lli
; %bb.0:
	s_load_b32 s26, s[0:1], 0x98
	s_lshr_b32 s2, ttmp7, 16
	s_wait_kmcnt 0x0
	s_cmp_ge_i32 s2, s26
	s_cbranch_scc1 .LBB270_12
; %bb.1:
	s_clause 0x2
	s_load_b512 s[4:19], s[0:1], 0x50
	s_load_b512 s[36:51], s[0:1], 0x10
	s_load_b64 s[20:21], s[0:1], 0x90
	v_dual_mov_b32 v138, 0 :: v_dual_and_b32 v13, 0x3ff, v0
	v_bfe_u32 v2, v0, 10, 10
	s_mov_b32 s22, ttmp9
	s_ashr_i32 s23, ttmp9, 31
	s_lshl_b32 s24, ttmp7, 6
	s_lshl_b64 s[0:1], s[22:23], 6
	v_lshl_add_u32 v3, v2, 4, v13
	s_and_b32 s22, s24, 0x3fffc0
	v_lshl_add_u32 v208, v2, 6, 0x1000
	v_add_nc_u32_e32 v12, s22, v2
	s_mov_b32 s3, 0
	v_lshrrev_b32_e32 v7, 2, v3
	v_lshrrev_b32_e32 v10, 6, v3
	v_and_b32_e32 v14, 63, v3
	s_wait_kmcnt 0x0
	v_mad_co_u64_u32 v[15:16], null, v12, s18, 0
	v_and_b32_e32 v8, 3, v0
	v_add_co_u32 v0, s25, v7, s22
	s_delay_alu instid0(VALU_DEP_1) | instskip(SKIP_2) | instid1(VALU_DEP_3)
	v_add_co_ci_u32_e64 v1, null, 0, 0, s25
	v_mad_co_u64_u32 v[2:3], null, s44, v10, s[0:1]
	v_lshlrev_b32_e32 v9, 4, v14
	v_mad_co_u64_u32 v[4:5], null, s50, v8, v[0:1]
	v_dual_mov_b32 v1, v16 :: v_dual_lshlrev_b32 v6, 4, v8
	s_delay_alu instid0(VALU_DEP_3)
	v_lshl_or_b32 v139, v10, 10, v9
	v_cmp_eq_f64_e64 s23, s[6:7], 0
	v_cmp_eq_f64_e64 s24, s[8:9], 0
	s_lshl_b64 s[14:15], s[14:15], 4
	v_lshl_or_b32 v0, v7, 6, v6
	v_mad_co_u64_u32 v[6:7], null, v12, s12, 0
	s_delay_alu instid0(VALU_DEP_2) | instskip(SKIP_1) | instid1(VALU_DEP_3)
	v_add_nc_u32_e32 v140, 0x1000, v0
	v_add_co_u32 v0, s0, s0, v13
	v_mad_co_u64_u32 v[8:9], null, s51, v8, v[5:6]
	v_mad_co_u64_u32 v[9:10], null, s45, v10, v[3:4]
	v_mov_b32_e32 v5, v7
	v_mad_co_u64_u32 v[10:11], null, v12, s19, v[1:2]
	s_wait_alu 0xf1ff
	v_add_co_ci_u32_e64 v1, null, s1, 0, s0
	s_delay_alu instid0(VALU_DEP_3) | instskip(SKIP_2) | instid1(VALU_DEP_1)
	v_mad_co_u64_u32 v[11:12], null, v12, s13, v[5:6]
	v_mov_b32_e32 v5, v8
	v_add_co_u32 v7, vcc_lo, v2, v14
	v_add_co_ci_u32_e64 v8, null, 0, v9, vcc_lo
	s_lshl_b64 s[0:1], s[46:47], 4
	v_dual_mov_b32 v16, v10 :: v_dual_lshlrev_b32 v255, 4, v13
	v_lshlrev_b64_e32 v[8:9], 4, v[7:8]
	scratch_store_b64 off, v[0:1], off offset:352 ; 8-byte Folded Spill
	v_lshlrev_b64_e32 v[4:5], 4, v[4:5]
	v_mov_b32_e32 v7, v11
	scratch_store_b64 off, v[15:16], off offset:344 ; 8-byte Folded Spill
	s_wait_alu 0xfffe
	v_add_co_u32 v0, vcc_lo, s0, v8
	s_and_b32 s27, s23, s24
	s_lshl_b64 s[22:23], s[18:19], 4
	s_lshl_b64 s[24:25], s[12:13], 4
	scratch_store_b32 off, v0, off offset:360 ; 4-byte Folded Spill
	s_wait_alu 0xfffd
	v_add_co_ci_u32_e64 v0, null, s1, v9, vcc_lo
	s_lshl_b64 s[0:1], s[4:5], 4
	s_lshl_b64 s[12:13], s[44:45], 6
	;; [unrolled: 1-line block ×3, first 2 shown]
	scratch_store_b32 off, v0, off offset:364 ; 4-byte Folded Spill
	s_wait_alu 0xfffe
	v_add_co_u32 v0, vcc_lo, s0, v4
	v_cmp_gt_i64_e64 s0, s[36:37], 0
	s_wait_alu 0xfffd
	v_add_co_ci_u32_e64 v2, null, s1, v5, vcc_lo
	s_delay_alu instid0(VALU_DEP_3)
	v_or_b32_e32 v0, 8, v0
	s_lshl_b64 s[18:19], s[20:21], 4
	s_lshl_b64 s[20:21], s[24:25], 4
	v_cndmask_b32_e64 v1, 0, 1, s0
	s_clause 0x1
	scratch_store_b32 off, v2, off offset:368
	scratch_store_b32 off, v0, off offset:372
	s_lshl_b64 s[22:23], s[22:23], 4
	v_cmp_ne_u32_e64 s0, 1, v1
	v_lshlrev_b64_e32 v[0:1], 4, v[6:7]
	s_clause 0x2
	scratch_store_b64 off, v[0:1], off offset:376
	scratch_store_b32 off, v139, off offset:320
	scratch_store_b32 off, v140, off offset:324
	s_branch .LBB270_3
.LBB270_2:                              ;   in Loop: Header=BB270_3 Depth=1
	s_add_co_i32 s2, s2, 0x10000
	flat_store_b64 v[74:75], v[72:73] offset:8
	s_cmp_lt_i32 s2, s26
	s_cbranch_scc0 .LBB270_12
.LBB270_3:                              ; =>This Loop Header: Depth=1
                                        ;     Child Loop BB270_5 Depth 2
	s_lshl_b64 s[24:25], s[2:3], 3
	s_and_b32 vcc_lo, exec_lo, s0
	s_wait_alu 0xfffe
	s_add_nc_u64 s[28:29], s[10:11], s[24:25]
	s_add_nc_u64 s[30:31], s[16:17], s[24:25]
	s_clause 0x1
	global_load_b64 v[167:168], v138, s[28:29]
	global_load_b64 v[36:37], v138, s[30:31]
	s_cbranch_vccnz .LBB270_7
; %bb.4:                                ;   in Loop: Header=BB270_3 Depth=1
	v_mov_b32_e32 v38, 0
	v_dual_mov_b32 v39, 0 :: v_dual_mov_b32 v0, 0
	v_mov_b32_e32 v1, 0
	s_wait_loadcnt 0x0
	s_clause 0x1
	scratch_store_b64 off, v[36:37], off offset:336
	scratch_store_b64 off, v[167:168], off offset:328
	v_mov_b32_e32 v153, 0
	v_mov_b32_e32 v154, 0
	;; [unrolled: 1-line block ×3, first 2 shown]
	scratch_store_b64 off, v[0:1], off      ; 8-byte Folded Spill
	v_mov_b32_e32 v0, 0
	v_mov_b32_e32 v1, 0
	;; [unrolled: 1-line block ×3, first 2 shown]
	s_add_nc_u64 s[28:29], s[42:43], s[24:25]
	s_add_nc_u64 s[24:25], s[48:49], s[24:25]
	s_clause 0x1
	global_load_b64 v[74:75], v138, s[28:29]
	global_load_b64 v[76:77], v138, s[24:25]
	scratch_store_b64 off, v[0:1], off offset:8 ; 8-byte Folded Spill
	v_mov_b32_e32 v0, 0
	v_mov_b32_e32 v1, 0
	;; [unrolled: 1-line block ×3, first 2 shown]
	v_dual_mov_b32 v253, 0 :: v_dual_mov_b32 v46, 0
	v_mov_b32_e32 v42, 0
	scratch_store_b64 off, v[0:1], off offset:16 ; 8-byte Folded Spill
	scratch_load_b32 v0, off, off offset:360 ; 4-byte Folded Reload
	v_mov_b32_e32 v26, 0
	v_mov_b32_e32 v22, 0
	;; [unrolled: 1-line block ×6, first 2 shown]
	v_dual_mov_b32 v142, 0 :: v_dual_mov_b32 v211, 0
	v_dual_mov_b32 v254, 0 :: v_dual_mov_b32 v183, 0
	;; [unrolled: 1-line block ×14, first 2 shown]
	v_mov_b32_e32 v41, 0
	v_mov_b32_e32 v25, 0
	v_mov_b32_e32 v21, 0
	v_mov_b32_e32 v17, 0
	v_mov_b32_e32 v13, 0
	v_mov_b32_e32 v9, 0
	v_mov_b32_e32 v5, 0
	v_dual_mov_b32 v3, 0 :: v_dual_mov_b32 v252, 0
	v_dual_mov_b32 v207, 0 :: v_dual_mov_b32 v188, 0
	v_mov_b32_e32 v186, 0
	s_mov_b64 s[24:25], 0
	s_wait_loadcnt 0x0
	v_add_co_u32 v213, vcc_lo, v74, v0
	scratch_load_b32 v0, off, off offset:364 ; 4-byte Folded Reload
	s_wait_loadcnt 0x0
	s_wait_alu 0xfffd
	v_add_co_ci_u32_e64 v214, null, v75, v0, vcc_lo
	scratch_load_b32 v0, off, off offset:372 ; 4-byte Folded Reload
	s_wait_loadcnt 0x0
	v_add_co_u32 v76, vcc_lo, v76, v0
	scratch_load_b32 v0, off, off offset:368 ; 4-byte Folded Reload
	s_wait_loadcnt 0x0
	s_wait_alu 0xfffd
	v_add_co_ci_u32_e64 v77, null, v77, v0, vcc_lo
	v_mov_b32_e32 v0, 0
	v_mov_b32_e32 v1, 0
.LBB270_5:                              ;   Parent Loop BB270_3 Depth=1
                                        ; =>  This Inner Loop Header: Depth=2
	flat_load_b128 v[78:81], v[213:214]
	scratch_store_b64 off, v[141:142], off offset:24 ; 8-byte Folded Spill
	v_dual_mov_b32 v36, v153 :: v_dual_mov_b32 v37, v154
	v_dual_mov_b32 v74, v183 :: v_dual_mov_b32 v75, v184
	s_wait_alu 0xfffe
	s_add_nc_u64 s[24:25], s[24:25], 4
	v_add_co_u32 v213, vcc_lo, v213, s12
	s_wait_alu 0xfffe
	v_cmp_lt_i64_e64 s1, s[24:25], s[36:37]
	s_wait_alu 0xfffd
	v_add_co_ci_u32_e64 v214, null, s13, v214, vcc_lo
	s_and_b32 vcc_lo, exec_lo, s1
	s_wait_loadcnt_dscnt 0x0
	ds_store_2addr_b64 v139, v[78:79], v[80:81] offset1:1
	flat_load_b128 v[78:81], v[76:77] offset:-8
	v_add_co_u32 v76, s1, v76, s4
	s_wait_alu 0xf1ff
	v_add_co_ci_u32_e64 v77, null, s5, v77, s1
	s_wait_loadcnt_dscnt 0x0
	v_xor_b32_e32 v81, 0x80000000, v81
	ds_store_b128 v140, v[78:81]
	s_wait_storecnt_dscnt 0x0
	s_barrier_signal -1
	s_barrier_wait -1
	global_inv scope:SCOPE_SE
	ds_load_b128 v[92:95], v208
	ds_load_b128 v[128:131], v255
	ds_load_b128 v[132:135], v255 offset:256
	ds_load_b128 v[156:159], v208 offset:16
	s_wait_dscnt 0x2
	v_mul_f64_e32 v[78:79], v[94:95], v[130:131]
	v_mul_f64_e32 v[80:81], v[92:93], v[130:131]
	s_wait_dscnt 0x1
	v_mul_f64_e32 v[82:83], v[94:95], v[134:135]
	v_mul_f64_e32 v[84:85], v[92:93], v[134:135]
	s_delay_alu instid0(VALU_DEP_4)
	v_fma_f64 v[28:29], v[92:93], v[128:129], -v[78:79]
	scratch_store_b64 off, v[28:29], off offset:32 ; 8-byte Folded Spill
	v_fma_f64 v[28:29], v[94:95], v[128:129], v[80:81]
	scratch_store_b64 off, v[28:29], off offset:40 ; 8-byte Folded Spill
	v_fma_f64 v[28:29], v[92:93], v[132:133], -v[82:83]
	scratch_store_b64 off, v[28:29], off offset:48 ; 8-byte Folded Spill
	v_fma_f64 v[28:29], v[94:95], v[132:133], v[84:85]
	scratch_store_b64 off, v[28:29], off offset:56 ; 8-byte Folded Spill
	ds_load_b128 v[136:139], v255 offset:512
	ds_load_b128 v[140:143], v255 offset:768
	s_wait_dscnt 0x1
	v_mul_f64_e32 v[86:87], v[94:95], v[138:139]
	v_mul_f64_e32 v[88:89], v[92:93], v[138:139]
	s_wait_dscnt 0x0
	v_mul_f64_e32 v[90:91], v[94:95], v[142:143]
	s_delay_alu instid0(VALU_DEP_3)
	v_fma_f64 v[28:29], v[92:93], v[136:137], -v[86:87]
	scratch_store_b64 off, v[28:29], off offset:64 ; 8-byte Folded Spill
	v_fma_f64 v[28:29], v[94:95], v[136:137], v[88:89]
	scratch_store_b64 off, v[28:29], off offset:72 ; 8-byte Folded Spill
	v_fma_f64 v[28:29], v[92:93], v[140:141], -v[90:91]
	v_mul_f64_e32 v[92:93], v[92:93], v[142:143]
	scratch_store_b64 off, v[28:29], off offset:80 ; 8-byte Folded Spill
	v_fma_f64 v[28:29], v[94:95], v[140:141], v[92:93]
	scratch_store_b64 off, v[28:29], off offset:88 ; 8-byte Folded Spill
	ds_load_b128 v[108:111], v208 offset:1024
	ds_load_b128 v[172:175], v208 offset:1040
	;; [unrolled: 1-line block ×3, first 2 shown]
	s_wait_dscnt 0x2
	v_mul_f64_e32 v[94:95], v[110:111], v[130:131]
	v_mul_f64_e32 v[96:97], v[108:109], v[130:131]
	v_mul_f64_e32 v[98:99], v[110:111], v[134:135]
	v_mul_f64_e32 v[100:101], v[108:109], v[134:135]
	v_mul_f64_e32 v[102:103], v[110:111], v[138:139]
	v_mul_f64_e32 v[104:105], v[108:109], v[138:139]
	v_mul_f64_e32 v[106:107], v[110:111], v[142:143]
	v_fma_f64 v[28:29], v[108:109], v[128:129], -v[94:95]
	scratch_store_b64 off, v[28:29], off offset:96 ; 8-byte Folded Spill
	v_fma_f64 v[28:29], v[110:111], v[128:129], v[96:97]
	scratch_store_b64 off, v[28:29], off offset:104 ; 8-byte Folded Spill
	v_fma_f64 v[28:29], v[108:109], v[132:133], -v[98:99]
	scratch_store_b64 off, v[28:29], off offset:112 ; 8-byte Folded Spill
	v_fma_f64 v[28:29], v[110:111], v[132:133], v[100:101]
	scratch_store_b64 off, v[28:29], off offset:120 ; 8-byte Folded Spill
	;; [unrolled: 4-line block ×3, first 2 shown]
	v_fma_f64 v[28:29], v[108:109], v[140:141], -v[106:107]
	v_mul_f64_e32 v[108:109], v[108:109], v[142:143]
	scratch_store_b64 off, v[28:29], off offset:144 ; 8-byte Folded Spill
	v_fma_f64 v[28:29], v[110:111], v[140:141], v[108:109]
	scratch_store_b64 off, v[28:29], off offset:152 ; 8-byte Folded Spill
	v_dual_mov_b32 v28, v187 :: v_dual_mov_b32 v29, v188
	ds_load_b128 v[188:191], v208 offset:2064
	s_wait_dscnt 0x1
	v_mul_f64_e32 v[110:111], v[126:127], v[130:131]
	v_mul_f64_e32 v[112:113], v[124:125], v[130:131]
	;; [unrolled: 1-line block ×7, first 2 shown]
	v_fma_f64 v[32:33], v[124:125], v[128:129], -v[110:111]
	scratch_store_b64 off, v[32:33], off offset:160 ; 8-byte Folded Spill
	v_fma_f64 v[32:33], v[126:127], v[128:129], v[112:113]
	scratch_store_b64 off, v[32:33], off offset:168 ; 8-byte Folded Spill
	v_fma_f64 v[32:33], v[124:125], v[132:133], -v[114:115]
	scratch_store_b64 off, v[32:33], off offset:176 ; 8-byte Folded Spill
	v_fma_f64 v[32:33], v[126:127], v[132:133], v[116:117]
	scratch_store_b64 off, v[32:33], off offset:184 ; 8-byte Folded Spill
	;; [unrolled: 4-line block ×3, first 2 shown]
	v_fma_f64 v[32:33], v[124:125], v[140:141], -v[122:123]
	v_mul_f64_e32 v[124:125], v[124:125], v[142:143]
	scratch_store_b64 off, v[32:33], off offset:208 ; 8-byte Folded Spill
	v_fma_f64 v[32:33], v[126:127], v[140:141], v[124:125]
	scratch_store_b64 off, v[32:33], off offset:216 ; 8-byte Folded Spill
	ds_load_b128 v[144:147], v208 offset:3072
	ds_load_b128 v[215:218], v208 offset:3088
	s_wait_dscnt 0x1
	v_mul_f64_e32 v[126:127], v[146:147], v[130:131]
	v_mul_f64_e32 v[130:131], v[144:145], v[130:131]
	s_delay_alu instid0(VALU_DEP_2)
	v_fma_f64 v[32:33], v[144:145], v[128:129], -v[126:127]
	scratch_store_b64 off, v[32:33], off offset:224 ; 8-byte Folded Spill
	v_fma_f64 v[32:33], v[146:147], v[128:129], v[130:131]
	v_mul_f64_e32 v[130:131], v[146:147], v[134:135]
	v_mul_f64_e32 v[134:135], v[144:145], v[134:135]
	scratch_store_b64 off, v[32:33], off offset:232 ; 8-byte Folded Spill
	v_fma_f64 v[32:33], v[144:145], v[132:133], -v[130:131]
	scratch_store_b64 off, v[32:33], off offset:240 ; 8-byte Folded Spill
	v_fma_f64 v[32:33], v[146:147], v[132:133], v[134:135]
	v_mul_f64_e32 v[134:135], v[146:147], v[138:139]
	v_mul_f64_e32 v[138:139], v[144:145], v[138:139]
	scratch_store_b64 off, v[32:33], off offset:248 ; 8-byte Folded Spill
	;; [unrolled: 6-line block ×3, first 2 shown]
	v_fma_f64 v[32:33], v[144:145], v[140:141], -v[138:139]
	scratch_store_b64 off, v[32:33], off offset:272 ; 8-byte Folded Spill
	v_fma_f64 v[32:33], v[146:147], v[140:141], v[142:143]
	scratch_store_b64 off, v[32:33], off offset:280 ; 8-byte Folded Spill
	ds_load_b128 v[192:195], v255 offset:1024
	ds_load_b128 v[196:199], v255 offset:1280
	s_wait_dscnt 0x1
	v_mul_f64_e32 v[142:143], v[158:159], v[194:195]
	v_mul_f64_e32 v[144:145], v[156:157], v[194:195]
	s_wait_dscnt 0x0
	v_mul_f64_e32 v[146:147], v[158:159], v[198:199]
	v_mul_f64_e32 v[148:149], v[156:157], v[198:199]
	;; [unrolled: 1-line block ×8, first 2 shown]
	v_fma_f64 v[32:33], v[156:157], v[192:193], -v[142:143]
	v_fma_f64 v[162:163], v[172:173], v[196:197], -v[162:163]
	v_fma_f64 v[160:161], v[174:175], v[192:193], v[160:161]
	v_fma_f64 v[164:165], v[174:175], v[196:197], v[164:165]
	v_fma_f64 v[178:179], v[188:189], v[196:197], -v[178:179]
	v_fma_f64 v[176:177], v[190:191], v[192:193], v[176:177]
	v_fma_f64 v[180:181], v[190:191], v[196:197], v[180:181]
	scratch_store_b64 off, v[32:33], off offset:288 ; 8-byte Folded Spill
	v_fma_f64 v[32:33], v[158:159], v[192:193], v[144:145]
	scratch_store_b64 off, v[32:33], off offset:296 ; 8-byte Folded Spill
	v_fma_f64 v[32:33], v[156:157], v[196:197], -v[146:147]
	scratch_store_b64 off, v[32:33], off offset:304 ; 8-byte Folded Spill
	v_fma_f64 v[32:33], v[158:159], v[196:197], v[148:149]
	scratch_store_b64 off, v[32:33], off offset:312 ; 8-byte Folded Spill
	ds_load_b128 v[200:203], v255 offset:1536
	ds_load_b128 v[219:222], v255 offset:1792
	v_dual_mov_b32 v32, v185 :: v_dual_mov_b32 v33, v186
	s_wait_dscnt 0x1
	v_mul_f64_e32 v[150:151], v[158:159], v[202:203]
	s_wait_dscnt 0x0
	v_mul_f64_e32 v[154:155], v[158:159], v[221:222]
	v_mul_f64_e32 v[152:153], v[156:157], v[202:203]
	;; [unrolled: 1-line block ×9, first 2 shown]
	v_fma_f64 v[150:151], v[156:157], v[200:201], -v[150:151]
	v_fma_f64 v[154:155], v[156:157], v[219:220], -v[154:155]
	v_mul_f64_e32 v[156:157], v[156:157], v[221:222]
	v_fma_f64 v[152:153], v[158:159], v[200:201], v[152:153]
	v_fma_f64 v[166:167], v[172:173], v[200:201], -v[166:167]
	v_fma_f64 v[170:171], v[172:173], v[219:220], -v[170:171]
	v_fma_f64 v[168:169], v[174:175], v[200:201], v[168:169]
	v_fma_f64 v[182:183], v[188:189], v[200:201], -v[182:183]
	v_fma_f64 v[186:187], v[188:189], v[219:220], -v[186:187]
	v_fma_f64 v[184:185], v[190:191], v[200:201], v[184:185]
	v_fma_f64 v[204:205], v[217:218], v[219:220], v[204:205]
	;; [unrolled: 1-line block ×3, first 2 shown]
	v_mul_f64_e32 v[158:159], v[174:175], v[194:195]
	s_delay_alu instid0(VALU_DEP_1) | instskip(SKIP_1) | instid1(VALU_DEP_1)
	v_fma_f64 v[158:159], v[172:173], v[192:193], -v[158:159]
	v_mul_f64_e32 v[172:173], v[172:173], v[221:222]
	v_fma_f64 v[172:173], v[174:175], v[219:220], v[172:173]
	v_mul_f64_e32 v[174:175], v[190:191], v[194:195]
	s_delay_alu instid0(VALU_DEP_1) | instskip(SKIP_1) | instid1(VALU_DEP_1)
	v_fma_f64 v[174:175], v[188:189], v[192:193], -v[174:175]
	v_mul_f64_e32 v[188:189], v[188:189], v[221:222]
	v_fma_f64 v[188:189], v[190:191], v[219:220], v[188:189]
	v_mul_f64_e32 v[190:191], v[217:218], v[194:195]
	v_mul_f64_e32 v[194:195], v[215:216], v[194:195]
	s_delay_alu instid0(VALU_DEP_2) | instskip(NEXT) | instid1(VALU_DEP_2)
	v_fma_f64 v[190:191], v[215:216], v[192:193], -v[190:191]
	v_fma_f64 v[192:193], v[217:218], v[192:193], v[194:195]
	v_mul_f64_e32 v[194:195], v[217:218], v[198:199]
	v_mul_f64_e32 v[198:199], v[215:216], v[198:199]
	s_delay_alu instid0(VALU_DEP_2) | instskip(NEXT) | instid1(VALU_DEP_2)
	v_fma_f64 v[194:195], v[215:216], v[196:197], -v[194:195]
	;; [unrolled: 5-line block ×3, first 2 shown]
	v_fma_f64 v[200:201], v[217:218], v[200:201], v[202:203]
	v_mul_f64_e32 v[202:203], v[217:218], v[221:222]
	s_delay_alu instid0(VALU_DEP_1)
	v_fma_f64 v[202:203], v[215:216], v[219:220], -v[202:203]
	ds_load_b128 v[215:218], v208 offset:32
	ds_load_b128 v[219:222], v255 offset:2048
	;; [unrolled: 1-line block ×4, first 2 shown]
	s_wait_dscnt 0x2
	v_mul_f64_e32 v[231:232], v[217:218], v[221:222]
	s_delay_alu instid0(VALU_DEP_1) | instskip(SKIP_1) | instid1(VALU_DEP_1)
	v_fma_f64 v[146:147], v[215:216], v[219:220], -v[231:232]
	v_mul_f64_e32 v[231:232], v[215:216], v[221:222]
	v_fma_f64 v[144:145], v[217:218], v[219:220], v[231:232]
	s_wait_dscnt 0x1
	v_mul_f64_e32 v[231:232], v[217:218], v[225:226]
	s_delay_alu instid0(VALU_DEP_1) | instskip(SKIP_1) | instid1(VALU_DEP_1)
	v_fma_f64 v[142:143], v[215:216], v[223:224], -v[231:232]
	v_mul_f64_e32 v[231:232], v[215:216], v[225:226]
	v_fma_f64 v[140:141], v[217:218], v[223:224], v[231:232]
	ds_load_b128 v[231:234], v255 offset:2560
	ds_load_b128 v[235:238], v255 offset:2816
	s_wait_dscnt 0x1
	v_mul_f64_e32 v[239:240], v[217:218], v[233:234]
	s_delay_alu instid0(VALU_DEP_1) | instskip(SKIP_1) | instid1(VALU_DEP_1)
	v_fma_f64 v[138:139], v[215:216], v[231:232], -v[239:240]
	v_mul_f64_e32 v[239:240], v[215:216], v[233:234]
	v_fma_f64 v[136:137], v[217:218], v[231:232], v[239:240]
	s_wait_dscnt 0x0
	v_mul_f64_e32 v[239:240], v[217:218], v[237:238]
	s_delay_alu instid0(VALU_DEP_1) | instskip(SKIP_1) | instid1(VALU_DEP_1)
	v_fma_f64 v[134:135], v[215:216], v[235:236], -v[239:240]
	v_mul_f64_e32 v[215:216], v[215:216], v[237:238]
	v_fma_f64 v[132:133], v[217:218], v[235:236], v[215:216]
	ds_load_b128 v[215:218], v208 offset:1056
	ds_load_b128 v[239:242], v208 offset:1072
	s_wait_dscnt 0x1
	v_mul_f64_e32 v[243:244], v[217:218], v[221:222]
	s_delay_alu instid0(VALU_DEP_1) | instskip(SKIP_1) | instid1(VALU_DEP_1)
	v_fma_f64 v[130:131], v[215:216], v[219:220], -v[243:244]
	v_mul_f64_e32 v[243:244], v[215:216], v[221:222]
	v_fma_f64 v[209:210], v[217:218], v[219:220], v[243:244]
	v_mul_f64_e32 v[243:244], v[217:218], v[225:226]
	s_delay_alu instid0(VALU_DEP_1) | instskip(SKIP_1) | instid1(VALU_DEP_1)
	v_fma_f64 v[128:129], v[215:216], v[223:224], -v[243:244]
	v_mul_f64_e32 v[243:244], v[215:216], v[225:226]
	v_fma_f64 v[126:127], v[217:218], v[223:224], v[243:244]
	;; [unrolled: 5-line block ×4, first 2 shown]
	ds_load_b128 v[215:218], v208 offset:2080
	ds_load_b128 v[243:246], v208 offset:2096
	s_wait_dscnt 0x1
	v_mul_f64_e32 v[247:248], v[217:218], v[221:222]
	s_delay_alu instid0(VALU_DEP_1) | instskip(SKIP_1) | instid1(VALU_DEP_1)
	v_fma_f64 v[116:117], v[215:216], v[219:220], -v[247:248]
	v_mul_f64_e32 v[247:248], v[215:216], v[221:222]
	v_fma_f64 v[114:115], v[217:218], v[219:220], v[247:248]
	v_mul_f64_e32 v[247:248], v[217:218], v[225:226]
	s_delay_alu instid0(VALU_DEP_1) | instskip(SKIP_1) | instid1(VALU_DEP_1)
	v_fma_f64 v[112:113], v[215:216], v[223:224], -v[247:248]
	v_mul_f64_e32 v[247:248], v[215:216], v[225:226]
	v_fma_f64 v[110:111], v[217:218], v[223:224], v[247:248]
	;; [unrolled: 5-line block ×4, first 2 shown]
	ds_load_b128 v[215:218], v208 offset:3104
	ds_load_b128 v[247:250], v208 offset:3120
	s_wait_dscnt 0x1
	v_mul_f64_e32 v[34:35], v[217:218], v[221:222]
	v_mul_f64_e32 v[221:222], v[215:216], v[221:222]
	s_delay_alu instid0(VALU_DEP_2) | instskip(NEXT) | instid1(VALU_DEP_2)
	v_fma_f64 v[100:101], v[215:216], v[219:220], -v[34:35]
	v_fma_f64 v[98:99], v[217:218], v[219:220], v[221:222]
	v_mul_f64_e32 v[219:220], v[217:218], v[225:226]
	s_delay_alu instid0(VALU_DEP_1) | instskip(SKIP_1) | instid1(VALU_DEP_1)
	v_fma_f64 v[96:97], v[215:216], v[223:224], -v[219:220]
	v_mul_f64_e32 v[219:220], v[215:216], v[225:226]
	v_fma_f64 v[94:95], v[217:218], v[223:224], v[219:220]
	v_mul_f64_e32 v[219:220], v[217:218], v[233:234]
	s_delay_alu instid0(VALU_DEP_1) | instskip(SKIP_1) | instid1(VALU_DEP_1)
	v_fma_f64 v[92:93], v[215:216], v[231:232], -v[219:220]
	v_mul_f64_e32 v[219:220], v[215:216], v[233:234]
	v_fma_f64 v[72:73], v[217:218], v[231:232], v[219:220]
	v_mul_f64_e32 v[219:220], v[217:218], v[237:238]
	s_delay_alu instid0(VALU_DEP_1) | instskip(SKIP_1) | instid1(VALU_DEP_1)
	v_fma_f64 v[50:51], v[215:216], v[235:236], -v[219:220]
	v_mul_f64_e32 v[215:216], v[215:216], v[237:238]
	v_fma_f64 v[235:236], v[217:218], v[235:236], v[215:216]
	ds_load_b128 v[215:218], v255 offset:3072
	ds_load_b128 v[219:222], v255 offset:3328
	s_wait_dscnt 0x1
	v_mul_f64_e32 v[223:224], v[229:230], v[217:218]
	s_wait_dscnt 0x0
	v_mul_f64_e32 v[64:65], v[241:242], v[221:222]
	v_mul_f64_e32 v[62:63], v[239:240], v[217:218]
	;; [unrolled: 1-line block ×6, first 2 shown]
	v_fma_f64 v[237:238], v[227:228], v[215:216], -v[223:224]
	v_mul_f64_e32 v[223:224], v[227:228], v[217:218]
	v_fma_f64 v[64:65], v[239:240], v[219:220], -v[64:65]
	v_fma_f64 v[62:63], v[241:242], v[215:216], v[62:63]
	v_fma_f64 v[66:67], v[241:242], v[219:220], v[66:67]
	v_fma_f64 v[82:83], v[243:244], v[219:220], -v[82:83]
	v_fma_f64 v[80:81], v[245:246], v[215:216], v[80:81]
	v_fma_f64 v[84:85], v[245:246], v[219:220], v[84:85]
	;; [unrolled: 1-line block ×3, first 2 shown]
	v_mul_f64_e32 v[223:224], v[229:230], v[221:222]
	s_delay_alu instid0(VALU_DEP_1) | instskip(SKIP_1) | instid1(VALU_DEP_1)
	v_fma_f64 v[52:53], v[227:228], v[219:220], -v[223:224]
	v_mul_f64_e32 v[223:224], v[227:228], v[221:222]
	v_fma_f64 v[54:55], v[229:230], v[219:220], v[223:224]
	ds_load_b128 v[223:226], v255 offset:3584
	ds_load_b128 v[231:234], v255 offset:3840
	scratch_load_b64 v[34:35], off, off offset:32 th:TH_LOAD_LU ; 8-byte Folded Reload
	s_wait_dscnt 0x1
	v_mul_f64_e32 v[56:57], v[229:230], v[225:226]
	s_wait_dscnt 0x0
	v_mul_f64_e32 v[60:61], v[229:230], v[233:234]
	v_mul_f64_e32 v[58:59], v[227:228], v[225:226]
	;; [unrolled: 1-line block ×8, first 2 shown]
	v_fma_f64 v[56:57], v[227:228], v[223:224], -v[56:57]
	v_fma_f64 v[60:61], v[227:228], v[231:232], -v[60:61]
	v_mul_f64_e32 v[227:228], v[227:228], v[233:234]
	v_fma_f64 v[58:59], v[229:230], v[223:224], v[58:59]
	v_fma_f64 v[68:69], v[239:240], v[223:224], -v[68:69]
	v_fma_f64 v[78:79], v[239:240], v[231:232], -v[78:79]
	v_fma_f64 v[70:71], v[241:242], v[223:224], v[70:71]
	v_fma_f64 v[86:87], v[243:244], v[223:224], -v[86:87]
	v_fma_f64 v[90:91], v[243:244], v[231:232], -v[90:91]
	v_fma_f64 v[88:89], v[245:246], v[223:224], v[88:89]
	v_fma_f64 v[227:228], v[229:230], v[231:232], v[227:228]
	v_mul_f64_e32 v[229:230], v[241:242], v[217:218]
	s_delay_alu instid0(VALU_DEP_1) | instskip(SKIP_1) | instid1(VALU_DEP_1)
	v_fma_f64 v[229:230], v[239:240], v[215:216], -v[229:230]
	v_mul_f64_e32 v[239:240], v[239:240], v[233:234]
	v_fma_f64 v[239:240], v[241:242], v[231:232], v[239:240]
	v_mul_f64_e32 v[241:242], v[245:246], v[217:218]
	s_delay_alu instid0(VALU_DEP_1) | instskip(SKIP_1) | instid1(VALU_DEP_1)
	v_fma_f64 v[241:242], v[243:244], v[215:216], -v[241:242]
	v_mul_f64_e32 v[243:244], v[243:244], v[233:234]
	v_fma_f64 v[243:244], v[245:246], v[231:232], v[243:244]
	v_mul_f64_e32 v[245:246], v[249:250], v[217:218]
	v_mul_f64_e32 v[217:218], v[247:248], v[217:218]
	s_delay_alu instid0(VALU_DEP_2) | instskip(NEXT) | instid1(VALU_DEP_2)
	v_fma_f64 v[245:246], v[247:248], v[215:216], -v[245:246]
	v_fma_f64 v[215:216], v[249:250], v[215:216], v[217:218]
	v_mul_f64_e32 v[217:218], v[249:250], v[221:222]
	v_mul_f64_e32 v[221:222], v[247:248], v[221:222]
	s_delay_alu instid0(VALU_DEP_2) | instskip(NEXT) | instid1(VALU_DEP_2)
	v_fma_f64 v[217:218], v[247:248], v[219:220], -v[217:218]
	;; [unrolled: 5-line block ×4, first 2 shown]
	v_fma_f64 v[231:232], v[249:250], v[231:232], v[233:234]
	s_wait_loadcnt 0x0
	v_add_f64_e32 v[233:234], v[32:33], v[34:35]
	scratch_load_b64 v[32:33], off, off offset:40 th:TH_LOAD_LU ; 8-byte Folded Reload
	s_wait_loadcnt 0x0
	v_add_f64_e32 v[247:248], v[32:33], v[28:29]
	scratch_load_b64 v[28:29], off, off offset:48 th:TH_LOAD_LU ; 8-byte Folded Reload
	;; [unrolled: 3-line block ×5, first 2 shown]
	v_add_f64_e32 v[0:1], v[0:1], v[150:151]
	s_delay_alu instid0(VALU_DEP_1) | instskip(NEXT) | instid1(VALU_DEP_1)
	v_add_f64_e32 v[0:1], v[0:1], v[138:139]
	v_add_f64_e32 v[0:1], v[0:1], v[56:57]
	s_wait_loadcnt 0x0
	v_add_f64_e32 v[2:3], v[28:29], v[2:3]
	scratch_load_b64 v[28:29], off, off offset:80 th:TH_LOAD_LU ; 8-byte Folded Reload
	v_add_f64_e32 v[2:3], v[152:153], v[2:3]
	s_delay_alu instid0(VALU_DEP_1) | instskip(NEXT) | instid1(VALU_DEP_1)
	v_add_f64_e32 v[2:3], v[136:137], v[2:3]
	v_add_f64_e32 v[2:3], v[58:59], v[2:3]
	s_wait_loadcnt 0x0
	v_add_f64_e32 v[4:5], v[4:5], v[28:29]
	scratch_load_b64 v[28:29], off, off offset:88 th:TH_LOAD_LU ; 8-byte Folded Reload
	v_add_f64_e32 v[4:5], v[4:5], v[154:155]
	s_delay_alu instid0(VALU_DEP_1) | instskip(NEXT) | instid1(VALU_DEP_1)
	v_add_f64_e32 v[4:5], v[4:5], v[134:135]
	v_add_f64_e32 v[4:5], v[4:5], v[60:61]
	s_wait_loadcnt 0x0
	v_add_f64_e32 v[6:7], v[28:29], v[6:7]
	scratch_load_b64 v[28:29], off, off offset:96 th:TH_LOAD_LU ; 8-byte Folded Reload
	v_add_f64_e32 v[6:7], v[156:157], v[6:7]
	s_delay_alu instid0(VALU_DEP_1) | instskip(NEXT) | instid1(VALU_DEP_1)
	v_add_f64_e32 v[6:7], v[132:133], v[6:7]
	v_add_f64_e32 v[6:7], v[227:228], v[6:7]
	s_wait_loadcnt 0x0
	v_add_f64_e32 v[8:9], v[8:9], v[28:29]
	scratch_load_b64 v[28:29], off, off offset:104 th:TH_LOAD_LU ; 8-byte Folded Reload
	v_add_f64_e32 v[8:9], v[8:9], v[158:159]
	s_delay_alu instid0(VALU_DEP_1) | instskip(NEXT) | instid1(VALU_DEP_1)
	v_add_f64_e32 v[8:9], v[8:9], v[130:131]
	v_add_f64_e32 v[8:9], v[8:9], v[229:230]
	s_wait_loadcnt 0x0
	v_add_f64_e32 v[10:11], v[28:29], v[10:11]
	scratch_load_b64 v[28:29], off, off offset:112 th:TH_LOAD_LU ; 8-byte Folded Reload
	v_add_f64_e32 v[10:11], v[160:161], v[10:11]
	s_delay_alu instid0(VALU_DEP_1) | instskip(NEXT) | instid1(VALU_DEP_1)
	v_add_f64_e32 v[10:11], v[209:210], v[10:11]
	v_add_f64_e32 v[10:11], v[62:63], v[10:11]
	s_wait_loadcnt 0x0
	v_add_f64_e32 v[12:13], v[12:13], v[28:29]
	scratch_load_b64 v[28:29], off, off offset:120 th:TH_LOAD_LU ; 8-byte Folded Reload
	v_add_f64_e32 v[12:13], v[12:13], v[162:163]
	s_delay_alu instid0(VALU_DEP_1) | instskip(NEXT) | instid1(VALU_DEP_1)
	v_add_f64_e32 v[12:13], v[12:13], v[128:129]
	v_add_f64_e32 v[12:13], v[12:13], v[64:65]
	s_wait_loadcnt 0x0
	v_add_f64_e32 v[14:15], v[28:29], v[14:15]
	scratch_load_b64 v[28:29], off, off offset:128 th:TH_LOAD_LU ; 8-byte Folded Reload
	v_add_f64_e32 v[14:15], v[164:165], v[14:15]
	s_delay_alu instid0(VALU_DEP_1) | instskip(NEXT) | instid1(VALU_DEP_1)
	v_add_f64_e32 v[14:15], v[126:127], v[14:15]
	v_add_f64_e32 v[14:15], v[66:67], v[14:15]
	s_wait_loadcnt 0x0
	v_add_f64_e32 v[16:17], v[16:17], v[28:29]
	scratch_load_b64 v[28:29], off, off offset:136 th:TH_LOAD_LU ; 8-byte Folded Reload
	v_add_f64_e32 v[16:17], v[16:17], v[166:167]
	s_delay_alu instid0(VALU_DEP_1) | instskip(NEXT) | instid1(VALU_DEP_1)
	v_add_f64_e32 v[16:17], v[16:17], v[124:125]
	v_add_f64_e32 v[16:17], v[16:17], v[68:69]
	s_wait_loadcnt 0x0
	v_add_f64_e32 v[18:19], v[28:29], v[18:19]
	scratch_load_b64 v[28:29], off, off offset:144 th:TH_LOAD_LU ; 8-byte Folded Reload
	v_add_f64_e32 v[18:19], v[168:169], v[18:19]
	s_delay_alu instid0(VALU_DEP_1) | instskip(NEXT) | instid1(VALU_DEP_1)
	v_add_f64_e32 v[18:19], v[122:123], v[18:19]
	v_add_f64_e32 v[18:19], v[70:71], v[18:19]
	s_wait_loadcnt 0x0
	v_add_f64_e32 v[20:21], v[20:21], v[28:29]
	scratch_load_b64 v[28:29], off, off offset:152 th:TH_LOAD_LU ; 8-byte Folded Reload
	v_add_f64_e32 v[20:21], v[20:21], v[170:171]
	s_delay_alu instid0(VALU_DEP_1) | instskip(NEXT) | instid1(VALU_DEP_1)
	v_add_f64_e32 v[20:21], v[20:21], v[120:121]
	v_add_f64_e32 v[20:21], v[20:21], v[78:79]
	s_wait_loadcnt 0x0
	v_add_f64_e32 v[22:23], v[28:29], v[22:23]
	scratch_load_b64 v[28:29], off, off offset:160 th:TH_LOAD_LU ; 8-byte Folded Reload
	v_add_f64_e32 v[22:23], v[172:173], v[22:23]
	s_delay_alu instid0(VALU_DEP_1) | instskip(NEXT) | instid1(VALU_DEP_1)
	v_add_f64_e32 v[22:23], v[118:119], v[22:23]
	v_add_f64_e32 v[22:23], v[239:240], v[22:23]
	s_wait_loadcnt 0x0
	v_add_f64_e32 v[24:25], v[24:25], v[28:29]
	scratch_load_b64 v[28:29], off, off offset:168 th:TH_LOAD_LU ; 8-byte Folded Reload
	v_add_f64_e32 v[24:25], v[24:25], v[174:175]
	s_delay_alu instid0(VALU_DEP_1) | instskip(NEXT) | instid1(VALU_DEP_1)
	v_add_f64_e32 v[24:25], v[24:25], v[116:117]
	v_add_f64_e32 v[24:25], v[24:25], v[241:242]
	s_wait_loadcnt 0x0
	v_add_f64_e32 v[26:27], v[28:29], v[26:27]
	s_clause 0x1
	scratch_load_b64 v[28:29], off, off offset:16 th:TH_LOAD_LU
	scratch_load_b64 v[32:33], off, off offset:176 th:TH_LOAD_LU
	v_add_f64_e32 v[26:27], v[176:177], v[26:27]
	s_delay_alu instid0(VALU_DEP_1) | instskip(NEXT) | instid1(VALU_DEP_1)
	v_add_f64_e32 v[26:27], v[114:115], v[26:27]
	v_add_f64_e32 v[26:27], v[80:81], v[26:27]
	s_wait_loadcnt 0x0
	v_add_f64_e32 v[28:29], v[28:29], v[32:33]
	scratch_load_b64 v[32:33], off, off offset:184 th:TH_LOAD_LU ; 8-byte Folded Reload
	v_add_f64_e32 v[28:29], v[28:29], v[178:179]
	s_delay_alu instid0(VALU_DEP_1) | instskip(NEXT) | instid1(VALU_DEP_1)
	v_add_f64_e32 v[28:29], v[28:29], v[112:113]
	v_add_f64_e32 v[28:29], v[28:29], v[82:83]
	s_wait_loadcnt 0x0
	v_add_f64_e32 v[30:31], v[32:33], v[30:31]
	s_clause 0x1
	scratch_load_b64 v[32:33], off, off offset:8 th:TH_LOAD_LU
	scratch_load_b64 v[34:35], off, off offset:192 th:TH_LOAD_LU
	v_add_f64_e32 v[30:31], v[180:181], v[30:31]
	s_delay_alu instid0(VALU_DEP_1) | instskip(NEXT) | instid1(VALU_DEP_1)
	v_add_f64_e32 v[30:31], v[110:111], v[30:31]
	v_add_f64_e32 v[30:31], v[84:85], v[30:31]
	s_wait_loadcnt 0x0
	v_add_f64_e32 v[32:33], v[32:33], v[34:35]
	scratch_load_b64 v[34:35], off, off offset:200 th:TH_LOAD_LU ; 8-byte Folded Reload
	v_add_f64_e32 v[32:33], v[32:33], v[182:183]
	s_delay_alu instid0(VALU_DEP_1) | instskip(NEXT) | instid1(VALU_DEP_1)
	v_add_f64_e32 v[32:33], v[32:33], v[108:109]
	v_add_f64_e32 v[32:33], v[32:33], v[86:87]
	s_wait_loadcnt 0x0
	v_add_f64_e32 v[34:35], v[34:35], v[36:37]
	s_clause 0x1
	scratch_load_b64 v[36:37], off, off th:TH_LOAD_LU
	scratch_load_b64 v[251:252], off, off offset:208 th:TH_LOAD_LU
	v_add_f64_e32 v[34:35], v[184:185], v[34:35]
	s_delay_alu instid0(VALU_DEP_1) | instskip(SKIP_4) | instid1(VALU_DEP_1)
	v_add_f64_e32 v[34:35], v[106:107], v[34:35]
	s_wait_loadcnt 0x0
	v_add_f64_e32 v[36:37], v[36:37], v[251:252]
	scratch_load_b64 v[251:252], off, off offset:216 th:TH_LOAD_LU ; 8-byte Folded Reload
	v_add_f64_e32 v[36:37], v[36:37], v[186:187]
	v_add_f64_e32 v[36:37], v[36:37], v[104:105]
	s_wait_loadcnt 0x0
	v_add_f64_e32 v[38:39], v[251:252], v[38:39]
	scratch_load_b64 v[251:252], off, off offset:224 th:TH_LOAD_LU ; 8-byte Folded Reload
	v_add_f64_e32 v[38:39], v[188:189], v[38:39]
	s_delay_alu instid0(VALU_DEP_1) | instskip(NEXT) | instid1(VALU_DEP_1)
	v_add_f64_e32 v[38:39], v[102:103], v[38:39]
	v_add_f64_e32 v[38:39], v[243:244], v[38:39]
	s_wait_loadcnt 0x0
	v_add_f64_e32 v[40:41], v[40:41], v[251:252]
	scratch_load_b64 v[251:252], off, off offset:232 th:TH_LOAD_LU ; 8-byte Folded Reload
	v_add_f64_e32 v[40:41], v[40:41], v[190:191]
	s_delay_alu instid0(VALU_DEP_1) | instskip(NEXT) | instid1(VALU_DEP_1)
	;; [unrolled: 7-line block ×6, first 2 shown]
	v_add_f64_e32 v[74:75], v[74:75], v[92:93]
	v_add_f64_e32 v[183:184], v[74:75], v[221:222]
	s_wait_loadcnt 0x0
	v_add_f64_e32 v[251:252], v[251:252], v[253:254]
	scratch_load_b64 v[253:254], off, off offset:272 th:TH_LOAD_LU ; 8-byte Folded Reload
	v_add_f64_e32 v[150:151], v[200:201], v[251:252]
	s_delay_alu instid0(VALU_DEP_1)
	v_add_f64_e32 v[72:73], v[72:73], v[150:151]
	s_wait_loadcnt 0x0
	v_add_f64_e32 v[253:254], v[211:212], v[253:254]
	s_clause 0x2
	scratch_load_b64 v[211:212], off, off offset:24 th:TH_LOAD_LU
	scratch_load_b64 v[148:149], off, off offset:280 th:TH_LOAD_LU
	scratch_load_b32 v139, off, off offset:320
	v_add_f64_e32 v[152:153], v[253:254], v[202:203]
	v_add_f64_e32 v[253:254], v[223:224], v[72:73]
	s_delay_alu instid0(VALU_DEP_2)
	v_add_f64_e32 v[50:51], v[152:153], v[50:51]
	s_wait_loadcnt 0x1
	v_add_f64_e32 v[211:212], v[148:149], v[211:212]
	scratch_load_b64 v[148:149], off, off offset:288 th:TH_LOAD_LU ; 8-byte Folded Reload
	v_add_f64_e32 v[154:155], v[204:205], v[211:212]
	v_add_f64_e32 v[211:212], v[50:51], v[225:226]
	s_delay_alu instid0(VALU_DEP_2)
	v_add_f64_e32 v[92:93], v[235:236], v[154:155]
	v_add_f64_e32 v[153:154], v[88:89], v[34:35]
	;; [unrolled: 1-line block ×3, first 2 shown]
	s_clause 0x2
	scratch_store_b64 off, v[28:29], off offset:16
	scratch_store_b64 off, v[32:33], off offset:8
	scratch_store_b64 off, v[34:35], off
	s_wait_loadcnt 0x0
	v_add_f64_e32 v[233:234], v[233:234], v[148:149]
	scratch_load_b64 v[148:149], off, off offset:296 th:TH_LOAD_LU ; 8-byte Folded Reload
	v_add_f64_e32 v[146:147], v[233:234], v[146:147]
	s_delay_alu instid0(VALU_DEP_1) | instskip(SKIP_4) | instid1(VALU_DEP_1)
	v_add_f64_e32 v[185:186], v[146:147], v[237:238]
	s_wait_loadcnt 0x0
	v_add_f64_e32 v[247:248], v[148:149], v[247:248]
	scratch_load_b64 v[148:149], off, off offset:304 th:TH_LOAD_LU ; 8-byte Folded Reload
	v_add_f64_e32 v[144:145], v[144:145], v[247:248]
	v_add_f64_e32 v[187:188], v[48:49], v[144:145]
	s_wait_loadcnt 0x0
	v_add_f64_e32 v[249:250], v[249:250], v[148:149]
	scratch_load_b64 v[148:149], off, off offset:312 th:TH_LOAD_LU ; 8-byte Folded Reload
	v_add_f64_e32 v[142:143], v[249:250], v[142:143]
	s_wait_loadcnt 0x0
	v_add_f64_e32 v[148:149], v[148:149], v[206:207]
	s_delay_alu instid0(VALU_DEP_2) | instskip(NEXT) | instid1(VALU_DEP_2)
	v_add_f64_e32 v[206:207], v[142:143], v[52:53]
	v_add_f64_e32 v[140:141], v[140:141], v[148:149]
	s_delay_alu instid0(VALU_DEP_1)
	v_add_f64_e32 v[251:252], v[54:55], v[140:141]
	scratch_load_b32 v140, off, off offset:324 ; 4-byte Folded Reload
	v_add_f64_e32 v[141:142], v[231:232], v[92:93]
	s_wait_loadcnt 0x0
	s_wait_storecnt 0x0
	s_barrier_signal -1
	s_barrier_wait -1
	global_inv scope:SCOPE_SE
	s_wait_alu 0xfffe
	s_cbranch_vccnz .LBB270_5
; %bb.6:                                ;   in Loop: Header=BB270_3 Depth=1
	s_clause 0x1
	scratch_load_b64 v[167:168], off, off offset:328
	scratch_load_b64 v[36:37], off, off offset:336
	v_mov_b32_e32 v138, 0
	s_branch .LBB270_8
.LBB270_7:                              ;   in Loop: Header=BB270_3 Depth=1
	v_mov_b32_e32 v28, 0
	v_dual_mov_b32 v32, 0 :: v_dual_mov_b32 v153, 0
	v_dual_mov_b32 v34, 0 :: v_dual_mov_b32 v29, 0
	;; [unrolled: 1-line block ×5, first 2 shown]
	v_mov_b32_e32 v0, 0
	v_mov_b32_e32 v4, 0
	;; [unrolled: 1-line block ×8, first 2 shown]
	v_dual_mov_b32 v44, 0 :: v_dual_mov_b32 v183, 0
	v_dual_mov_b32 v211, 0 :: v_dual_mov_b32 v186, 0
	;; [unrolled: 1-line block ×3, first 2 shown]
	v_mov_b32_e32 v251, 0
	v_dual_mov_b32 v1, 0 :: v_dual_mov_b32 v2, 0
	v_dual_mov_b32 v5, 0 :: v_dual_mov_b32 v6, 0
	;; [unrolled: 1-line block ×13, first 2 shown]
	v_mov_b32_e32 v7, 0
	v_mov_b32_e32 v11, 0
	;; [unrolled: 1-line block ×6, first 2 shown]
	s_clause 0x2
	scratch_store_b64 off, v[28:29], off offset:16
	scratch_store_b64 off, v[32:33], off offset:8
	scratch_store_b64 off, v[34:35], off
	v_mov_b32_e32 v31, 0
	v_mov_b32_e32 v39, 0
	;; [unrolled: 1-line block ×3, first 2 shown]
	v_dual_mov_b32 v47, 0 :: v_dual_mov_b32 v254, 0
	v_mov_b32_e32 v142, 0
.LBB270_8:                              ;   in Loop: Header=BB270_3 Depth=1
	s_wait_loadcnt 0x0
	v_add_co_u32 v76, vcc_lo, v36, s18
	v_dual_mov_b32 v160, v23 :: v_dual_mov_b32 v159, v22
	v_dual_mov_b32 v158, v27 :: v_dual_mov_b32 v157, v26
	;; [unrolled: 1-line block ×15, first 2 shown]
	s_wait_alu 0xfffd
	v_add_co_ci_u32_e64 v77, null, s19, v37, vcc_lo
	s_and_not1_b32 vcc_lo, exec_lo, s27
	s_mov_b32 s1, -1
                                        ; implicit-def: $vgpr72_vgpr73
                                        ; implicit-def: $vgpr74_vgpr75
	s_wait_alu 0xfffe
	s_cbranch_vccz .LBB270_10
; %bb.9:                                ;   in Loop: Header=BB270_3 Depth=1
	s_and_not1_b32 vcc_lo, exec_lo, s1
	s_wait_alu 0xfffe
	s_cbranch_vccnz .LBB270_2
	s_branch .LBB270_11
.LBB270_10:                             ;   in Loop: Header=BB270_3 Depth=1
	v_mul_f64_e32 v[0:1], s[40:41], v[187:188]
	v_dual_mov_b32 v10, v179 :: v_dual_mov_b32 v11, v180
	v_dual_mov_b32 v14, v175 :: v_dual_mov_b32 v15, v176
	;; [unrolled: 1-line block ×3, first 2 shown]
	s_delay_alu instid0(VALU_DEP_3) | instskip(SKIP_1) | instid1(VALU_DEP_4)
	v_mul_f64_e32 v[8:9], s[40:41], v[10:11]
	v_mul_f64_e32 v[10:11], s[38:39], v[10:11]
	;; [unrolled: 1-line block ×4, first 2 shown]
	v_dual_mov_b32 v75, v17 :: v_dual_mov_b32 v74, v16
	v_mul_f64_e32 v[16:17], s[40:41], v[18:19]
	v_mul_f64_e32 v[18:19], s[38:39], v[18:19]
	v_dual_mov_b32 v22, v165 :: v_dual_mov_b32 v23, v166
	v_dual_mov_b32 v73, v21 :: v_dual_mov_b32 v72, v20
	s_clause 0x1
	scratch_load_b64 v[32:33], off, off offset:344
	scratch_load_b64 v[34:35], off, off offset:352
	v_mul_f64_e32 v[20:21], s[40:41], v[22:23]
	v_mul_f64_e32 v[22:23], s[38:39], v[22:23]
	;; [unrolled: 1-line block ×5, first 2 shown]
	v_dual_mov_b32 v26, v161 :: v_dual_mov_b32 v27, v162
	v_dual_mov_b32 v42, v155 :: v_dual_mov_b32 v43, v156
	;; [unrolled: 1-line block ×3, first 2 shown]
	s_delay_alu instid0(VALU_DEP_3)
	v_mul_f64_e32 v[24:25], s[40:41], v[26:27]
	v_dual_mov_b32 v38, v157 :: v_dual_mov_b32 v39, v158
	v_dual_mov_b32 v63, v41 :: v_dual_mov_b32 v62, v40
	v_mul_f64_e32 v[40:41], s[40:41], v[42:43]
	v_fma_f64 v[78:79], s[38:39], v[185:186], -v[0:1]
	v_dual_mov_b32 v0, v177 :: v_dual_mov_b32 v1, v178
	v_dual_mov_b32 v54, v149 :: v_dual_mov_b32 v55, v150
	;; [unrolled: 1-line block ×4, first 2 shown]
	s_delay_alu instid0(VALU_DEP_4) | instskip(SKIP_4) | instid1(VALU_DEP_4)
	v_fma_f64 v[88:89], s[40:41], v[0:1], v[10:11]
	v_dual_mov_b32 v10, v173 :: v_dual_mov_b32 v11, v174
	v_mul_f64_e32 v[44:45], s[40:41], v[153:154]
	v_dual_mov_b32 v50, v151 :: v_dual_mov_b32 v51, v152
	v_dual_mov_b32 v60, v147 :: v_dual_mov_b32 v61, v148
	v_fma_f64 v[90:91], s[38:39], v[10:11], -v[12:13]
	v_fma_f64 v[92:93], s[40:41], v[10:11], v[14:15]
	v_dual_mov_b32 v10, v169 :: v_dual_mov_b32 v11, v170
	scratch_load_b64 v[12:13], off, off     ; 8-byte Folded Reload
	v_mul_f64_e32 v[26:27], s[38:39], v[26:27]
	v_mul_f64_e32 v[36:37], s[40:41], v[38:39]
	;; [unrolled: 1-line block ×3, first 2 shown]
	v_fma_f64 v[94:95], s[38:39], v[10:11], -v[16:17]
	v_fma_f64 v[96:97], s[40:41], v[10:11], v[18:19]
	v_dual_mov_b32 v10, v163 :: v_dual_mov_b32 v11, v164
	scratch_load_b64 v[18:19], off, off offset:8 ; 8-byte Folded Reload
	v_mul_f64_e32 v[46:47], s[38:39], v[153:154]
	v_mul_f64_e32 v[52:53], s[40:41], v[54:55]
	;; [unrolled: 1-line block ×3, first 2 shown]
	v_fma_f64 v[100:101], s[40:41], v[10:11], v[22:23]
	scratch_load_b64 v[22:23], off, off offset:16 ; 8-byte Folded Reload
	v_fma_f64 v[80:81], s[40:41], v[185:186], v[2:3]
	v_fma_f64 v[82:83], s[38:39], v[206:207], -v[4:5]
	v_fma_f64 v[86:87], s[38:39], v[0:1], -v[8:9]
	v_mul_f64_e32 v[2:3], s[40:41], v[253:254]
	v_mul_f64_e32 v[4:5], s[38:39], v[253:254]
	;; [unrolled: 1-line block ×9, first 2 shown]
	v_fma_f64 v[84:85], s[40:41], v[206:207], v[6:7]
	v_mul_f64_e32 v[0:1], s[38:39], v[60:61]
	v_mul_f64_e32 v[6:7], s[40:41], v[141:142]
	v_dual_mov_b32 v16, v74 :: v_dual_mov_b32 v17, v75
	v_fma_f64 v[98:99], s[38:39], v[10:11], -v[20:21]
	v_dual_mov_b32 v20, v72 :: v_dual_mov_b32 v21, v73
	s_delay_alu instid0(VALU_DEP_3) | instskip(SKIP_2) | instid1(VALU_DEP_2)
	v_fma_f64 v[102:103], s[38:39], v[16:17], -v[24:25]
	v_dual_mov_b32 v24, v70 :: v_dual_mov_b32 v25, v71
	v_fma_f64 v[104:105], s[40:41], v[16:17], v[26:27]
	v_fma_f64 v[110:111], s[38:39], v[24:25], -v[36:37]
	v_fma_f64 v[112:113], s[40:41], v[24:25], v[38:39]
	v_fma_f64 v[134:135], s[38:39], v[183:184], -v[2:3]
	v_fma_f64 v[136:137], s[40:41], v[183:184], v[4:5]
	v_fma_f64 v[72:73], s[40:41], v[211:212], v[8:9]
	v_fma_f64 v[106:107], s[38:39], v[20:21], -v[28:29]
	v_fma_f64 v[108:109], s[40:41], v[20:21], v[30:31]
	s_wait_loadcnt 0x4
	v_lshlrev_b64_e32 v[32:33], 4, v[32:33]
	s_wait_loadcnt 0x3
	v_lshlrev_b64_e32 v[34:35], 4, v[34:35]
	s_delay_alu instid0(VALU_DEP_2) | instskip(SKIP_1) | instid1(VALU_DEP_3)
	v_add_co_u32 v32, vcc_lo, v76, v32
	s_wait_alu 0xfffd
	v_add_co_ci_u32_e64 v33, null, v77, v33, vcc_lo
	s_delay_alu instid0(VALU_DEP_2) | instskip(SKIP_1) | instid1(VALU_DEP_2)
	v_add_co_u32 v10, vcc_lo, v32, v34
	s_wait_alu 0xfffd
	v_add_co_ci_u32_e64 v11, null, v33, v35, vcc_lo
	v_add_co_u32 v14, vcc_lo, v32, s22
	s_wait_alu 0xfffd
	v_add_co_ci_u32_e64 v15, null, s23, v33, vcc_lo
	s_wait_loadcnt 0x2
	v_fma_f64 v[122:123], s[38:39], v[12:13], -v[48:49]
	v_fma_f64 v[124:125], s[40:41], v[12:13], v[50:51]
	v_add_co_u32 v12, vcc_lo, v14, v34
	s_wait_alu 0xfffd
	v_add_co_ci_u32_e64 v13, null, v15, v35, vcc_lo
	v_add_co_u32 v4, vcc_lo, v14, s22
	s_wait_loadcnt 0x1
	v_fma_f64 v[118:119], s[38:39], v[18:19], -v[44:45]
	v_dual_mov_b32 v44, v58 :: v_dual_mov_b32 v45, v59
	v_fma_f64 v[120:121], s[40:41], v[18:19], v[46:47]
	s_wait_alu 0xfffd
	v_add_co_ci_u32_e64 v5, null, s23, v15, vcc_lo
	s_wait_loadcnt 0x0
	v_fma_f64 v[114:115], s[38:39], v[22:23], -v[40:41]
	v_dual_mov_b32 v40, v62 :: v_dual_mov_b32 v41, v63
	v_fma_f64 v[116:117], s[40:41], v[22:23], v[42:43]
	v_fma_f64 v[130:131], s[38:39], v[44:45], -v[56:57]
	v_fma_f64 v[132:133], s[40:41], v[44:45], v[0:1]
	v_fma_f64 v[0:1], s[38:39], v[211:212], -v[6:7]
	v_fma_f64 v[126:127], s[38:39], v[40:41], -v[52:53]
	v_fma_f64 v[128:129], s[40:41], v[40:41], v[54:55]
	v_add_co_u32 v2, vcc_lo, v4, v34
	s_wait_alu 0xfffd
	v_add_co_ci_u32_e64 v3, null, v5, v35, vcc_lo
	v_add_co_u32 v4, vcc_lo, v4, s22
	s_wait_alu 0xfffd
	v_add_co_ci_u32_e64 v5, null, s23, v5, vcc_lo
	s_clause 0x5
	flat_store_b128 v[10:11], v[78:81]
	flat_store_b128 v[10:11], v[82:85] offset:256
	flat_store_b128 v[10:11], v[86:89] offset:512
	;; [unrolled: 1-line block ×3, first 2 shown]
	flat_store_b128 v[12:13], v[94:97]
	flat_store_b128 v[12:13], v[98:101] offset:256
	v_add_co_u32 v4, vcc_lo, v4, v34
	s_wait_alu 0xfffd
	v_add_co_ci_u32_e64 v5, null, v5, v35, vcc_lo
	s_clause 0x1
	flat_store_b128 v[12:13], v[102:105] offset:512
	flat_store_b128 v[12:13], v[106:109] offset:768
	v_add_co_u32 v74, vcc_lo, 0x300, v4
	s_wait_alu 0xfffd
	v_add_co_ci_u32_e64 v75, null, 0, v5, vcc_lo
	s_clause 0x7
	flat_store_b128 v[2:3], v[110:113]
	flat_store_b128 v[2:3], v[114:117] offset:256
	flat_store_b128 v[2:3], v[118:121] offset:512
	;; [unrolled: 1-line block ×3, first 2 shown]
	flat_store_b128 v[4:5], v[126:129]
	flat_store_b128 v[4:5], v[130:133] offset:256
	flat_store_b128 v[4:5], v[134:137] offset:512
	flat_store_b64 v[4:5], v[0:1] offset:768
	s_cbranch_execnz .LBB270_2
.LBB270_11:                             ;   in Loop: Header=BB270_3 Depth=1
	s_clause 0x1
	scratch_load_b64 v[0:1], off, off offset:352
	scratch_load_b64 v[4:5], off, off offset:376
	v_add_co_u32 v2, vcc_lo, v167, s14
	s_wait_alu 0xfffd
	v_add_co_ci_u32_e64 v3, null, s15, v168, vcc_lo
	v_mul_f64_e32 v[6:7], s[38:39], v[187:188]
	v_dual_mov_b32 v19, v17 :: v_dual_mov_b32 v18, v16
	scratch_load_b64 v[22:23], off, off offset:16 th:TH_LOAD_LU ; 8-byte Folded Reload
	v_fma_f64 v[6:7], s[40:41], v[185:186], v[6:7]
	s_wait_loadcnt 0x2
	v_lshlrev_b64_e32 v[0:1], 4, v[0:1]
	s_wait_loadcnt 0x1
	v_add_co_u32 v14, vcc_lo, v2, v4
	s_wait_alu 0xfffd
	v_add_co_ci_u32_e64 v15, null, v3, v5, vcc_lo
	v_mul_f64_e32 v[4:5], s[40:41], v[187:188]
	s_delay_alu instid0(VALU_DEP_3) | instskip(SKIP_1) | instid1(VALU_DEP_3)
	v_add_co_u32 v2, vcc_lo, v14, v0
	s_wait_alu 0xfffd
	v_add_co_ci_u32_e64 v3, null, v15, v1, vcc_lo
	flat_load_b128 v[72:75], v[2:3]
	v_fma_f64 v[4:5], s[38:39], v[185:186], -v[4:5]
	s_wait_loadcnt_dscnt 0x0
	v_mul_f64_e32 v[8:9], s[8:9], v[74:75]
	v_mul_f64_e32 v[10:11], s[6:7], v[74:75]
	s_delay_alu instid0(VALU_DEP_2) | instskip(NEXT) | instid1(VALU_DEP_2)
	v_fma_f64 v[8:9], s[6:7], v[72:73], -v[8:9]
	v_fma_f64 v[10:11], s[8:9], v[72:73], v[10:11]
	s_delay_alu instid0(VALU_DEP_2) | instskip(SKIP_4) | instid1(VALU_DEP_2)
	v_add_f64_e32 v[68:69], v[4:5], v[8:9]
	scratch_load_b64 v[4:5], off, off offset:344 ; 8-byte Folded Reload
	v_add_f64_e32 v[70:71], v[6:7], v[10:11]
	v_mul_f64_e32 v[6:7], s[40:41], v[251:252]
	v_mul_f64_e32 v[8:9], s[38:39], v[251:252]
	v_fma_f64 v[6:7], s[38:39], v[206:207], -v[6:7]
	s_delay_alu instid0(VALU_DEP_2) | instskip(SKIP_2) | instid1(VALU_DEP_1)
	v_fma_f64 v[8:9], s[40:41], v[206:207], v[8:9]
	s_wait_loadcnt 0x0
	v_lshlrev_b64_e32 v[4:5], 4, v[4:5]
	v_add_co_u32 v16, vcc_lo, v76, v4
	s_wait_alu 0xfffd
	s_delay_alu instid0(VALU_DEP_2) | instskip(NEXT) | instid1(VALU_DEP_2)
	v_add_co_ci_u32_e64 v17, null, v77, v5, vcc_lo
	v_add_co_u32 v4, vcc_lo, v16, v0
	s_wait_alu 0xfffd
	s_delay_alu instid0(VALU_DEP_2)
	v_add_co_ci_u32_e64 v5, null, v17, v1, vcc_lo
	v_add_co_u32 v14, vcc_lo, v14, s20
	s_wait_alu 0xfffd
	v_add_co_ci_u32_e64 v15, null, s21, v15, vcc_lo
	flat_store_b128 v[4:5], v[68:71]
	flat_load_b128 v[68:71], v[2:3] offset:256
	s_wait_loadcnt_dscnt 0x0
	v_mul_f64_e32 v[10:11], s[8:9], v[70:71]
	v_mul_f64_e32 v[12:13], s[6:7], v[70:71]
	s_delay_alu instid0(VALU_DEP_2) | instskip(NEXT) | instid1(VALU_DEP_2)
	v_fma_f64 v[10:11], s[6:7], v[68:69], -v[10:11]
	v_fma_f64 v[12:13], s[8:9], v[68:69], v[12:13]
	s_delay_alu instid0(VALU_DEP_2) | instskip(NEXT) | instid1(VALU_DEP_2)
	v_add_f64_e32 v[64:65], v[6:7], v[10:11]
	v_add_f64_e32 v[66:67], v[8:9], v[12:13]
	v_mul_f64_e32 v[6:7], s[40:41], v[179:180]
	v_mul_f64_e32 v[8:9], s[38:39], v[179:180]
	flat_store_b128 v[4:5], v[64:67] offset:256
	flat_load_b128 v[64:67], v[2:3] offset:512
	v_fma_f64 v[6:7], s[38:39], v[177:178], -v[6:7]
	v_fma_f64 v[8:9], s[40:41], v[177:178], v[8:9]
	s_wait_loadcnt_dscnt 0x0
	v_mul_f64_e32 v[10:11], s[8:9], v[66:67]
	v_mul_f64_e32 v[12:13], s[6:7], v[66:67]
	s_delay_alu instid0(VALU_DEP_2) | instskip(NEXT) | instid1(VALU_DEP_2)
	v_fma_f64 v[10:11], s[6:7], v[64:65], -v[10:11]
	v_fma_f64 v[12:13], s[8:9], v[64:65], v[12:13]
	s_delay_alu instid0(VALU_DEP_2) | instskip(NEXT) | instid1(VALU_DEP_2)
	v_add_f64_e32 v[60:61], v[6:7], v[10:11]
	v_add_f64_e32 v[62:63], v[8:9], v[12:13]
	v_mul_f64_e32 v[6:7], s[38:39], v[175:176]
	flat_store_b128 v[4:5], v[60:63] offset:512
	flat_load_b128 v[60:63], v[2:3] offset:768
	v_mul_f64_e32 v[2:3], s[40:41], v[175:176]
	v_fma_f64 v[6:7], s[40:41], v[173:174], v[6:7]
	s_delay_alu instid0(VALU_DEP_2) | instskip(SKIP_3) | instid1(VALU_DEP_2)
	v_fma_f64 v[2:3], s[38:39], v[173:174], -v[2:3]
	s_wait_loadcnt_dscnt 0x0
	v_mul_f64_e32 v[8:9], s[8:9], v[62:63]
	v_mul_f64_e32 v[10:11], s[6:7], v[62:63]
	v_fma_f64 v[8:9], s[6:7], v[60:61], -v[8:9]
	s_delay_alu instid0(VALU_DEP_2) | instskip(NEXT) | instid1(VALU_DEP_2)
	v_fma_f64 v[10:11], s[8:9], v[60:61], v[10:11]
	v_add_f64_e32 v[56:57], v[2:3], v[8:9]
	s_delay_alu instid0(VALU_DEP_2)
	v_add_f64_e32 v[58:59], v[6:7], v[10:11]
	v_add_co_u32 v2, vcc_lo, v14, v0
	s_wait_alu 0xfffd
	v_add_co_ci_u32_e64 v3, null, v15, v1, vcc_lo
	v_mul_f64_e32 v[6:7], s[38:39], v[171:172]
	v_add_co_u32 v16, vcc_lo, v16, s22
	s_wait_alu 0xfffd
	v_add_co_ci_u32_e64 v17, null, s23, v17, vcc_lo
	flat_store_b128 v[4:5], v[56:59] offset:768
	flat_load_b128 v[56:59], v[2:3]
	v_mul_f64_e32 v[4:5], s[40:41], v[171:172]
	v_fma_f64 v[6:7], s[40:41], v[169:170], v[6:7]
	s_delay_alu instid0(VALU_DEP_2) | instskip(SKIP_3) | instid1(VALU_DEP_2)
	v_fma_f64 v[4:5], s[38:39], v[169:170], -v[4:5]
	s_wait_loadcnt_dscnt 0x0
	v_mul_f64_e32 v[8:9], s[8:9], v[58:59]
	v_mul_f64_e32 v[10:11], s[6:7], v[58:59]
	v_fma_f64 v[8:9], s[6:7], v[56:57], -v[8:9]
	s_delay_alu instid0(VALU_DEP_2) | instskip(NEXT) | instid1(VALU_DEP_2)
	v_fma_f64 v[10:11], s[8:9], v[56:57], v[10:11]
	v_add_f64_e32 v[50:51], v[4:5], v[8:9]
	s_delay_alu instid0(VALU_DEP_2)
	v_add_f64_e32 v[52:53], v[6:7], v[10:11]
	v_add_co_u32 v4, vcc_lo, v16, v0
	s_wait_alu 0xfffd
	v_add_co_ci_u32_e64 v5, null, v17, v1, vcc_lo
	v_mul_f64_e32 v[6:7], s[40:41], v[165:166]
	v_mul_f64_e32 v[8:9], s[38:39], v[165:166]
	v_add_co_u32 v14, vcc_lo, v14, s20
	s_wait_alu 0xfffd
	v_add_co_ci_u32_e64 v15, null, s21, v15, vcc_lo
	flat_store_b128 v[4:5], v[50:53]
	flat_load_b128 v[50:53], v[2:3] offset:256
	v_fma_f64 v[6:7], s[38:39], v[163:164], -v[6:7]
	v_fma_f64 v[8:9], s[40:41], v[163:164], v[8:9]
	s_wait_loadcnt_dscnt 0x0
	v_mul_f64_e32 v[10:11], s[8:9], v[52:53]
	v_mul_f64_e32 v[12:13], s[6:7], v[52:53]
	s_delay_alu instid0(VALU_DEP_2) | instskip(NEXT) | instid1(VALU_DEP_2)
	v_fma_f64 v[10:11], s[6:7], v[50:51], -v[10:11]
	v_fma_f64 v[12:13], s[8:9], v[50:51], v[12:13]
	s_delay_alu instid0(VALU_DEP_2) | instskip(NEXT) | instid1(VALU_DEP_2)
	v_add_f64_e32 v[46:47], v[6:7], v[10:11]
	v_add_f64_e32 v[48:49], v[8:9], v[12:13]
	v_mul_f64_e32 v[6:7], s[40:41], v[161:162]
	v_mul_f64_e32 v[8:9], s[38:39], v[161:162]
	flat_store_b128 v[4:5], v[46:49] offset:256
	flat_load_b128 v[46:49], v[2:3] offset:512
	v_fma_f64 v[6:7], s[38:39], v[18:19], -v[6:7]
	v_fma_f64 v[8:9], s[40:41], v[18:19], v[8:9]
	v_dual_mov_b32 v18, v40 :: v_dual_mov_b32 v19, v41
	s_wait_loadcnt_dscnt 0x0
	v_mul_f64_e32 v[10:11], s[8:9], v[48:49]
	v_mul_f64_e32 v[12:13], s[6:7], v[48:49]
	s_delay_alu instid0(VALU_DEP_2) | instskip(NEXT) | instid1(VALU_DEP_2)
	v_fma_f64 v[10:11], s[6:7], v[46:47], -v[10:11]
	v_fma_f64 v[12:13], s[8:9], v[46:47], v[12:13]
	v_dual_mov_b32 v47, v45 :: v_dual_mov_b32 v46, v44
	s_delay_alu instid0(VALU_DEP_3) | instskip(NEXT) | instid1(VALU_DEP_3)
	v_add_f64_e32 v[42:43], v[6:7], v[10:11]
	v_add_f64_e32 v[44:45], v[8:9], v[12:13]
	v_mul_f64_e32 v[6:7], s[38:39], v[159:160]
	flat_store_b128 v[4:5], v[42:45] offset:512
	flat_load_b128 v[42:45], v[2:3] offset:768
	v_mul_f64_e32 v[2:3], s[40:41], v[159:160]
	v_fma_f64 v[6:7], s[40:41], v[20:21], v[6:7]
	s_delay_alu instid0(VALU_DEP_2) | instskip(SKIP_4) | instid1(VALU_DEP_2)
	v_fma_f64 v[2:3], s[38:39], v[20:21], -v[2:3]
	scratch_load_b64 v[20:21], off, off th:TH_LOAD_LU ; 8-byte Folded Reload
	s_wait_loadcnt_dscnt 0x100
	v_mul_f64_e32 v[8:9], s[8:9], v[44:45]
	v_mul_f64_e32 v[10:11], s[6:7], v[44:45]
	v_fma_f64 v[8:9], s[6:7], v[42:43], -v[8:9]
	s_delay_alu instid0(VALU_DEP_2) | instskip(NEXT) | instid1(VALU_DEP_2)
	v_fma_f64 v[10:11], s[8:9], v[42:43], v[10:11]
	v_add_f64_e32 v[38:39], v[2:3], v[8:9]
	s_delay_alu instid0(VALU_DEP_2)
	v_add_f64_e32 v[40:41], v[6:7], v[10:11]
	v_add_co_u32 v2, vcc_lo, v14, v0
	s_wait_alu 0xfffd
	v_add_co_ci_u32_e64 v3, null, v15, v1, vcc_lo
	v_mul_f64_e32 v[6:7], s[38:39], v[157:158]
	v_add_co_u32 v16, vcc_lo, v16, s22
	s_wait_alu 0xfffd
	v_add_co_ci_u32_e64 v17, null, s23, v17, vcc_lo
	flat_store_b128 v[4:5], v[38:41] offset:768
	flat_load_b128 v[38:41], v[2:3]
	v_mul_f64_e32 v[4:5], s[40:41], v[157:158]
	v_fma_f64 v[6:7], s[40:41], v[24:25], v[6:7]
	s_delay_alu instid0(VALU_DEP_2) | instskip(SKIP_3) | instid1(VALU_DEP_2)
	v_fma_f64 v[4:5], s[38:39], v[24:25], -v[4:5]
	s_wait_loadcnt_dscnt 0x0
	v_mul_f64_e32 v[8:9], s[8:9], v[40:41]
	v_mul_f64_e32 v[10:11], s[6:7], v[40:41]
	v_fma_f64 v[8:9], s[6:7], v[38:39], -v[8:9]
	s_delay_alu instid0(VALU_DEP_2) | instskip(NEXT) | instid1(VALU_DEP_2)
	v_fma_f64 v[10:11], s[8:9], v[38:39], v[10:11]
	v_add_f64_e32 v[34:35], v[4:5], v[8:9]
	s_delay_alu instid0(VALU_DEP_2)
	v_add_f64_e32 v[36:37], v[6:7], v[10:11]
	v_add_co_u32 v4, vcc_lo, v16, v0
	s_wait_alu 0xfffd
	v_add_co_ci_u32_e64 v5, null, v17, v1, vcc_lo
	v_mul_f64_e32 v[6:7], s[40:41], v[155:156]
	v_mul_f64_e32 v[8:9], s[38:39], v[155:156]
	flat_store_b128 v[4:5], v[34:37]
	flat_load_b128 v[34:37], v[2:3] offset:256
	v_fma_f64 v[6:7], s[38:39], v[22:23], -v[6:7]
	v_fma_f64 v[8:9], s[40:41], v[22:23], v[8:9]
	scratch_load_b64 v[22:23], off, off offset:8 th:TH_LOAD_LU ; 8-byte Folded Reload
	s_wait_loadcnt_dscnt 0x100
	v_mul_f64_e32 v[10:11], s[8:9], v[36:37]
	v_mul_f64_e32 v[12:13], s[6:7], v[36:37]
	s_delay_alu instid0(VALU_DEP_2) | instskip(NEXT) | instid1(VALU_DEP_2)
	v_fma_f64 v[10:11], s[6:7], v[34:35], -v[10:11]
	v_fma_f64 v[12:13], s[8:9], v[34:35], v[12:13]
	s_delay_alu instid0(VALU_DEP_2) | instskip(NEXT) | instid1(VALU_DEP_2)
	v_add_f64_e32 v[30:31], v[6:7], v[10:11]
	v_add_f64_e32 v[32:33], v[8:9], v[12:13]
	v_mul_f64_e32 v[6:7], s[40:41], v[153:154]
	v_mul_f64_e32 v[8:9], s[38:39], v[153:154]
	flat_store_b128 v[4:5], v[30:33] offset:256
	flat_load_b128 v[30:33], v[2:3] offset:512
	s_wait_loadcnt 0x1
	v_fma_f64 v[6:7], s[38:39], v[22:23], -v[6:7]
	v_fma_f64 v[8:9], s[40:41], v[22:23], v[8:9]
	s_wait_loadcnt_dscnt 0x0
	v_mul_f64_e32 v[10:11], s[8:9], v[32:33]
	v_mul_f64_e32 v[12:13], s[6:7], v[32:33]
	s_delay_alu instid0(VALU_DEP_2) | instskip(NEXT) | instid1(VALU_DEP_2)
	v_fma_f64 v[10:11], s[6:7], v[30:31], -v[10:11]
	v_fma_f64 v[12:13], s[8:9], v[30:31], v[12:13]
	s_delay_alu instid0(VALU_DEP_2) | instskip(NEXT) | instid1(VALU_DEP_2)
	v_add_f64_e32 v[26:27], v[6:7], v[10:11]
	v_add_f64_e32 v[28:29], v[8:9], v[12:13]
	v_mul_f64_e32 v[6:7], s[38:39], v[151:152]
	flat_store_b128 v[4:5], v[26:29] offset:512
	flat_load_b128 v[26:29], v[2:3] offset:768
	v_mul_f64_e32 v[2:3], s[40:41], v[151:152]
	v_fma_f64 v[6:7], s[40:41], v[20:21], v[6:7]
	s_delay_alu instid0(VALU_DEP_2) | instskip(SKIP_3) | instid1(VALU_DEP_2)
	v_fma_f64 v[2:3], s[38:39], v[20:21], -v[2:3]
	s_wait_loadcnt_dscnt 0x0
	v_mul_f64_e32 v[8:9], s[8:9], v[28:29]
	v_mul_f64_e32 v[10:11], s[6:7], v[28:29]
	v_fma_f64 v[8:9], s[6:7], v[26:27], -v[8:9]
	s_delay_alu instid0(VALU_DEP_2) | instskip(NEXT) | instid1(VALU_DEP_2)
	v_fma_f64 v[10:11], s[8:9], v[26:27], v[10:11]
	v_add_f64_e32 v[22:23], v[2:3], v[8:9]
	s_delay_alu instid0(VALU_DEP_2) | instskip(SKIP_4) | instid1(VALU_DEP_3)
	v_add_f64_e32 v[24:25], v[6:7], v[10:11]
	v_add_co_u32 v2, vcc_lo, v14, s20
	s_wait_alu 0xfffd
	v_add_co_ci_u32_e64 v3, null, s21, v15, vcc_lo
	v_mul_f64_e32 v[6:7], s[38:39], v[149:150]
	v_add_co_u32 v2, vcc_lo, v2, v0
	s_wait_alu 0xfffd
	s_delay_alu instid0(VALU_DEP_3) | instskip(SKIP_4) | instid1(VALU_DEP_2)
	v_add_co_ci_u32_e64 v3, null, v3, v1, vcc_lo
	flat_store_b128 v[4:5], v[22:25] offset:768
	flat_load_b128 v[22:25], v[2:3]
	v_mul_f64_e32 v[4:5], s[40:41], v[149:150]
	v_fma_f64 v[6:7], s[40:41], v[18:19], v[6:7]
	v_fma_f64 v[4:5], s[38:39], v[18:19], -v[4:5]
	s_wait_loadcnt_dscnt 0x0
	v_mul_f64_e32 v[8:9], s[8:9], v[24:25]
	v_mul_f64_e32 v[10:11], s[6:7], v[24:25]
	s_delay_alu instid0(VALU_DEP_2) | instskip(NEXT) | instid1(VALU_DEP_2)
	v_fma_f64 v[8:9], s[6:7], v[22:23], -v[8:9]
	v_fma_f64 v[10:11], s[8:9], v[22:23], v[10:11]
	s_delay_alu instid0(VALU_DEP_2) | instskip(NEXT) | instid1(VALU_DEP_2)
	v_add_f64_e32 v[18:19], v[4:5], v[8:9]
	v_add_f64_e32 v[20:21], v[6:7], v[10:11]
	v_add_co_u32 v4, vcc_lo, v16, s22
	s_wait_alu 0xfffd
	v_add_co_ci_u32_e64 v5, null, s23, v17, vcc_lo
	v_mul_f64_e32 v[6:7], s[38:39], v[147:148]
	s_delay_alu instid0(VALU_DEP_3) | instskip(SKIP_1) | instid1(VALU_DEP_3)
	v_add_co_u32 v0, vcc_lo, v4, v0
	s_wait_alu 0xfffd
	v_add_co_ci_u32_e64 v1, null, v5, v1, vcc_lo
	v_mul_f64_e32 v[4:5], s[40:41], v[147:148]
	s_delay_alu instid0(VALU_DEP_3) | instskip(SKIP_1) | instid1(VALU_DEP_3)
	v_add_co_u32 v74, vcc_lo, 0x300, v0
	s_wait_alu 0xfffd
	v_add_co_ci_u32_e64 v75, null, 0, v1, vcc_lo
	flat_store_b128 v[0:1], v[18:21]
	flat_load_b128 v[18:21], v[2:3] offset:256
	v_fma_f64 v[6:7], s[40:41], v[46:47], v[6:7]
	v_fma_f64 v[4:5], s[38:39], v[46:47], -v[4:5]
	s_wait_loadcnt_dscnt 0x0
	v_mul_f64_e32 v[8:9], s[8:9], v[20:21]
	v_mul_f64_e32 v[10:11], s[6:7], v[20:21]
	s_delay_alu instid0(VALU_DEP_2) | instskip(NEXT) | instid1(VALU_DEP_2)
	v_fma_f64 v[8:9], s[6:7], v[18:19], -v[8:9]
	v_fma_f64 v[10:11], s[8:9], v[18:19], v[10:11]
	s_delay_alu instid0(VALU_DEP_2) | instskip(NEXT) | instid1(VALU_DEP_2)
	v_add_f64_e32 v[14:15], v[4:5], v[8:9]
	v_add_f64_e32 v[16:17], v[6:7], v[10:11]
	v_mul_f64_e32 v[4:5], s[40:41], v[253:254]
	v_mul_f64_e32 v[6:7], s[38:39], v[253:254]
	flat_store_b128 v[0:1], v[14:17] offset:256
	flat_load_b128 v[14:17], v[2:3] offset:512
	v_fma_f64 v[4:5], s[38:39], v[183:184], -v[4:5]
	v_fma_f64 v[6:7], s[40:41], v[183:184], v[6:7]
	s_wait_loadcnt_dscnt 0x0
	v_mul_f64_e32 v[8:9], s[8:9], v[16:17]
	v_mul_f64_e32 v[10:11], s[6:7], v[16:17]
	s_delay_alu instid0(VALU_DEP_2) | instskip(NEXT) | instid1(VALU_DEP_2)
	v_fma_f64 v[8:9], s[6:7], v[14:15], -v[8:9]
	v_fma_f64 v[12:13], s[8:9], v[14:15], v[10:11]
	s_delay_alu instid0(VALU_DEP_2) | instskip(NEXT) | instid1(VALU_DEP_2)
	v_add_f64_e32 v[10:11], v[4:5], v[8:9]
	v_add_f64_e32 v[12:13], v[6:7], v[12:13]
	v_mul_f64_e32 v[4:5], s[38:39], v[141:142]
	flat_store_b128 v[0:1], v[10:13] offset:512
	flat_load_b128 v[10:13], v[2:3] offset:768
	v_mul_f64_e32 v[2:3], s[40:41], v[141:142]
	v_fma_f64 v[4:5], s[40:41], v[211:212], v[4:5]
	s_delay_alu instid0(VALU_DEP_2) | instskip(SKIP_3) | instid1(VALU_DEP_2)
	v_fma_f64 v[2:3], s[38:39], v[211:212], -v[2:3]
	s_wait_loadcnt_dscnt 0x0
	v_mul_f64_e32 v[6:7], s[8:9], v[12:13]
	v_mul_f64_e32 v[8:9], s[6:7], v[12:13]
	v_fma_f64 v[6:7], s[6:7], v[10:11], -v[6:7]
	s_delay_alu instid0(VALU_DEP_2) | instskip(NEXT) | instid1(VALU_DEP_2)
	v_fma_f64 v[8:9], s[8:9], v[10:11], v[8:9]
	v_add_f64_e32 v[2:3], v[2:3], v[6:7]
	s_delay_alu instid0(VALU_DEP_2)
	v_add_f64_e32 v[72:73], v[4:5], v[8:9]
	flat_store_b64 v[0:1], v[2:3] offset:768
	s_branch .LBB270_2
.LBB270_12:
	s_nop 0
	s_sendmsg sendmsg(MSG_DEALLOC_VGPRS)
	s_endpgm
	.section	.rodata,"a",@progbits
	.p2align	6, 0x0
	.amdhsa_kernel _ZN12_GLOBAL__N_127rocblas_gemm_batched_kernelI19rocblas_complex_numIdELi16ELi16ELi64ELi64ELi4ELi64ELi4ELi4ELi64ELc78ELc67EKPKS2_S5_KPS2_EEvlllT_PT11_llSA_llS8_PT12_llPT13_lli
		.amdhsa_group_segment_fixed_size 8192
		.amdhsa_private_segment_fixed_size 388
		.amdhsa_kernarg_size 156
		.amdhsa_user_sgpr_count 2
		.amdhsa_user_sgpr_dispatch_ptr 0
		.amdhsa_user_sgpr_queue_ptr 0
		.amdhsa_user_sgpr_kernarg_segment_ptr 1
		.amdhsa_user_sgpr_dispatch_id 0
		.amdhsa_user_sgpr_private_segment_size 0
		.amdhsa_wavefront_size32 1
		.amdhsa_uses_dynamic_stack 0
		.amdhsa_enable_private_segment 1
		.amdhsa_system_sgpr_workgroup_id_x 1
		.amdhsa_system_sgpr_workgroup_id_y 1
		.amdhsa_system_sgpr_workgroup_id_z 1
		.amdhsa_system_sgpr_workgroup_info 0
		.amdhsa_system_vgpr_workitem_id 1
		.amdhsa_next_free_vgpr 256
		.amdhsa_next_free_sgpr 52
		.amdhsa_reserve_vcc 1
		.amdhsa_float_round_mode_32 0
		.amdhsa_float_round_mode_16_64 0
		.amdhsa_float_denorm_mode_32 3
		.amdhsa_float_denorm_mode_16_64 3
		.amdhsa_fp16_overflow 0
		.amdhsa_workgroup_processor_mode 1
		.amdhsa_memory_ordered 1
		.amdhsa_forward_progress 1
		.amdhsa_inst_pref_size 69
		.amdhsa_round_robin_scheduling 0
		.amdhsa_exception_fp_ieee_invalid_op 0
		.amdhsa_exception_fp_denorm_src 0
		.amdhsa_exception_fp_ieee_div_zero 0
		.amdhsa_exception_fp_ieee_overflow 0
		.amdhsa_exception_fp_ieee_underflow 0
		.amdhsa_exception_fp_ieee_inexact 0
		.amdhsa_exception_int_div_zero 0
	.end_amdhsa_kernel
	.section	.text._ZN12_GLOBAL__N_127rocblas_gemm_batched_kernelI19rocblas_complex_numIdELi16ELi16ELi64ELi64ELi4ELi64ELi4ELi4ELi64ELc78ELc67EKPKS2_S5_KPS2_EEvlllT_PT11_llSA_llS8_PT12_llPT13_lli,"axG",@progbits,_ZN12_GLOBAL__N_127rocblas_gemm_batched_kernelI19rocblas_complex_numIdELi16ELi16ELi64ELi64ELi4ELi64ELi4ELi4ELi64ELc78ELc67EKPKS2_S5_KPS2_EEvlllT_PT11_llSA_llS8_PT12_llPT13_lli,comdat
.Lfunc_end270:
	.size	_ZN12_GLOBAL__N_127rocblas_gemm_batched_kernelI19rocblas_complex_numIdELi16ELi16ELi64ELi64ELi4ELi64ELi4ELi4ELi64ELc78ELc67EKPKS2_S5_KPS2_EEvlllT_PT11_llSA_llS8_PT12_llPT13_lli, .Lfunc_end270-_ZN12_GLOBAL__N_127rocblas_gemm_batched_kernelI19rocblas_complex_numIdELi16ELi16ELi64ELi64ELi4ELi64ELi4ELi4ELi64ELc78ELc67EKPKS2_S5_KPS2_EEvlllT_PT11_llSA_llS8_PT12_llPT13_lli
                                        ; -- End function
	.set _ZN12_GLOBAL__N_127rocblas_gemm_batched_kernelI19rocblas_complex_numIdELi16ELi16ELi64ELi64ELi4ELi64ELi4ELi4ELi64ELc78ELc67EKPKS2_S5_KPS2_EEvlllT_PT11_llSA_llS8_PT12_llPT13_lli.num_vgpr, 256
	.set _ZN12_GLOBAL__N_127rocblas_gemm_batched_kernelI19rocblas_complex_numIdELi16ELi16ELi64ELi64ELi4ELi64ELi4ELi4ELi64ELc78ELc67EKPKS2_S5_KPS2_EEvlllT_PT11_llSA_llS8_PT12_llPT13_lli.num_agpr, 0
	.set _ZN12_GLOBAL__N_127rocblas_gemm_batched_kernelI19rocblas_complex_numIdELi16ELi16ELi64ELi64ELi4ELi64ELi4ELi4ELi64ELc78ELc67EKPKS2_S5_KPS2_EEvlllT_PT11_llSA_llS8_PT12_llPT13_lli.numbered_sgpr, 52
	.set _ZN12_GLOBAL__N_127rocblas_gemm_batched_kernelI19rocblas_complex_numIdELi16ELi16ELi64ELi64ELi4ELi64ELi4ELi4ELi64ELc78ELc67EKPKS2_S5_KPS2_EEvlllT_PT11_llSA_llS8_PT12_llPT13_lli.num_named_barrier, 0
	.set _ZN12_GLOBAL__N_127rocblas_gemm_batched_kernelI19rocblas_complex_numIdELi16ELi16ELi64ELi64ELi4ELi64ELi4ELi4ELi64ELc78ELc67EKPKS2_S5_KPS2_EEvlllT_PT11_llSA_llS8_PT12_llPT13_lli.private_seg_size, 388
	.set _ZN12_GLOBAL__N_127rocblas_gemm_batched_kernelI19rocblas_complex_numIdELi16ELi16ELi64ELi64ELi4ELi64ELi4ELi4ELi64ELc78ELc67EKPKS2_S5_KPS2_EEvlllT_PT11_llSA_llS8_PT12_llPT13_lli.uses_vcc, 1
	.set _ZN12_GLOBAL__N_127rocblas_gemm_batched_kernelI19rocblas_complex_numIdELi16ELi16ELi64ELi64ELi4ELi64ELi4ELi4ELi64ELc78ELc67EKPKS2_S5_KPS2_EEvlllT_PT11_llSA_llS8_PT12_llPT13_lli.uses_flat_scratch, 1
	.set _ZN12_GLOBAL__N_127rocblas_gemm_batched_kernelI19rocblas_complex_numIdELi16ELi16ELi64ELi64ELi4ELi64ELi4ELi4ELi64ELc78ELc67EKPKS2_S5_KPS2_EEvlllT_PT11_llSA_llS8_PT12_llPT13_lli.has_dyn_sized_stack, 0
	.set _ZN12_GLOBAL__N_127rocblas_gemm_batched_kernelI19rocblas_complex_numIdELi16ELi16ELi64ELi64ELi4ELi64ELi4ELi4ELi64ELc78ELc67EKPKS2_S5_KPS2_EEvlllT_PT11_llSA_llS8_PT12_llPT13_lli.has_recursion, 0
	.set _ZN12_GLOBAL__N_127rocblas_gemm_batched_kernelI19rocblas_complex_numIdELi16ELi16ELi64ELi64ELi4ELi64ELi4ELi4ELi64ELc78ELc67EKPKS2_S5_KPS2_EEvlllT_PT11_llSA_llS8_PT12_llPT13_lli.has_indirect_call, 0
	.section	.AMDGPU.csdata,"",@progbits
; Kernel info:
; codeLenInByte = 8780
; TotalNumSgprs: 54
; NumVgprs: 256
; ScratchSize: 388
; MemoryBound: 0
; FloatMode: 240
; IeeeMode: 1
; LDSByteSize: 8192 bytes/workgroup (compile time only)
; SGPRBlocks: 0
; VGPRBlocks: 31
; NumSGPRsForWavesPerEU: 54
; NumVGPRsForWavesPerEU: 256
; Occupancy: 5
; WaveLimiterHint : 1
; COMPUTE_PGM_RSRC2:SCRATCH_EN: 1
; COMPUTE_PGM_RSRC2:USER_SGPR: 2
; COMPUTE_PGM_RSRC2:TRAP_HANDLER: 0
; COMPUTE_PGM_RSRC2:TGID_X_EN: 1
; COMPUTE_PGM_RSRC2:TGID_Y_EN: 1
; COMPUTE_PGM_RSRC2:TGID_Z_EN: 1
; COMPUTE_PGM_RSRC2:TIDIG_COMP_CNT: 1
	.section	.text._ZN12_GLOBAL__N_127rocblas_gemm_batched_kernelI19rocblas_complex_numIdELi16ELi16ELi64ELi64ELi4ELi64ELi4ELi4ELi64ELc84ELc67EKPKS2_S5_KPS2_EEvlllT_PT11_llSA_llS8_PT12_llPT13_lli,"axG",@progbits,_ZN12_GLOBAL__N_127rocblas_gemm_batched_kernelI19rocblas_complex_numIdELi16ELi16ELi64ELi64ELi4ELi64ELi4ELi4ELi64ELc84ELc67EKPKS2_S5_KPS2_EEvlllT_PT11_llSA_llS8_PT12_llPT13_lli,comdat
	.globl	_ZN12_GLOBAL__N_127rocblas_gemm_batched_kernelI19rocblas_complex_numIdELi16ELi16ELi64ELi64ELi4ELi64ELi4ELi4ELi64ELc84ELc67EKPKS2_S5_KPS2_EEvlllT_PT11_llSA_llS8_PT12_llPT13_lli ; -- Begin function _ZN12_GLOBAL__N_127rocblas_gemm_batched_kernelI19rocblas_complex_numIdELi16ELi16ELi64ELi64ELi4ELi64ELi4ELi4ELi64ELc84ELc67EKPKS2_S5_KPS2_EEvlllT_PT11_llSA_llS8_PT12_llPT13_lli
	.p2align	8
	.type	_ZN12_GLOBAL__N_127rocblas_gemm_batched_kernelI19rocblas_complex_numIdELi16ELi16ELi64ELi64ELi4ELi64ELi4ELi4ELi64ELc84ELc67EKPKS2_S5_KPS2_EEvlllT_PT11_llSA_llS8_PT12_llPT13_lli,@function
_ZN12_GLOBAL__N_127rocblas_gemm_batched_kernelI19rocblas_complex_numIdELi16ELi16ELi64ELi64ELi4ELi64ELi4ELi4ELi64ELc84ELc67EKPKS2_S5_KPS2_EEvlllT_PT11_llSA_llS8_PT12_llPT13_lli: ; @_ZN12_GLOBAL__N_127rocblas_gemm_batched_kernelI19rocblas_complex_numIdELi16ELi16ELi64ELi64ELi4ELi64ELi4ELi4ELi64ELc84ELc67EKPKS2_S5_KPS2_EEvlllT_PT11_llSA_llS8_PT12_llPT13_lli
; %bb.0:
	s_load_b32 s24, s[0:1], 0x98
	s_lshr_b32 s2, ttmp7, 16
	s_wait_kmcnt 0x0
	s_cmp_ge_i32 s2, s24
	s_cbranch_scc1 .LBB271_12
; %bb.1:
	s_clause 0x2
	s_load_b512 s[4:19], s[0:1], 0x50
	s_load_b512 s[36:51], s[0:1], 0x10
	s_load_b64 s[20:21], s[0:1], 0x90
	v_dual_mov_b32 v138, 0 :: v_dual_and_b32 v1, 0x3ff, v0
	v_bfe_u32 v2, v0, 10, 10
	s_mov_b32 s22, ttmp9
	s_ashr_i32 s23, ttmp9, 31
	s_lshl_b32 s25, ttmp7, 6
	s_lshl_b64 s[0:1], s[22:23], 6
	v_lshl_add_u32 v4, v2, 4, v1
	s_and_b32 s22, s25, 0x3fffc0
	v_lshl_add_u32 v208, v2, 6, 0x1000
	v_add_nc_u32_e32 v13, s22, v2
	v_lshlrev_b32_e32 v255, 4, v1
	v_lshrrev_b32_e32 v9, 2, v4
	v_and_b32_e32 v10, 63, v4
	s_mov_b32 s3, 0
	s_delay_alu instid0(VALU_DEP_2)
	v_add_co_u32 v2, s22, v9, s22
	s_wait_kmcnt 0x0
	v_mad_co_u64_u32 v[16:17], null, v13, s18, 0
	s_wait_alu 0xf1ff
	v_add_co_ci_u32_e64 v3, null, 0, 0, s22
	v_add_co_u32 v5, s22, s0, v1
	v_and_b32_e32 v0, 3, v0
	s_wait_alu 0xf1ff
	v_add_co_ci_u32_e64 v6, null, s1, 0, s22
	v_lshrrev_b32_e32 v1, 6, v4
	v_or_b32_e32 v11, s0, v10
	s_mul_i32 s0, s44, s1
	scratch_store_b64 off, v[5:6], off offset:344 ; 8-byte Folded Spill
	v_mad_co_u64_u32 v[4:5], null, s50, v0, v[2:3]
	v_dual_mov_b32 v3, v17 :: v_dual_lshlrev_b32 v8, 4, v0
	v_mul_lo_u32 v15, s45, v11
	v_mad_co_u64_u32 v[6:7], null, v13, s12, 0
	v_cmp_eq_f64_e64 s23, s[6:7], 0
	s_delay_alu instid0(VALU_DEP_4)
	v_lshl_or_b32 v14, v9, 6, v8
	v_mad_co_u64_u32 v[8:9], null, s44, v11, 0
	v_cmp_eq_f64_e64 s25, s[8:9], 0
	v_lshlrev_b32_e32 v2, 4, v10
	v_mad_co_u64_u32 v[10:11], null, s51, v0, v[5:6]
	v_mad_co_u64_u32 v[11:12], null, v13, s19, v[3:4]
	s_wait_alu 0xfffe
	v_add3_u32 v9, v9, s0, v15
	v_mad_co_u64_u32 v[12:13], null, v13, s13, v[7:8]
	s_lshl_b64 s[0:1], s[46:47], 4
	v_lshlrev_b32_e32 v0, 4, v1
	v_lshlrev_b64_e32 v[8:9], 4, v[8:9]
	v_mov_b32_e32 v5, v10
	v_dual_mov_b32 v17, v11 :: v_dual_add_nc_u32 v140, 0x1000, v14
	v_mov_b32_e32 v7, v12
	v_lshl_or_b32 v139, v1, 10, v2
	s_wait_alu 0xfffe
	v_add_co_u32 v1, vcc_lo, v8, s0
	s_delay_alu instid0(VALU_DEP_1) | instskip(SKIP_1) | instid1(VALU_DEP_3)
	v_add_co_ci_u32_e64 v2, null, s1, v9, vcc_lo
	v_lshlrev_b64_e32 v[4:5], 4, v[4:5]
	v_add_co_u32 v0, vcc_lo, v1, v0
	scratch_store_b64 off, v[16:17], off offset:352 ; 8-byte Folded Spill
	s_lshl_b64 s[0:1], s[4:5], 4
	s_lshl_b64 s[4:5], s[50:51], 6
	scratch_store_b32 off, v0, off offset:360 ; 4-byte Folded Spill
	s_wait_alu 0xfffd
	v_add_co_ci_u32_e64 v0, null, 0, v2, vcc_lo
	s_lshl_b64 s[14:15], s[14:15], 4
	scratch_store_b32 off, v0, off offset:364 ; 4-byte Folded Spill
	s_wait_alu 0xfffe
	v_add_co_u32 v0, vcc_lo, s0, v4
	v_cmp_gt_i64_e64 s0, s[36:37], 0
	s_wait_alu 0xfffd
	v_add_co_ci_u32_e64 v2, null, s1, v5, vcc_lo
	s_delay_alu instid0(VALU_DEP_3)
	v_or_b32_e32 v0, 8, v0
	s_and_b32 s25, s23, s25
	s_lshl_b64 s[22:23], s[18:19], 4
	v_cndmask_b32_e64 v1, 0, 1, s0
	s_clause 0x1
	scratch_store_b32 off, v2, off offset:368
	scratch_store_b32 off, v0, off offset:372
	s_lshl_b64 s[18:19], s[12:13], 4
	s_lshl_b64 s[12:13], s[20:21], 4
	v_cmp_ne_u32_e64 s0, 1, v1
	v_lshlrev_b64_e32 v[0:1], 4, v[6:7]
	s_wait_alu 0xfffe
	s_lshl_b64 s[18:19], s[18:19], 4
	s_lshl_b64 s[20:21], s[22:23], 4
	s_clause 0x2
	scratch_store_b64 off, v[0:1], off offset:376
	scratch_store_b32 off, v139, off offset:320
	scratch_store_b32 off, v140, off offset:324
	s_branch .LBB271_3
.LBB271_2:                              ;   in Loop: Header=BB271_3 Depth=1
	s_add_co_i32 s2, s2, 0x10000
	flat_store_b64 v[74:75], v[72:73] offset:8
	s_cmp_lt_i32 s2, s24
	s_cbranch_scc0 .LBB271_12
.LBB271_3:                              ; =>This Loop Header: Depth=1
                                        ;     Child Loop BB271_5 Depth 2
	s_lshl_b64 s[22:23], s[2:3], 3
	s_and_b32 vcc_lo, exec_lo, s0
	s_wait_alu 0xfffe
	s_add_nc_u64 s[26:27], s[10:11], s[22:23]
	s_add_nc_u64 s[28:29], s[16:17], s[22:23]
	s_clause 0x1
	global_load_b64 v[167:168], v138, s[26:27]
	global_load_b64 v[36:37], v138, s[28:29]
	s_cbranch_vccnz .LBB271_7
; %bb.4:                                ;   in Loop: Header=BB271_3 Depth=1
	v_mov_b32_e32 v38, 0
	v_dual_mov_b32 v39, 0 :: v_dual_mov_b32 v0, 0
	v_mov_b32_e32 v1, 0
	s_wait_loadcnt 0x0
	s_clause 0x1
	scratch_store_b64 off, v[36:37], off offset:336
	scratch_store_b64 off, v[167:168], off offset:328
	v_mov_b32_e32 v153, 0
	v_mov_b32_e32 v154, 0
	;; [unrolled: 1-line block ×3, first 2 shown]
	scratch_store_b64 off, v[0:1], off      ; 8-byte Folded Spill
	v_mov_b32_e32 v0, 0
	v_mov_b32_e32 v1, 0
	;; [unrolled: 1-line block ×3, first 2 shown]
	s_add_nc_u64 s[26:27], s[42:43], s[22:23]
	s_add_nc_u64 s[22:23], s[48:49], s[22:23]
	s_clause 0x1
	global_load_b64 v[74:75], v138, s[26:27]
	global_load_b64 v[76:77], v138, s[22:23]
	scratch_store_b64 off, v[0:1], off offset:8 ; 8-byte Folded Spill
	v_mov_b32_e32 v0, 0
	v_mov_b32_e32 v1, 0
	v_mov_b32_e32 v141, 0
	v_dual_mov_b32 v253, 0 :: v_dual_mov_b32 v46, 0
	v_mov_b32_e32 v42, 0
	scratch_store_b64 off, v[0:1], off offset:16 ; 8-byte Folded Spill
	scratch_load_b32 v0, off, off offset:360 ; 4-byte Folded Reload
	v_mov_b32_e32 v26, 0
	v_mov_b32_e32 v22, 0
	;; [unrolled: 1-line block ×6, first 2 shown]
	v_dual_mov_b32 v142, 0 :: v_dual_mov_b32 v211, 0
	v_dual_mov_b32 v254, 0 :: v_dual_mov_b32 v183, 0
	;; [unrolled: 1-line block ×14, first 2 shown]
	v_mov_b32_e32 v41, 0
	v_mov_b32_e32 v25, 0
	v_mov_b32_e32 v21, 0
	v_mov_b32_e32 v17, 0
	v_mov_b32_e32 v13, 0
	v_mov_b32_e32 v9, 0
	v_mov_b32_e32 v5, 0
	v_dual_mov_b32 v3, 0 :: v_dual_mov_b32 v252, 0
	v_dual_mov_b32 v207, 0 :: v_dual_mov_b32 v188, 0
	v_mov_b32_e32 v186, 0
	s_mov_b64 s[22:23], 0
	s_wait_loadcnt 0x0
	v_add_co_u32 v213, vcc_lo, v74, v0
	scratch_load_b32 v0, off, off offset:364 ; 4-byte Folded Reload
	s_wait_loadcnt 0x0
	s_wait_alu 0xfffd
	v_add_co_ci_u32_e64 v214, null, v75, v0, vcc_lo
	scratch_load_b32 v0, off, off offset:372 ; 4-byte Folded Reload
	s_wait_loadcnt 0x0
	v_add_co_u32 v76, vcc_lo, v76, v0
	scratch_load_b32 v0, off, off offset:368 ; 4-byte Folded Reload
	s_wait_loadcnt 0x0
	s_wait_alu 0xfffd
	v_add_co_ci_u32_e64 v77, null, v77, v0, vcc_lo
	v_mov_b32_e32 v0, 0
	v_mov_b32_e32 v1, 0
.LBB271_5:                              ;   Parent Loop BB271_3 Depth=1
                                        ; =>  This Inner Loop Header: Depth=2
	flat_load_b128 v[78:81], v[213:214]
	scratch_store_b64 off, v[141:142], off offset:24 ; 8-byte Folded Spill
	v_dual_mov_b32 v36, v153 :: v_dual_mov_b32 v37, v154
	v_dual_mov_b32 v74, v183 :: v_dual_mov_b32 v75, v184
	s_wait_alu 0xfffe
	s_add_nc_u64 s[22:23], s[22:23], 4
	v_add_co_u32 v213, vcc_lo, v213, 64
	s_wait_alu 0xfffe
	v_cmp_lt_i64_e64 s1, s[22:23], s[36:37]
	s_wait_alu 0xfffd
	v_add_co_ci_u32_e64 v214, null, 0, v214, vcc_lo
	s_and_b32 vcc_lo, exec_lo, s1
	s_wait_loadcnt_dscnt 0x0
	ds_store_2addr_b64 v139, v[78:79], v[80:81] offset1:1
	flat_load_b128 v[78:81], v[76:77] offset:-8
	v_add_co_u32 v76, s1, v76, s4
	s_wait_alu 0xf1ff
	v_add_co_ci_u32_e64 v77, null, s5, v77, s1
	s_wait_loadcnt_dscnt 0x0
	v_xor_b32_e32 v81, 0x80000000, v81
	ds_store_b128 v140, v[78:81]
	s_wait_storecnt_dscnt 0x0
	s_barrier_signal -1
	s_barrier_wait -1
	global_inv scope:SCOPE_SE
	ds_load_b128 v[92:95], v208
	ds_load_b128 v[128:131], v255
	ds_load_b128 v[132:135], v255 offset:256
	ds_load_b128 v[156:159], v208 offset:16
	s_wait_dscnt 0x2
	v_mul_f64_e32 v[78:79], v[94:95], v[130:131]
	v_mul_f64_e32 v[80:81], v[92:93], v[130:131]
	s_wait_dscnt 0x1
	v_mul_f64_e32 v[82:83], v[94:95], v[134:135]
	v_mul_f64_e32 v[84:85], v[92:93], v[134:135]
	s_delay_alu instid0(VALU_DEP_4)
	v_fma_f64 v[28:29], v[92:93], v[128:129], -v[78:79]
	scratch_store_b64 off, v[28:29], off offset:32 ; 8-byte Folded Spill
	v_fma_f64 v[28:29], v[94:95], v[128:129], v[80:81]
	scratch_store_b64 off, v[28:29], off offset:40 ; 8-byte Folded Spill
	v_fma_f64 v[28:29], v[92:93], v[132:133], -v[82:83]
	scratch_store_b64 off, v[28:29], off offset:48 ; 8-byte Folded Spill
	v_fma_f64 v[28:29], v[94:95], v[132:133], v[84:85]
	scratch_store_b64 off, v[28:29], off offset:56 ; 8-byte Folded Spill
	ds_load_b128 v[136:139], v255 offset:512
	ds_load_b128 v[140:143], v255 offset:768
	s_wait_dscnt 0x1
	v_mul_f64_e32 v[86:87], v[94:95], v[138:139]
	v_mul_f64_e32 v[88:89], v[92:93], v[138:139]
	s_wait_dscnt 0x0
	v_mul_f64_e32 v[90:91], v[94:95], v[142:143]
	s_delay_alu instid0(VALU_DEP_3)
	v_fma_f64 v[28:29], v[92:93], v[136:137], -v[86:87]
	scratch_store_b64 off, v[28:29], off offset:64 ; 8-byte Folded Spill
	v_fma_f64 v[28:29], v[94:95], v[136:137], v[88:89]
	scratch_store_b64 off, v[28:29], off offset:72 ; 8-byte Folded Spill
	v_fma_f64 v[28:29], v[92:93], v[140:141], -v[90:91]
	v_mul_f64_e32 v[92:93], v[92:93], v[142:143]
	scratch_store_b64 off, v[28:29], off offset:80 ; 8-byte Folded Spill
	v_fma_f64 v[28:29], v[94:95], v[140:141], v[92:93]
	scratch_store_b64 off, v[28:29], off offset:88 ; 8-byte Folded Spill
	ds_load_b128 v[108:111], v208 offset:1024
	ds_load_b128 v[172:175], v208 offset:1040
	;; [unrolled: 1-line block ×3, first 2 shown]
	s_wait_dscnt 0x2
	v_mul_f64_e32 v[94:95], v[110:111], v[130:131]
	v_mul_f64_e32 v[96:97], v[108:109], v[130:131]
	;; [unrolled: 1-line block ×7, first 2 shown]
	v_fma_f64 v[28:29], v[108:109], v[128:129], -v[94:95]
	scratch_store_b64 off, v[28:29], off offset:96 ; 8-byte Folded Spill
	v_fma_f64 v[28:29], v[110:111], v[128:129], v[96:97]
	scratch_store_b64 off, v[28:29], off offset:104 ; 8-byte Folded Spill
	v_fma_f64 v[28:29], v[108:109], v[132:133], -v[98:99]
	scratch_store_b64 off, v[28:29], off offset:112 ; 8-byte Folded Spill
	v_fma_f64 v[28:29], v[110:111], v[132:133], v[100:101]
	scratch_store_b64 off, v[28:29], off offset:120 ; 8-byte Folded Spill
	;; [unrolled: 4-line block ×3, first 2 shown]
	v_fma_f64 v[28:29], v[108:109], v[140:141], -v[106:107]
	v_mul_f64_e32 v[108:109], v[108:109], v[142:143]
	scratch_store_b64 off, v[28:29], off offset:144 ; 8-byte Folded Spill
	v_fma_f64 v[28:29], v[110:111], v[140:141], v[108:109]
	scratch_store_b64 off, v[28:29], off offset:152 ; 8-byte Folded Spill
	v_dual_mov_b32 v28, v187 :: v_dual_mov_b32 v29, v188
	ds_load_b128 v[188:191], v208 offset:2064
	s_wait_dscnt 0x1
	v_mul_f64_e32 v[110:111], v[126:127], v[130:131]
	v_mul_f64_e32 v[112:113], v[124:125], v[130:131]
	;; [unrolled: 1-line block ×7, first 2 shown]
	v_fma_f64 v[32:33], v[124:125], v[128:129], -v[110:111]
	scratch_store_b64 off, v[32:33], off offset:160 ; 8-byte Folded Spill
	v_fma_f64 v[32:33], v[126:127], v[128:129], v[112:113]
	scratch_store_b64 off, v[32:33], off offset:168 ; 8-byte Folded Spill
	v_fma_f64 v[32:33], v[124:125], v[132:133], -v[114:115]
	scratch_store_b64 off, v[32:33], off offset:176 ; 8-byte Folded Spill
	v_fma_f64 v[32:33], v[126:127], v[132:133], v[116:117]
	scratch_store_b64 off, v[32:33], off offset:184 ; 8-byte Folded Spill
	;; [unrolled: 4-line block ×3, first 2 shown]
	v_fma_f64 v[32:33], v[124:125], v[140:141], -v[122:123]
	v_mul_f64_e32 v[124:125], v[124:125], v[142:143]
	scratch_store_b64 off, v[32:33], off offset:208 ; 8-byte Folded Spill
	v_fma_f64 v[32:33], v[126:127], v[140:141], v[124:125]
	scratch_store_b64 off, v[32:33], off offset:216 ; 8-byte Folded Spill
	ds_load_b128 v[144:147], v208 offset:3072
	ds_load_b128 v[215:218], v208 offset:3088
	s_wait_dscnt 0x1
	v_mul_f64_e32 v[126:127], v[146:147], v[130:131]
	v_mul_f64_e32 v[130:131], v[144:145], v[130:131]
	s_delay_alu instid0(VALU_DEP_2)
	v_fma_f64 v[32:33], v[144:145], v[128:129], -v[126:127]
	scratch_store_b64 off, v[32:33], off offset:224 ; 8-byte Folded Spill
	v_fma_f64 v[32:33], v[146:147], v[128:129], v[130:131]
	v_mul_f64_e32 v[130:131], v[146:147], v[134:135]
	v_mul_f64_e32 v[134:135], v[144:145], v[134:135]
	scratch_store_b64 off, v[32:33], off offset:232 ; 8-byte Folded Spill
	v_fma_f64 v[32:33], v[144:145], v[132:133], -v[130:131]
	scratch_store_b64 off, v[32:33], off offset:240 ; 8-byte Folded Spill
	v_fma_f64 v[32:33], v[146:147], v[132:133], v[134:135]
	v_mul_f64_e32 v[134:135], v[146:147], v[138:139]
	v_mul_f64_e32 v[138:139], v[144:145], v[138:139]
	scratch_store_b64 off, v[32:33], off offset:248 ; 8-byte Folded Spill
	;; [unrolled: 6-line block ×3, first 2 shown]
	v_fma_f64 v[32:33], v[144:145], v[140:141], -v[138:139]
	scratch_store_b64 off, v[32:33], off offset:272 ; 8-byte Folded Spill
	v_fma_f64 v[32:33], v[146:147], v[140:141], v[142:143]
	scratch_store_b64 off, v[32:33], off offset:280 ; 8-byte Folded Spill
	ds_load_b128 v[192:195], v255 offset:1024
	ds_load_b128 v[196:199], v255 offset:1280
	s_wait_dscnt 0x1
	v_mul_f64_e32 v[142:143], v[158:159], v[194:195]
	v_mul_f64_e32 v[144:145], v[156:157], v[194:195]
	s_wait_dscnt 0x0
	v_mul_f64_e32 v[146:147], v[158:159], v[198:199]
	v_mul_f64_e32 v[148:149], v[156:157], v[198:199]
	;; [unrolled: 1-line block ×8, first 2 shown]
	v_fma_f64 v[32:33], v[156:157], v[192:193], -v[142:143]
	v_fma_f64 v[162:163], v[172:173], v[196:197], -v[162:163]
	v_fma_f64 v[160:161], v[174:175], v[192:193], v[160:161]
	v_fma_f64 v[164:165], v[174:175], v[196:197], v[164:165]
	v_fma_f64 v[178:179], v[188:189], v[196:197], -v[178:179]
	v_fma_f64 v[176:177], v[190:191], v[192:193], v[176:177]
	v_fma_f64 v[180:181], v[190:191], v[196:197], v[180:181]
	scratch_store_b64 off, v[32:33], off offset:288 ; 8-byte Folded Spill
	v_fma_f64 v[32:33], v[158:159], v[192:193], v[144:145]
	scratch_store_b64 off, v[32:33], off offset:296 ; 8-byte Folded Spill
	v_fma_f64 v[32:33], v[156:157], v[196:197], -v[146:147]
	scratch_store_b64 off, v[32:33], off offset:304 ; 8-byte Folded Spill
	v_fma_f64 v[32:33], v[158:159], v[196:197], v[148:149]
	scratch_store_b64 off, v[32:33], off offset:312 ; 8-byte Folded Spill
	ds_load_b128 v[200:203], v255 offset:1536
	ds_load_b128 v[219:222], v255 offset:1792
	v_dual_mov_b32 v32, v185 :: v_dual_mov_b32 v33, v186
	s_wait_dscnt 0x1
	v_mul_f64_e32 v[150:151], v[158:159], v[202:203]
	s_wait_dscnt 0x0
	v_mul_f64_e32 v[154:155], v[158:159], v[221:222]
	v_mul_f64_e32 v[152:153], v[156:157], v[202:203]
	;; [unrolled: 1-line block ×9, first 2 shown]
	v_fma_f64 v[150:151], v[156:157], v[200:201], -v[150:151]
	v_fma_f64 v[154:155], v[156:157], v[219:220], -v[154:155]
	v_mul_f64_e32 v[156:157], v[156:157], v[221:222]
	v_fma_f64 v[152:153], v[158:159], v[200:201], v[152:153]
	v_fma_f64 v[166:167], v[172:173], v[200:201], -v[166:167]
	v_fma_f64 v[170:171], v[172:173], v[219:220], -v[170:171]
	v_fma_f64 v[168:169], v[174:175], v[200:201], v[168:169]
	v_fma_f64 v[182:183], v[188:189], v[200:201], -v[182:183]
	v_fma_f64 v[186:187], v[188:189], v[219:220], -v[186:187]
	v_fma_f64 v[184:185], v[190:191], v[200:201], v[184:185]
	v_fma_f64 v[204:205], v[217:218], v[219:220], v[204:205]
	;; [unrolled: 1-line block ×3, first 2 shown]
	v_mul_f64_e32 v[158:159], v[174:175], v[194:195]
	s_delay_alu instid0(VALU_DEP_1) | instskip(SKIP_1) | instid1(VALU_DEP_1)
	v_fma_f64 v[158:159], v[172:173], v[192:193], -v[158:159]
	v_mul_f64_e32 v[172:173], v[172:173], v[221:222]
	v_fma_f64 v[172:173], v[174:175], v[219:220], v[172:173]
	v_mul_f64_e32 v[174:175], v[190:191], v[194:195]
	s_delay_alu instid0(VALU_DEP_1) | instskip(SKIP_1) | instid1(VALU_DEP_1)
	v_fma_f64 v[174:175], v[188:189], v[192:193], -v[174:175]
	v_mul_f64_e32 v[188:189], v[188:189], v[221:222]
	v_fma_f64 v[188:189], v[190:191], v[219:220], v[188:189]
	v_mul_f64_e32 v[190:191], v[217:218], v[194:195]
	v_mul_f64_e32 v[194:195], v[215:216], v[194:195]
	s_delay_alu instid0(VALU_DEP_2) | instskip(NEXT) | instid1(VALU_DEP_2)
	v_fma_f64 v[190:191], v[215:216], v[192:193], -v[190:191]
	v_fma_f64 v[192:193], v[217:218], v[192:193], v[194:195]
	v_mul_f64_e32 v[194:195], v[217:218], v[198:199]
	v_mul_f64_e32 v[198:199], v[215:216], v[198:199]
	s_delay_alu instid0(VALU_DEP_2) | instskip(NEXT) | instid1(VALU_DEP_2)
	v_fma_f64 v[194:195], v[215:216], v[196:197], -v[194:195]
	;; [unrolled: 5-line block ×3, first 2 shown]
	v_fma_f64 v[200:201], v[217:218], v[200:201], v[202:203]
	v_mul_f64_e32 v[202:203], v[217:218], v[221:222]
	s_delay_alu instid0(VALU_DEP_1)
	v_fma_f64 v[202:203], v[215:216], v[219:220], -v[202:203]
	ds_load_b128 v[215:218], v208 offset:32
	ds_load_b128 v[219:222], v255 offset:2048
	;; [unrolled: 1-line block ×4, first 2 shown]
	s_wait_dscnt 0x2
	v_mul_f64_e32 v[231:232], v[217:218], v[221:222]
	s_delay_alu instid0(VALU_DEP_1) | instskip(SKIP_1) | instid1(VALU_DEP_1)
	v_fma_f64 v[146:147], v[215:216], v[219:220], -v[231:232]
	v_mul_f64_e32 v[231:232], v[215:216], v[221:222]
	v_fma_f64 v[144:145], v[217:218], v[219:220], v[231:232]
	s_wait_dscnt 0x1
	v_mul_f64_e32 v[231:232], v[217:218], v[225:226]
	s_delay_alu instid0(VALU_DEP_1) | instskip(SKIP_1) | instid1(VALU_DEP_1)
	v_fma_f64 v[142:143], v[215:216], v[223:224], -v[231:232]
	v_mul_f64_e32 v[231:232], v[215:216], v[225:226]
	v_fma_f64 v[140:141], v[217:218], v[223:224], v[231:232]
	ds_load_b128 v[231:234], v255 offset:2560
	ds_load_b128 v[235:238], v255 offset:2816
	s_wait_dscnt 0x1
	v_mul_f64_e32 v[239:240], v[217:218], v[233:234]
	s_delay_alu instid0(VALU_DEP_1) | instskip(SKIP_1) | instid1(VALU_DEP_1)
	v_fma_f64 v[138:139], v[215:216], v[231:232], -v[239:240]
	v_mul_f64_e32 v[239:240], v[215:216], v[233:234]
	v_fma_f64 v[136:137], v[217:218], v[231:232], v[239:240]
	s_wait_dscnt 0x0
	v_mul_f64_e32 v[239:240], v[217:218], v[237:238]
	s_delay_alu instid0(VALU_DEP_1) | instskip(SKIP_1) | instid1(VALU_DEP_1)
	v_fma_f64 v[134:135], v[215:216], v[235:236], -v[239:240]
	v_mul_f64_e32 v[215:216], v[215:216], v[237:238]
	v_fma_f64 v[132:133], v[217:218], v[235:236], v[215:216]
	ds_load_b128 v[215:218], v208 offset:1056
	ds_load_b128 v[239:242], v208 offset:1072
	s_wait_dscnt 0x1
	v_mul_f64_e32 v[243:244], v[217:218], v[221:222]
	s_delay_alu instid0(VALU_DEP_1) | instskip(SKIP_1) | instid1(VALU_DEP_1)
	v_fma_f64 v[130:131], v[215:216], v[219:220], -v[243:244]
	v_mul_f64_e32 v[243:244], v[215:216], v[221:222]
	v_fma_f64 v[209:210], v[217:218], v[219:220], v[243:244]
	v_mul_f64_e32 v[243:244], v[217:218], v[225:226]
	s_delay_alu instid0(VALU_DEP_1) | instskip(SKIP_1) | instid1(VALU_DEP_1)
	v_fma_f64 v[128:129], v[215:216], v[223:224], -v[243:244]
	v_mul_f64_e32 v[243:244], v[215:216], v[225:226]
	v_fma_f64 v[126:127], v[217:218], v[223:224], v[243:244]
	;; [unrolled: 5-line block ×4, first 2 shown]
	ds_load_b128 v[215:218], v208 offset:2080
	ds_load_b128 v[243:246], v208 offset:2096
	s_wait_dscnt 0x1
	v_mul_f64_e32 v[247:248], v[217:218], v[221:222]
	s_delay_alu instid0(VALU_DEP_1) | instskip(SKIP_1) | instid1(VALU_DEP_1)
	v_fma_f64 v[116:117], v[215:216], v[219:220], -v[247:248]
	v_mul_f64_e32 v[247:248], v[215:216], v[221:222]
	v_fma_f64 v[114:115], v[217:218], v[219:220], v[247:248]
	v_mul_f64_e32 v[247:248], v[217:218], v[225:226]
	s_delay_alu instid0(VALU_DEP_1) | instskip(SKIP_1) | instid1(VALU_DEP_1)
	v_fma_f64 v[112:113], v[215:216], v[223:224], -v[247:248]
	v_mul_f64_e32 v[247:248], v[215:216], v[225:226]
	v_fma_f64 v[110:111], v[217:218], v[223:224], v[247:248]
	;; [unrolled: 5-line block ×4, first 2 shown]
	ds_load_b128 v[215:218], v208 offset:3104
	ds_load_b128 v[247:250], v208 offset:3120
	s_wait_dscnt 0x1
	v_mul_f64_e32 v[34:35], v[217:218], v[221:222]
	v_mul_f64_e32 v[221:222], v[215:216], v[221:222]
	s_delay_alu instid0(VALU_DEP_2) | instskip(NEXT) | instid1(VALU_DEP_2)
	v_fma_f64 v[100:101], v[215:216], v[219:220], -v[34:35]
	v_fma_f64 v[98:99], v[217:218], v[219:220], v[221:222]
	v_mul_f64_e32 v[219:220], v[217:218], v[225:226]
	s_delay_alu instid0(VALU_DEP_1) | instskip(SKIP_1) | instid1(VALU_DEP_1)
	v_fma_f64 v[96:97], v[215:216], v[223:224], -v[219:220]
	v_mul_f64_e32 v[219:220], v[215:216], v[225:226]
	v_fma_f64 v[94:95], v[217:218], v[223:224], v[219:220]
	v_mul_f64_e32 v[219:220], v[217:218], v[233:234]
	s_delay_alu instid0(VALU_DEP_1) | instskip(SKIP_1) | instid1(VALU_DEP_1)
	v_fma_f64 v[92:93], v[215:216], v[231:232], -v[219:220]
	v_mul_f64_e32 v[219:220], v[215:216], v[233:234]
	;; [unrolled: 5-line block ×3, first 2 shown]
	v_fma_f64 v[235:236], v[217:218], v[235:236], v[215:216]
	ds_load_b128 v[215:218], v255 offset:3072
	ds_load_b128 v[219:222], v255 offset:3328
	s_wait_dscnt 0x1
	v_mul_f64_e32 v[223:224], v[229:230], v[217:218]
	s_wait_dscnt 0x0
	v_mul_f64_e32 v[64:65], v[241:242], v[221:222]
	v_mul_f64_e32 v[62:63], v[239:240], v[217:218]
	;; [unrolled: 1-line block ×6, first 2 shown]
	v_fma_f64 v[237:238], v[227:228], v[215:216], -v[223:224]
	v_mul_f64_e32 v[223:224], v[227:228], v[217:218]
	v_fma_f64 v[64:65], v[239:240], v[219:220], -v[64:65]
	v_fma_f64 v[62:63], v[241:242], v[215:216], v[62:63]
	v_fma_f64 v[66:67], v[241:242], v[219:220], v[66:67]
	v_fma_f64 v[82:83], v[243:244], v[219:220], -v[82:83]
	v_fma_f64 v[80:81], v[245:246], v[215:216], v[80:81]
	v_fma_f64 v[84:85], v[245:246], v[219:220], v[84:85]
	;; [unrolled: 1-line block ×3, first 2 shown]
	v_mul_f64_e32 v[223:224], v[229:230], v[221:222]
	s_delay_alu instid0(VALU_DEP_1) | instskip(SKIP_1) | instid1(VALU_DEP_1)
	v_fma_f64 v[52:53], v[227:228], v[219:220], -v[223:224]
	v_mul_f64_e32 v[223:224], v[227:228], v[221:222]
	v_fma_f64 v[54:55], v[229:230], v[219:220], v[223:224]
	ds_load_b128 v[223:226], v255 offset:3584
	ds_load_b128 v[231:234], v255 offset:3840
	scratch_load_b64 v[34:35], off, off offset:32 th:TH_LOAD_LU ; 8-byte Folded Reload
	s_wait_dscnt 0x1
	v_mul_f64_e32 v[56:57], v[229:230], v[225:226]
	s_wait_dscnt 0x0
	v_mul_f64_e32 v[60:61], v[229:230], v[233:234]
	v_mul_f64_e32 v[58:59], v[227:228], v[225:226]
	v_mul_f64_e32 v[68:69], v[241:242], v[225:226]
	v_mul_f64_e32 v[78:79], v[241:242], v[233:234]
	v_mul_f64_e32 v[70:71], v[239:240], v[225:226]
	v_mul_f64_e32 v[86:87], v[245:246], v[225:226]
	v_mul_f64_e32 v[90:91], v[245:246], v[233:234]
	v_mul_f64_e32 v[88:89], v[243:244], v[225:226]
	v_fma_f64 v[56:57], v[227:228], v[223:224], -v[56:57]
	v_fma_f64 v[60:61], v[227:228], v[231:232], -v[60:61]
	v_mul_f64_e32 v[227:228], v[227:228], v[233:234]
	v_fma_f64 v[58:59], v[229:230], v[223:224], v[58:59]
	v_fma_f64 v[68:69], v[239:240], v[223:224], -v[68:69]
	v_fma_f64 v[78:79], v[239:240], v[231:232], -v[78:79]
	v_fma_f64 v[70:71], v[241:242], v[223:224], v[70:71]
	v_fma_f64 v[86:87], v[243:244], v[223:224], -v[86:87]
	v_fma_f64 v[90:91], v[243:244], v[231:232], -v[90:91]
	v_fma_f64 v[88:89], v[245:246], v[223:224], v[88:89]
	v_fma_f64 v[227:228], v[229:230], v[231:232], v[227:228]
	v_mul_f64_e32 v[229:230], v[241:242], v[217:218]
	s_delay_alu instid0(VALU_DEP_1) | instskip(SKIP_1) | instid1(VALU_DEP_1)
	v_fma_f64 v[229:230], v[239:240], v[215:216], -v[229:230]
	v_mul_f64_e32 v[239:240], v[239:240], v[233:234]
	v_fma_f64 v[239:240], v[241:242], v[231:232], v[239:240]
	v_mul_f64_e32 v[241:242], v[245:246], v[217:218]
	s_delay_alu instid0(VALU_DEP_1) | instskip(SKIP_1) | instid1(VALU_DEP_1)
	v_fma_f64 v[241:242], v[243:244], v[215:216], -v[241:242]
	v_mul_f64_e32 v[243:244], v[243:244], v[233:234]
	v_fma_f64 v[243:244], v[245:246], v[231:232], v[243:244]
	v_mul_f64_e32 v[245:246], v[249:250], v[217:218]
	v_mul_f64_e32 v[217:218], v[247:248], v[217:218]
	s_delay_alu instid0(VALU_DEP_2) | instskip(NEXT) | instid1(VALU_DEP_2)
	v_fma_f64 v[245:246], v[247:248], v[215:216], -v[245:246]
	v_fma_f64 v[215:216], v[249:250], v[215:216], v[217:218]
	v_mul_f64_e32 v[217:218], v[249:250], v[221:222]
	v_mul_f64_e32 v[221:222], v[247:248], v[221:222]
	s_delay_alu instid0(VALU_DEP_2) | instskip(NEXT) | instid1(VALU_DEP_2)
	v_fma_f64 v[217:218], v[247:248], v[219:220], -v[217:218]
	;; [unrolled: 5-line block ×4, first 2 shown]
	v_fma_f64 v[231:232], v[249:250], v[231:232], v[233:234]
	s_wait_loadcnt 0x0
	v_add_f64_e32 v[233:234], v[32:33], v[34:35]
	scratch_load_b64 v[32:33], off, off offset:40 th:TH_LOAD_LU ; 8-byte Folded Reload
	s_wait_loadcnt 0x0
	v_add_f64_e32 v[247:248], v[32:33], v[28:29]
	scratch_load_b64 v[28:29], off, off offset:48 th:TH_LOAD_LU ; 8-byte Folded Reload
	;; [unrolled: 3-line block ×5, first 2 shown]
	v_add_f64_e32 v[0:1], v[0:1], v[150:151]
	s_delay_alu instid0(VALU_DEP_1) | instskip(NEXT) | instid1(VALU_DEP_1)
	v_add_f64_e32 v[0:1], v[0:1], v[138:139]
	v_add_f64_e32 v[0:1], v[0:1], v[56:57]
	s_wait_loadcnt 0x0
	v_add_f64_e32 v[2:3], v[28:29], v[2:3]
	scratch_load_b64 v[28:29], off, off offset:80 th:TH_LOAD_LU ; 8-byte Folded Reload
	v_add_f64_e32 v[2:3], v[152:153], v[2:3]
	s_delay_alu instid0(VALU_DEP_1) | instskip(NEXT) | instid1(VALU_DEP_1)
	v_add_f64_e32 v[2:3], v[136:137], v[2:3]
	v_add_f64_e32 v[2:3], v[58:59], v[2:3]
	s_wait_loadcnt 0x0
	v_add_f64_e32 v[4:5], v[4:5], v[28:29]
	scratch_load_b64 v[28:29], off, off offset:88 th:TH_LOAD_LU ; 8-byte Folded Reload
	;; [unrolled: 7-line block ×12, first 2 shown]
	v_add_f64_e32 v[24:25], v[24:25], v[174:175]
	s_delay_alu instid0(VALU_DEP_1) | instskip(NEXT) | instid1(VALU_DEP_1)
	v_add_f64_e32 v[24:25], v[24:25], v[116:117]
	v_add_f64_e32 v[24:25], v[24:25], v[241:242]
	s_wait_loadcnt 0x0
	v_add_f64_e32 v[26:27], v[28:29], v[26:27]
	s_clause 0x1
	scratch_load_b64 v[28:29], off, off offset:16 th:TH_LOAD_LU
	scratch_load_b64 v[32:33], off, off offset:176 th:TH_LOAD_LU
	v_add_f64_e32 v[26:27], v[176:177], v[26:27]
	s_delay_alu instid0(VALU_DEP_1) | instskip(NEXT) | instid1(VALU_DEP_1)
	v_add_f64_e32 v[26:27], v[114:115], v[26:27]
	v_add_f64_e32 v[26:27], v[80:81], v[26:27]
	s_wait_loadcnt 0x0
	v_add_f64_e32 v[28:29], v[28:29], v[32:33]
	scratch_load_b64 v[32:33], off, off offset:184 th:TH_LOAD_LU ; 8-byte Folded Reload
	v_add_f64_e32 v[28:29], v[28:29], v[178:179]
	s_delay_alu instid0(VALU_DEP_1) | instskip(NEXT) | instid1(VALU_DEP_1)
	v_add_f64_e32 v[28:29], v[28:29], v[112:113]
	v_add_f64_e32 v[28:29], v[28:29], v[82:83]
	s_wait_loadcnt 0x0
	v_add_f64_e32 v[30:31], v[32:33], v[30:31]
	s_clause 0x1
	scratch_load_b64 v[32:33], off, off offset:8 th:TH_LOAD_LU
	scratch_load_b64 v[34:35], off, off offset:192 th:TH_LOAD_LU
	v_add_f64_e32 v[30:31], v[180:181], v[30:31]
	s_delay_alu instid0(VALU_DEP_1) | instskip(NEXT) | instid1(VALU_DEP_1)
	v_add_f64_e32 v[30:31], v[110:111], v[30:31]
	v_add_f64_e32 v[30:31], v[84:85], v[30:31]
	s_wait_loadcnt 0x0
	v_add_f64_e32 v[32:33], v[32:33], v[34:35]
	scratch_load_b64 v[34:35], off, off offset:200 th:TH_LOAD_LU ; 8-byte Folded Reload
	v_add_f64_e32 v[32:33], v[32:33], v[182:183]
	s_delay_alu instid0(VALU_DEP_1) | instskip(NEXT) | instid1(VALU_DEP_1)
	v_add_f64_e32 v[32:33], v[32:33], v[108:109]
	v_add_f64_e32 v[32:33], v[32:33], v[86:87]
	s_wait_loadcnt 0x0
	v_add_f64_e32 v[34:35], v[34:35], v[36:37]
	s_clause 0x1
	scratch_load_b64 v[36:37], off, off th:TH_LOAD_LU
	scratch_load_b64 v[251:252], off, off offset:208 th:TH_LOAD_LU
	v_add_f64_e32 v[34:35], v[184:185], v[34:35]
	s_delay_alu instid0(VALU_DEP_1) | instskip(SKIP_4) | instid1(VALU_DEP_1)
	v_add_f64_e32 v[34:35], v[106:107], v[34:35]
	s_wait_loadcnt 0x0
	v_add_f64_e32 v[36:37], v[36:37], v[251:252]
	scratch_load_b64 v[251:252], off, off offset:216 th:TH_LOAD_LU ; 8-byte Folded Reload
	v_add_f64_e32 v[36:37], v[36:37], v[186:187]
	v_add_f64_e32 v[36:37], v[36:37], v[104:105]
	s_wait_loadcnt 0x0
	v_add_f64_e32 v[38:39], v[251:252], v[38:39]
	scratch_load_b64 v[251:252], off, off offset:224 th:TH_LOAD_LU ; 8-byte Folded Reload
	v_add_f64_e32 v[38:39], v[188:189], v[38:39]
	s_delay_alu instid0(VALU_DEP_1) | instskip(NEXT) | instid1(VALU_DEP_1)
	v_add_f64_e32 v[38:39], v[102:103], v[38:39]
	v_add_f64_e32 v[38:39], v[243:244], v[38:39]
	s_wait_loadcnt 0x0
	v_add_f64_e32 v[40:41], v[40:41], v[251:252]
	scratch_load_b64 v[251:252], off, off offset:232 th:TH_LOAD_LU ; 8-byte Folded Reload
	v_add_f64_e32 v[40:41], v[40:41], v[190:191]
	s_delay_alu instid0(VALU_DEP_1) | instskip(NEXT) | instid1(VALU_DEP_1)
	;; [unrolled: 7-line block ×6, first 2 shown]
	v_add_f64_e32 v[74:75], v[74:75], v[92:93]
	v_add_f64_e32 v[183:184], v[74:75], v[221:222]
	s_wait_loadcnt 0x0
	v_add_f64_e32 v[251:252], v[251:252], v[253:254]
	scratch_load_b64 v[253:254], off, off offset:272 th:TH_LOAD_LU ; 8-byte Folded Reload
	v_add_f64_e32 v[150:151], v[200:201], v[251:252]
	s_delay_alu instid0(VALU_DEP_1)
	v_add_f64_e32 v[72:73], v[72:73], v[150:151]
	s_wait_loadcnt 0x0
	v_add_f64_e32 v[253:254], v[211:212], v[253:254]
	s_clause 0x2
	scratch_load_b64 v[211:212], off, off offset:24 th:TH_LOAD_LU
	scratch_load_b64 v[148:149], off, off offset:280 th:TH_LOAD_LU
	scratch_load_b32 v139, off, off offset:320
	v_add_f64_e32 v[152:153], v[253:254], v[202:203]
	v_add_f64_e32 v[253:254], v[223:224], v[72:73]
	s_delay_alu instid0(VALU_DEP_2)
	v_add_f64_e32 v[50:51], v[152:153], v[50:51]
	s_wait_loadcnt 0x1
	v_add_f64_e32 v[211:212], v[148:149], v[211:212]
	scratch_load_b64 v[148:149], off, off offset:288 th:TH_LOAD_LU ; 8-byte Folded Reload
	v_add_f64_e32 v[154:155], v[204:205], v[211:212]
	v_add_f64_e32 v[211:212], v[50:51], v[225:226]
	s_delay_alu instid0(VALU_DEP_2)
	v_add_f64_e32 v[92:93], v[235:236], v[154:155]
	v_add_f64_e32 v[153:154], v[88:89], v[34:35]
	;; [unrolled: 1-line block ×3, first 2 shown]
	s_clause 0x2
	scratch_store_b64 off, v[28:29], off offset:16
	scratch_store_b64 off, v[32:33], off offset:8
	scratch_store_b64 off, v[34:35], off
	s_wait_loadcnt 0x0
	v_add_f64_e32 v[233:234], v[233:234], v[148:149]
	scratch_load_b64 v[148:149], off, off offset:296 th:TH_LOAD_LU ; 8-byte Folded Reload
	v_add_f64_e32 v[146:147], v[233:234], v[146:147]
	s_delay_alu instid0(VALU_DEP_1) | instskip(SKIP_4) | instid1(VALU_DEP_1)
	v_add_f64_e32 v[185:186], v[146:147], v[237:238]
	s_wait_loadcnt 0x0
	v_add_f64_e32 v[247:248], v[148:149], v[247:248]
	scratch_load_b64 v[148:149], off, off offset:304 th:TH_LOAD_LU ; 8-byte Folded Reload
	v_add_f64_e32 v[144:145], v[144:145], v[247:248]
	v_add_f64_e32 v[187:188], v[48:49], v[144:145]
	s_wait_loadcnt 0x0
	v_add_f64_e32 v[249:250], v[249:250], v[148:149]
	scratch_load_b64 v[148:149], off, off offset:312 th:TH_LOAD_LU ; 8-byte Folded Reload
	v_add_f64_e32 v[142:143], v[249:250], v[142:143]
	s_wait_loadcnt 0x0
	v_add_f64_e32 v[148:149], v[148:149], v[206:207]
	s_delay_alu instid0(VALU_DEP_2) | instskip(NEXT) | instid1(VALU_DEP_2)
	v_add_f64_e32 v[206:207], v[142:143], v[52:53]
	v_add_f64_e32 v[140:141], v[140:141], v[148:149]
	s_delay_alu instid0(VALU_DEP_1)
	v_add_f64_e32 v[251:252], v[54:55], v[140:141]
	scratch_load_b32 v140, off, off offset:324 ; 4-byte Folded Reload
	v_add_f64_e32 v[141:142], v[231:232], v[92:93]
	s_wait_loadcnt 0x0
	s_wait_storecnt 0x0
	s_barrier_signal -1
	s_barrier_wait -1
	global_inv scope:SCOPE_SE
	s_wait_alu 0xfffe
	s_cbranch_vccnz .LBB271_5
; %bb.6:                                ;   in Loop: Header=BB271_3 Depth=1
	s_clause 0x1
	scratch_load_b64 v[167:168], off, off offset:328
	scratch_load_b64 v[36:37], off, off offset:336
	v_mov_b32_e32 v138, 0
	s_branch .LBB271_8
.LBB271_7:                              ;   in Loop: Header=BB271_3 Depth=1
	v_mov_b32_e32 v28, 0
	v_dual_mov_b32 v32, 0 :: v_dual_mov_b32 v153, 0
	v_dual_mov_b32 v34, 0 :: v_dual_mov_b32 v29, 0
	v_dual_mov_b32 v30, 0 :: v_dual_mov_b32 v33, 0
	v_dual_mov_b32 v154, 0 :: v_dual_mov_b32 v35, 0
	v_dual_mov_b32 v38, 0 :: v_dual_mov_b32 v185, 0
	v_mov_b32_e32 v0, 0
	v_mov_b32_e32 v4, 0
	;; [unrolled: 1-line block ×8, first 2 shown]
	v_dual_mov_b32 v44, 0 :: v_dual_mov_b32 v183, 0
	v_dual_mov_b32 v211, 0 :: v_dual_mov_b32 v186, 0
	;; [unrolled: 1-line block ×3, first 2 shown]
	v_mov_b32_e32 v251, 0
	v_dual_mov_b32 v1, 0 :: v_dual_mov_b32 v2, 0
	v_dual_mov_b32 v5, 0 :: v_dual_mov_b32 v6, 0
	;; [unrolled: 1-line block ×13, first 2 shown]
	v_mov_b32_e32 v7, 0
	v_mov_b32_e32 v11, 0
	;; [unrolled: 1-line block ×6, first 2 shown]
	s_clause 0x2
	scratch_store_b64 off, v[28:29], off offset:16
	scratch_store_b64 off, v[32:33], off offset:8
	scratch_store_b64 off, v[34:35], off
	v_mov_b32_e32 v31, 0
	v_mov_b32_e32 v39, 0
	v_mov_b32_e32 v43, 0
	v_dual_mov_b32 v47, 0 :: v_dual_mov_b32 v254, 0
	v_mov_b32_e32 v142, 0
.LBB271_8:                              ;   in Loop: Header=BB271_3 Depth=1
	s_wait_loadcnt 0x0
	v_add_co_u32 v76, vcc_lo, v36, s12
	v_dual_mov_b32 v160, v23 :: v_dual_mov_b32 v159, v22
	v_dual_mov_b32 v158, v27 :: v_dual_mov_b32 v157, v26
	;; [unrolled: 1-line block ×15, first 2 shown]
	s_wait_alu 0xfffd
	v_add_co_ci_u32_e64 v77, null, s13, v37, vcc_lo
	s_and_not1_b32 vcc_lo, exec_lo, s25
	s_mov_b32 s1, -1
                                        ; implicit-def: $vgpr72_vgpr73
                                        ; implicit-def: $vgpr74_vgpr75
	s_wait_alu 0xfffe
	s_cbranch_vccz .LBB271_10
; %bb.9:                                ;   in Loop: Header=BB271_3 Depth=1
	s_and_not1_b32 vcc_lo, exec_lo, s1
	s_wait_alu 0xfffe
	s_cbranch_vccnz .LBB271_2
	s_branch .LBB271_11
.LBB271_10:                             ;   in Loop: Header=BB271_3 Depth=1
	v_mul_f64_e32 v[0:1], s[40:41], v[187:188]
	v_dual_mov_b32 v10, v179 :: v_dual_mov_b32 v11, v180
	v_dual_mov_b32 v14, v175 :: v_dual_mov_b32 v15, v176
	;; [unrolled: 1-line block ×3, first 2 shown]
	s_delay_alu instid0(VALU_DEP_3) | instskip(SKIP_1) | instid1(VALU_DEP_4)
	v_mul_f64_e32 v[8:9], s[40:41], v[10:11]
	v_mul_f64_e32 v[10:11], s[38:39], v[10:11]
	;; [unrolled: 1-line block ×4, first 2 shown]
	v_dual_mov_b32 v75, v17 :: v_dual_mov_b32 v74, v16
	v_mul_f64_e32 v[16:17], s[40:41], v[18:19]
	v_mul_f64_e32 v[18:19], s[38:39], v[18:19]
	v_dual_mov_b32 v22, v165 :: v_dual_mov_b32 v23, v166
	v_dual_mov_b32 v73, v21 :: v_dual_mov_b32 v72, v20
	s_clause 0x1
	scratch_load_b64 v[32:33], off, off offset:352
	scratch_load_b64 v[34:35], off, off offset:344
	v_mul_f64_e32 v[20:21], s[40:41], v[22:23]
	v_mul_f64_e32 v[22:23], s[38:39], v[22:23]
	;; [unrolled: 1-line block ×5, first 2 shown]
	v_dual_mov_b32 v26, v161 :: v_dual_mov_b32 v27, v162
	v_dual_mov_b32 v42, v155 :: v_dual_mov_b32 v43, v156
	;; [unrolled: 1-line block ×3, first 2 shown]
	s_delay_alu instid0(VALU_DEP_3)
	v_mul_f64_e32 v[24:25], s[40:41], v[26:27]
	v_dual_mov_b32 v38, v157 :: v_dual_mov_b32 v39, v158
	v_dual_mov_b32 v63, v41 :: v_dual_mov_b32 v62, v40
	v_mul_f64_e32 v[40:41], s[40:41], v[42:43]
	v_fma_f64 v[78:79], s[38:39], v[185:186], -v[0:1]
	v_dual_mov_b32 v0, v177 :: v_dual_mov_b32 v1, v178
	v_dual_mov_b32 v54, v149 :: v_dual_mov_b32 v55, v150
	;; [unrolled: 1-line block ×4, first 2 shown]
	s_delay_alu instid0(VALU_DEP_4) | instskip(SKIP_4) | instid1(VALU_DEP_4)
	v_fma_f64 v[88:89], s[40:41], v[0:1], v[10:11]
	v_dual_mov_b32 v10, v173 :: v_dual_mov_b32 v11, v174
	v_mul_f64_e32 v[44:45], s[40:41], v[153:154]
	v_dual_mov_b32 v50, v151 :: v_dual_mov_b32 v51, v152
	v_dual_mov_b32 v60, v147 :: v_dual_mov_b32 v61, v148
	v_fma_f64 v[90:91], s[38:39], v[10:11], -v[12:13]
	v_fma_f64 v[92:93], s[40:41], v[10:11], v[14:15]
	v_dual_mov_b32 v10, v169 :: v_dual_mov_b32 v11, v170
	scratch_load_b64 v[12:13], off, off     ; 8-byte Folded Reload
	v_mul_f64_e32 v[26:27], s[38:39], v[26:27]
	v_mul_f64_e32 v[36:37], s[40:41], v[38:39]
	;; [unrolled: 1-line block ×3, first 2 shown]
	v_fma_f64 v[94:95], s[38:39], v[10:11], -v[16:17]
	v_fma_f64 v[96:97], s[40:41], v[10:11], v[18:19]
	v_dual_mov_b32 v10, v163 :: v_dual_mov_b32 v11, v164
	scratch_load_b64 v[18:19], off, off offset:8 ; 8-byte Folded Reload
	v_mul_f64_e32 v[46:47], s[38:39], v[153:154]
	v_mul_f64_e32 v[52:53], s[40:41], v[54:55]
	;; [unrolled: 1-line block ×3, first 2 shown]
	v_fma_f64 v[100:101], s[40:41], v[10:11], v[22:23]
	scratch_load_b64 v[22:23], off, off offset:16 ; 8-byte Folded Reload
	v_fma_f64 v[80:81], s[40:41], v[185:186], v[2:3]
	v_fma_f64 v[82:83], s[38:39], v[206:207], -v[4:5]
	v_fma_f64 v[86:87], s[38:39], v[0:1], -v[8:9]
	v_mul_f64_e32 v[2:3], s[40:41], v[253:254]
	v_mul_f64_e32 v[4:5], s[38:39], v[253:254]
	;; [unrolled: 1-line block ×9, first 2 shown]
	v_fma_f64 v[84:85], s[40:41], v[206:207], v[6:7]
	v_mul_f64_e32 v[0:1], s[38:39], v[60:61]
	v_mul_f64_e32 v[6:7], s[40:41], v[141:142]
	v_dual_mov_b32 v16, v74 :: v_dual_mov_b32 v17, v75
	v_fma_f64 v[98:99], s[38:39], v[10:11], -v[20:21]
	v_dual_mov_b32 v20, v72 :: v_dual_mov_b32 v21, v73
	s_delay_alu instid0(VALU_DEP_3) | instskip(SKIP_2) | instid1(VALU_DEP_2)
	v_fma_f64 v[102:103], s[38:39], v[16:17], -v[24:25]
	v_dual_mov_b32 v24, v70 :: v_dual_mov_b32 v25, v71
	v_fma_f64 v[104:105], s[40:41], v[16:17], v[26:27]
	v_fma_f64 v[110:111], s[38:39], v[24:25], -v[36:37]
	v_fma_f64 v[112:113], s[40:41], v[24:25], v[38:39]
	v_fma_f64 v[134:135], s[38:39], v[183:184], -v[2:3]
	v_fma_f64 v[136:137], s[40:41], v[183:184], v[4:5]
	v_fma_f64 v[72:73], s[40:41], v[211:212], v[8:9]
	v_fma_f64 v[106:107], s[38:39], v[20:21], -v[28:29]
	v_fma_f64 v[108:109], s[40:41], v[20:21], v[30:31]
	s_wait_loadcnt 0x4
	v_lshlrev_b64_e32 v[32:33], 4, v[32:33]
	s_wait_loadcnt 0x3
	v_lshlrev_b64_e32 v[34:35], 4, v[34:35]
	s_delay_alu instid0(VALU_DEP_2) | instskip(SKIP_1) | instid1(VALU_DEP_3)
	v_add_co_u32 v32, vcc_lo, v76, v32
	s_wait_alu 0xfffd
	v_add_co_ci_u32_e64 v33, null, v77, v33, vcc_lo
	s_delay_alu instid0(VALU_DEP_2) | instskip(SKIP_1) | instid1(VALU_DEP_2)
	v_add_co_u32 v10, vcc_lo, v32, v34
	s_wait_alu 0xfffd
	v_add_co_ci_u32_e64 v11, null, v33, v35, vcc_lo
	v_add_co_u32 v14, vcc_lo, v32, s20
	s_wait_alu 0xfffd
	v_add_co_ci_u32_e64 v15, null, s21, v33, vcc_lo
	s_wait_loadcnt 0x2
	v_fma_f64 v[122:123], s[38:39], v[12:13], -v[48:49]
	v_fma_f64 v[124:125], s[40:41], v[12:13], v[50:51]
	v_add_co_u32 v12, vcc_lo, v14, v34
	s_wait_alu 0xfffd
	v_add_co_ci_u32_e64 v13, null, v15, v35, vcc_lo
	v_add_co_u32 v4, vcc_lo, v14, s20
	s_wait_loadcnt 0x1
	v_fma_f64 v[118:119], s[38:39], v[18:19], -v[44:45]
	v_dual_mov_b32 v44, v58 :: v_dual_mov_b32 v45, v59
	v_fma_f64 v[120:121], s[40:41], v[18:19], v[46:47]
	s_wait_alu 0xfffd
	v_add_co_ci_u32_e64 v5, null, s21, v15, vcc_lo
	s_wait_loadcnt 0x0
	v_fma_f64 v[114:115], s[38:39], v[22:23], -v[40:41]
	v_dual_mov_b32 v40, v62 :: v_dual_mov_b32 v41, v63
	v_fma_f64 v[116:117], s[40:41], v[22:23], v[42:43]
	v_fma_f64 v[130:131], s[38:39], v[44:45], -v[56:57]
	v_fma_f64 v[132:133], s[40:41], v[44:45], v[0:1]
	v_fma_f64 v[0:1], s[38:39], v[211:212], -v[6:7]
	v_fma_f64 v[126:127], s[38:39], v[40:41], -v[52:53]
	v_fma_f64 v[128:129], s[40:41], v[40:41], v[54:55]
	v_add_co_u32 v2, vcc_lo, v4, v34
	s_wait_alu 0xfffd
	v_add_co_ci_u32_e64 v3, null, v5, v35, vcc_lo
	v_add_co_u32 v4, vcc_lo, v4, s20
	s_wait_alu 0xfffd
	v_add_co_ci_u32_e64 v5, null, s21, v5, vcc_lo
	s_clause 0x5
	flat_store_b128 v[10:11], v[78:81]
	flat_store_b128 v[10:11], v[82:85] offset:256
	flat_store_b128 v[10:11], v[86:89] offset:512
	;; [unrolled: 1-line block ×3, first 2 shown]
	flat_store_b128 v[12:13], v[94:97]
	flat_store_b128 v[12:13], v[98:101] offset:256
	v_add_co_u32 v4, vcc_lo, v4, v34
	s_wait_alu 0xfffd
	v_add_co_ci_u32_e64 v5, null, v5, v35, vcc_lo
	s_clause 0x1
	flat_store_b128 v[12:13], v[102:105] offset:512
	flat_store_b128 v[12:13], v[106:109] offset:768
	v_add_co_u32 v74, vcc_lo, 0x300, v4
	s_wait_alu 0xfffd
	v_add_co_ci_u32_e64 v75, null, 0, v5, vcc_lo
	s_clause 0x7
	flat_store_b128 v[2:3], v[110:113]
	flat_store_b128 v[2:3], v[114:117] offset:256
	flat_store_b128 v[2:3], v[118:121] offset:512
	;; [unrolled: 1-line block ×3, first 2 shown]
	flat_store_b128 v[4:5], v[126:129]
	flat_store_b128 v[4:5], v[130:133] offset:256
	flat_store_b128 v[4:5], v[134:137] offset:512
	flat_store_b64 v[4:5], v[0:1] offset:768
	s_cbranch_execnz .LBB271_2
.LBB271_11:                             ;   in Loop: Header=BB271_3 Depth=1
	s_clause 0x2
	scratch_load_b64 v[0:1], off, off offset:344
	scratch_load_b64 v[4:5], off, off offset:376
	scratch_load_b64 v[22:23], off, off offset:16 th:TH_LOAD_LU
	v_add_co_u32 v2, vcc_lo, v167, s14
	s_wait_alu 0xfffd
	v_add_co_ci_u32_e64 v3, null, s15, v168, vcc_lo
	v_mul_f64_e32 v[6:7], s[38:39], v[187:188]
	v_dual_mov_b32 v19, v17 :: v_dual_mov_b32 v18, v16
	s_delay_alu instid0(VALU_DEP_2)
	v_fma_f64 v[6:7], s[40:41], v[185:186], v[6:7]
	s_wait_loadcnt 0x2
	v_lshlrev_b64_e32 v[0:1], 4, v[0:1]
	s_wait_loadcnt 0x1
	v_add_co_u32 v14, vcc_lo, v2, v4
	s_wait_alu 0xfffd
	v_add_co_ci_u32_e64 v15, null, v3, v5, vcc_lo
	v_mul_f64_e32 v[4:5], s[40:41], v[187:188]
	s_delay_alu instid0(VALU_DEP_3) | instskip(SKIP_1) | instid1(VALU_DEP_3)
	v_add_co_u32 v2, vcc_lo, v14, v0
	s_wait_alu 0xfffd
	v_add_co_ci_u32_e64 v3, null, v15, v1, vcc_lo
	flat_load_b128 v[72:75], v[2:3]
	v_fma_f64 v[4:5], s[38:39], v[185:186], -v[4:5]
	s_wait_loadcnt_dscnt 0x0
	v_mul_f64_e32 v[8:9], s[8:9], v[74:75]
	v_mul_f64_e32 v[10:11], s[6:7], v[74:75]
	s_delay_alu instid0(VALU_DEP_2) | instskip(NEXT) | instid1(VALU_DEP_2)
	v_fma_f64 v[8:9], s[6:7], v[72:73], -v[8:9]
	v_fma_f64 v[10:11], s[8:9], v[72:73], v[10:11]
	s_delay_alu instid0(VALU_DEP_2) | instskip(SKIP_4) | instid1(VALU_DEP_2)
	v_add_f64_e32 v[68:69], v[4:5], v[8:9]
	scratch_load_b64 v[4:5], off, off offset:352 ; 8-byte Folded Reload
	v_add_f64_e32 v[70:71], v[6:7], v[10:11]
	v_mul_f64_e32 v[6:7], s[40:41], v[251:252]
	v_mul_f64_e32 v[8:9], s[38:39], v[251:252]
	v_fma_f64 v[6:7], s[38:39], v[206:207], -v[6:7]
	s_delay_alu instid0(VALU_DEP_2) | instskip(SKIP_2) | instid1(VALU_DEP_1)
	v_fma_f64 v[8:9], s[40:41], v[206:207], v[8:9]
	s_wait_loadcnt 0x0
	v_lshlrev_b64_e32 v[4:5], 4, v[4:5]
	v_add_co_u32 v16, vcc_lo, v76, v4
	s_wait_alu 0xfffd
	s_delay_alu instid0(VALU_DEP_2) | instskip(NEXT) | instid1(VALU_DEP_2)
	v_add_co_ci_u32_e64 v17, null, v77, v5, vcc_lo
	v_add_co_u32 v4, vcc_lo, v16, v0
	s_wait_alu 0xfffd
	s_delay_alu instid0(VALU_DEP_2)
	v_add_co_ci_u32_e64 v5, null, v17, v1, vcc_lo
	v_add_co_u32 v14, vcc_lo, v14, s18
	s_wait_alu 0xfffd
	v_add_co_ci_u32_e64 v15, null, s19, v15, vcc_lo
	flat_store_b128 v[4:5], v[68:71]
	flat_load_b128 v[68:71], v[2:3] offset:256
	s_wait_loadcnt_dscnt 0x0
	v_mul_f64_e32 v[10:11], s[8:9], v[70:71]
	v_mul_f64_e32 v[12:13], s[6:7], v[70:71]
	s_delay_alu instid0(VALU_DEP_2) | instskip(NEXT) | instid1(VALU_DEP_2)
	v_fma_f64 v[10:11], s[6:7], v[68:69], -v[10:11]
	v_fma_f64 v[12:13], s[8:9], v[68:69], v[12:13]
	s_delay_alu instid0(VALU_DEP_2) | instskip(NEXT) | instid1(VALU_DEP_2)
	v_add_f64_e32 v[64:65], v[6:7], v[10:11]
	v_add_f64_e32 v[66:67], v[8:9], v[12:13]
	v_mul_f64_e32 v[6:7], s[40:41], v[179:180]
	v_mul_f64_e32 v[8:9], s[38:39], v[179:180]
	flat_store_b128 v[4:5], v[64:67] offset:256
	flat_load_b128 v[64:67], v[2:3] offset:512
	v_fma_f64 v[6:7], s[38:39], v[177:178], -v[6:7]
	v_fma_f64 v[8:9], s[40:41], v[177:178], v[8:9]
	s_wait_loadcnt_dscnt 0x0
	v_mul_f64_e32 v[10:11], s[8:9], v[66:67]
	v_mul_f64_e32 v[12:13], s[6:7], v[66:67]
	s_delay_alu instid0(VALU_DEP_2) | instskip(NEXT) | instid1(VALU_DEP_2)
	v_fma_f64 v[10:11], s[6:7], v[64:65], -v[10:11]
	v_fma_f64 v[12:13], s[8:9], v[64:65], v[12:13]
	s_delay_alu instid0(VALU_DEP_2) | instskip(NEXT) | instid1(VALU_DEP_2)
	v_add_f64_e32 v[60:61], v[6:7], v[10:11]
	v_add_f64_e32 v[62:63], v[8:9], v[12:13]
	v_mul_f64_e32 v[6:7], s[38:39], v[175:176]
	flat_store_b128 v[4:5], v[60:63] offset:512
	flat_load_b128 v[60:63], v[2:3] offset:768
	v_mul_f64_e32 v[2:3], s[40:41], v[175:176]
	v_fma_f64 v[6:7], s[40:41], v[173:174], v[6:7]
	s_delay_alu instid0(VALU_DEP_2) | instskip(SKIP_3) | instid1(VALU_DEP_2)
	v_fma_f64 v[2:3], s[38:39], v[173:174], -v[2:3]
	s_wait_loadcnt_dscnt 0x0
	v_mul_f64_e32 v[8:9], s[8:9], v[62:63]
	v_mul_f64_e32 v[10:11], s[6:7], v[62:63]
	v_fma_f64 v[8:9], s[6:7], v[60:61], -v[8:9]
	s_delay_alu instid0(VALU_DEP_2) | instskip(NEXT) | instid1(VALU_DEP_2)
	v_fma_f64 v[10:11], s[8:9], v[60:61], v[10:11]
	v_add_f64_e32 v[56:57], v[2:3], v[8:9]
	s_delay_alu instid0(VALU_DEP_2)
	v_add_f64_e32 v[58:59], v[6:7], v[10:11]
	v_add_co_u32 v2, vcc_lo, v14, v0
	s_wait_alu 0xfffd
	v_add_co_ci_u32_e64 v3, null, v15, v1, vcc_lo
	v_mul_f64_e32 v[6:7], s[38:39], v[171:172]
	v_add_co_u32 v16, vcc_lo, v16, s20
	s_wait_alu 0xfffd
	v_add_co_ci_u32_e64 v17, null, s21, v17, vcc_lo
	flat_store_b128 v[4:5], v[56:59] offset:768
	flat_load_b128 v[56:59], v[2:3]
	v_mul_f64_e32 v[4:5], s[40:41], v[171:172]
	v_fma_f64 v[6:7], s[40:41], v[169:170], v[6:7]
	s_delay_alu instid0(VALU_DEP_2) | instskip(SKIP_3) | instid1(VALU_DEP_2)
	v_fma_f64 v[4:5], s[38:39], v[169:170], -v[4:5]
	s_wait_loadcnt_dscnt 0x0
	v_mul_f64_e32 v[8:9], s[8:9], v[58:59]
	v_mul_f64_e32 v[10:11], s[6:7], v[58:59]
	v_fma_f64 v[8:9], s[6:7], v[56:57], -v[8:9]
	s_delay_alu instid0(VALU_DEP_2) | instskip(NEXT) | instid1(VALU_DEP_2)
	v_fma_f64 v[10:11], s[8:9], v[56:57], v[10:11]
	v_add_f64_e32 v[50:51], v[4:5], v[8:9]
	s_delay_alu instid0(VALU_DEP_2)
	v_add_f64_e32 v[52:53], v[6:7], v[10:11]
	v_add_co_u32 v4, vcc_lo, v16, v0
	s_wait_alu 0xfffd
	v_add_co_ci_u32_e64 v5, null, v17, v1, vcc_lo
	v_mul_f64_e32 v[6:7], s[40:41], v[165:166]
	v_mul_f64_e32 v[8:9], s[38:39], v[165:166]
	v_add_co_u32 v14, vcc_lo, v14, s18
	s_wait_alu 0xfffd
	v_add_co_ci_u32_e64 v15, null, s19, v15, vcc_lo
	flat_store_b128 v[4:5], v[50:53]
	flat_load_b128 v[50:53], v[2:3] offset:256
	v_fma_f64 v[6:7], s[38:39], v[163:164], -v[6:7]
	v_fma_f64 v[8:9], s[40:41], v[163:164], v[8:9]
	s_wait_loadcnt_dscnt 0x0
	v_mul_f64_e32 v[10:11], s[8:9], v[52:53]
	v_mul_f64_e32 v[12:13], s[6:7], v[52:53]
	s_delay_alu instid0(VALU_DEP_2) | instskip(NEXT) | instid1(VALU_DEP_2)
	v_fma_f64 v[10:11], s[6:7], v[50:51], -v[10:11]
	v_fma_f64 v[12:13], s[8:9], v[50:51], v[12:13]
	s_delay_alu instid0(VALU_DEP_2) | instskip(NEXT) | instid1(VALU_DEP_2)
	v_add_f64_e32 v[46:47], v[6:7], v[10:11]
	v_add_f64_e32 v[48:49], v[8:9], v[12:13]
	v_mul_f64_e32 v[6:7], s[40:41], v[161:162]
	v_mul_f64_e32 v[8:9], s[38:39], v[161:162]
	flat_store_b128 v[4:5], v[46:49] offset:256
	flat_load_b128 v[46:49], v[2:3] offset:512
	v_fma_f64 v[6:7], s[38:39], v[18:19], -v[6:7]
	v_fma_f64 v[8:9], s[40:41], v[18:19], v[8:9]
	v_dual_mov_b32 v18, v40 :: v_dual_mov_b32 v19, v41
	s_wait_loadcnt_dscnt 0x0
	v_mul_f64_e32 v[10:11], s[8:9], v[48:49]
	v_mul_f64_e32 v[12:13], s[6:7], v[48:49]
	s_delay_alu instid0(VALU_DEP_2) | instskip(NEXT) | instid1(VALU_DEP_2)
	v_fma_f64 v[10:11], s[6:7], v[46:47], -v[10:11]
	v_fma_f64 v[12:13], s[8:9], v[46:47], v[12:13]
	v_dual_mov_b32 v47, v45 :: v_dual_mov_b32 v46, v44
	s_delay_alu instid0(VALU_DEP_3) | instskip(NEXT) | instid1(VALU_DEP_3)
	v_add_f64_e32 v[42:43], v[6:7], v[10:11]
	v_add_f64_e32 v[44:45], v[8:9], v[12:13]
	v_mul_f64_e32 v[6:7], s[38:39], v[159:160]
	flat_store_b128 v[4:5], v[42:45] offset:512
	flat_load_b128 v[42:45], v[2:3] offset:768
	v_mul_f64_e32 v[2:3], s[40:41], v[159:160]
	v_fma_f64 v[6:7], s[40:41], v[20:21], v[6:7]
	s_delay_alu instid0(VALU_DEP_2) | instskip(SKIP_4) | instid1(VALU_DEP_2)
	v_fma_f64 v[2:3], s[38:39], v[20:21], -v[2:3]
	scratch_load_b64 v[20:21], off, off th:TH_LOAD_LU ; 8-byte Folded Reload
	s_wait_loadcnt_dscnt 0x100
	v_mul_f64_e32 v[8:9], s[8:9], v[44:45]
	v_mul_f64_e32 v[10:11], s[6:7], v[44:45]
	v_fma_f64 v[8:9], s[6:7], v[42:43], -v[8:9]
	s_delay_alu instid0(VALU_DEP_2) | instskip(NEXT) | instid1(VALU_DEP_2)
	v_fma_f64 v[10:11], s[8:9], v[42:43], v[10:11]
	v_add_f64_e32 v[38:39], v[2:3], v[8:9]
	s_delay_alu instid0(VALU_DEP_2)
	v_add_f64_e32 v[40:41], v[6:7], v[10:11]
	v_add_co_u32 v2, vcc_lo, v14, v0
	s_wait_alu 0xfffd
	v_add_co_ci_u32_e64 v3, null, v15, v1, vcc_lo
	v_mul_f64_e32 v[6:7], s[38:39], v[157:158]
	v_add_co_u32 v16, vcc_lo, v16, s20
	s_wait_alu 0xfffd
	v_add_co_ci_u32_e64 v17, null, s21, v17, vcc_lo
	flat_store_b128 v[4:5], v[38:41] offset:768
	flat_load_b128 v[38:41], v[2:3]
	v_mul_f64_e32 v[4:5], s[40:41], v[157:158]
	v_fma_f64 v[6:7], s[40:41], v[24:25], v[6:7]
	s_delay_alu instid0(VALU_DEP_2) | instskip(SKIP_3) | instid1(VALU_DEP_2)
	v_fma_f64 v[4:5], s[38:39], v[24:25], -v[4:5]
	s_wait_loadcnt_dscnt 0x0
	v_mul_f64_e32 v[8:9], s[8:9], v[40:41]
	v_mul_f64_e32 v[10:11], s[6:7], v[40:41]
	v_fma_f64 v[8:9], s[6:7], v[38:39], -v[8:9]
	s_delay_alu instid0(VALU_DEP_2) | instskip(NEXT) | instid1(VALU_DEP_2)
	v_fma_f64 v[10:11], s[8:9], v[38:39], v[10:11]
	v_add_f64_e32 v[34:35], v[4:5], v[8:9]
	s_delay_alu instid0(VALU_DEP_2)
	v_add_f64_e32 v[36:37], v[6:7], v[10:11]
	v_add_co_u32 v4, vcc_lo, v16, v0
	s_wait_alu 0xfffd
	v_add_co_ci_u32_e64 v5, null, v17, v1, vcc_lo
	v_mul_f64_e32 v[6:7], s[40:41], v[155:156]
	v_mul_f64_e32 v[8:9], s[38:39], v[155:156]
	flat_store_b128 v[4:5], v[34:37]
	flat_load_b128 v[34:37], v[2:3] offset:256
	v_fma_f64 v[6:7], s[38:39], v[22:23], -v[6:7]
	v_fma_f64 v[8:9], s[40:41], v[22:23], v[8:9]
	scratch_load_b64 v[22:23], off, off offset:8 th:TH_LOAD_LU ; 8-byte Folded Reload
	s_wait_loadcnt_dscnt 0x100
	v_mul_f64_e32 v[10:11], s[8:9], v[36:37]
	v_mul_f64_e32 v[12:13], s[6:7], v[36:37]
	s_delay_alu instid0(VALU_DEP_2) | instskip(NEXT) | instid1(VALU_DEP_2)
	v_fma_f64 v[10:11], s[6:7], v[34:35], -v[10:11]
	v_fma_f64 v[12:13], s[8:9], v[34:35], v[12:13]
	s_delay_alu instid0(VALU_DEP_2) | instskip(NEXT) | instid1(VALU_DEP_2)
	v_add_f64_e32 v[30:31], v[6:7], v[10:11]
	v_add_f64_e32 v[32:33], v[8:9], v[12:13]
	v_mul_f64_e32 v[6:7], s[40:41], v[153:154]
	v_mul_f64_e32 v[8:9], s[38:39], v[153:154]
	flat_store_b128 v[4:5], v[30:33] offset:256
	flat_load_b128 v[30:33], v[2:3] offset:512
	s_wait_loadcnt 0x1
	v_fma_f64 v[6:7], s[38:39], v[22:23], -v[6:7]
	v_fma_f64 v[8:9], s[40:41], v[22:23], v[8:9]
	s_wait_loadcnt_dscnt 0x0
	v_mul_f64_e32 v[10:11], s[8:9], v[32:33]
	v_mul_f64_e32 v[12:13], s[6:7], v[32:33]
	s_delay_alu instid0(VALU_DEP_2) | instskip(NEXT) | instid1(VALU_DEP_2)
	v_fma_f64 v[10:11], s[6:7], v[30:31], -v[10:11]
	v_fma_f64 v[12:13], s[8:9], v[30:31], v[12:13]
	s_delay_alu instid0(VALU_DEP_2) | instskip(NEXT) | instid1(VALU_DEP_2)
	v_add_f64_e32 v[26:27], v[6:7], v[10:11]
	v_add_f64_e32 v[28:29], v[8:9], v[12:13]
	v_mul_f64_e32 v[6:7], s[38:39], v[151:152]
	flat_store_b128 v[4:5], v[26:29] offset:512
	flat_load_b128 v[26:29], v[2:3] offset:768
	v_mul_f64_e32 v[2:3], s[40:41], v[151:152]
	v_fma_f64 v[6:7], s[40:41], v[20:21], v[6:7]
	s_delay_alu instid0(VALU_DEP_2) | instskip(SKIP_3) | instid1(VALU_DEP_2)
	v_fma_f64 v[2:3], s[38:39], v[20:21], -v[2:3]
	s_wait_loadcnt_dscnt 0x0
	v_mul_f64_e32 v[8:9], s[8:9], v[28:29]
	v_mul_f64_e32 v[10:11], s[6:7], v[28:29]
	v_fma_f64 v[8:9], s[6:7], v[26:27], -v[8:9]
	s_delay_alu instid0(VALU_DEP_2) | instskip(NEXT) | instid1(VALU_DEP_2)
	v_fma_f64 v[10:11], s[8:9], v[26:27], v[10:11]
	v_add_f64_e32 v[22:23], v[2:3], v[8:9]
	s_delay_alu instid0(VALU_DEP_2) | instskip(SKIP_4) | instid1(VALU_DEP_3)
	v_add_f64_e32 v[24:25], v[6:7], v[10:11]
	v_add_co_u32 v2, vcc_lo, v14, s18
	s_wait_alu 0xfffd
	v_add_co_ci_u32_e64 v3, null, s19, v15, vcc_lo
	v_mul_f64_e32 v[6:7], s[38:39], v[149:150]
	v_add_co_u32 v2, vcc_lo, v2, v0
	s_wait_alu 0xfffd
	s_delay_alu instid0(VALU_DEP_3) | instskip(SKIP_4) | instid1(VALU_DEP_2)
	v_add_co_ci_u32_e64 v3, null, v3, v1, vcc_lo
	flat_store_b128 v[4:5], v[22:25] offset:768
	flat_load_b128 v[22:25], v[2:3]
	v_mul_f64_e32 v[4:5], s[40:41], v[149:150]
	v_fma_f64 v[6:7], s[40:41], v[18:19], v[6:7]
	v_fma_f64 v[4:5], s[38:39], v[18:19], -v[4:5]
	s_wait_loadcnt_dscnt 0x0
	v_mul_f64_e32 v[8:9], s[8:9], v[24:25]
	v_mul_f64_e32 v[10:11], s[6:7], v[24:25]
	s_delay_alu instid0(VALU_DEP_2) | instskip(NEXT) | instid1(VALU_DEP_2)
	v_fma_f64 v[8:9], s[6:7], v[22:23], -v[8:9]
	v_fma_f64 v[10:11], s[8:9], v[22:23], v[10:11]
	s_delay_alu instid0(VALU_DEP_2) | instskip(NEXT) | instid1(VALU_DEP_2)
	v_add_f64_e32 v[18:19], v[4:5], v[8:9]
	v_add_f64_e32 v[20:21], v[6:7], v[10:11]
	v_add_co_u32 v4, vcc_lo, v16, s20
	s_wait_alu 0xfffd
	v_add_co_ci_u32_e64 v5, null, s21, v17, vcc_lo
	v_mul_f64_e32 v[6:7], s[38:39], v[147:148]
	s_delay_alu instid0(VALU_DEP_3) | instskip(SKIP_1) | instid1(VALU_DEP_3)
	v_add_co_u32 v0, vcc_lo, v4, v0
	s_wait_alu 0xfffd
	v_add_co_ci_u32_e64 v1, null, v5, v1, vcc_lo
	v_mul_f64_e32 v[4:5], s[40:41], v[147:148]
	s_delay_alu instid0(VALU_DEP_3) | instskip(SKIP_1) | instid1(VALU_DEP_3)
	v_add_co_u32 v74, vcc_lo, 0x300, v0
	s_wait_alu 0xfffd
	v_add_co_ci_u32_e64 v75, null, 0, v1, vcc_lo
	flat_store_b128 v[0:1], v[18:21]
	flat_load_b128 v[18:21], v[2:3] offset:256
	v_fma_f64 v[6:7], s[40:41], v[46:47], v[6:7]
	v_fma_f64 v[4:5], s[38:39], v[46:47], -v[4:5]
	s_wait_loadcnt_dscnt 0x0
	v_mul_f64_e32 v[8:9], s[8:9], v[20:21]
	v_mul_f64_e32 v[10:11], s[6:7], v[20:21]
	s_delay_alu instid0(VALU_DEP_2) | instskip(NEXT) | instid1(VALU_DEP_2)
	v_fma_f64 v[8:9], s[6:7], v[18:19], -v[8:9]
	v_fma_f64 v[10:11], s[8:9], v[18:19], v[10:11]
	s_delay_alu instid0(VALU_DEP_2) | instskip(NEXT) | instid1(VALU_DEP_2)
	v_add_f64_e32 v[14:15], v[4:5], v[8:9]
	v_add_f64_e32 v[16:17], v[6:7], v[10:11]
	v_mul_f64_e32 v[4:5], s[40:41], v[253:254]
	v_mul_f64_e32 v[6:7], s[38:39], v[253:254]
	flat_store_b128 v[0:1], v[14:17] offset:256
	flat_load_b128 v[14:17], v[2:3] offset:512
	v_fma_f64 v[4:5], s[38:39], v[183:184], -v[4:5]
	v_fma_f64 v[6:7], s[40:41], v[183:184], v[6:7]
	s_wait_loadcnt_dscnt 0x0
	v_mul_f64_e32 v[8:9], s[8:9], v[16:17]
	v_mul_f64_e32 v[10:11], s[6:7], v[16:17]
	s_delay_alu instid0(VALU_DEP_2) | instskip(NEXT) | instid1(VALU_DEP_2)
	v_fma_f64 v[8:9], s[6:7], v[14:15], -v[8:9]
	v_fma_f64 v[12:13], s[8:9], v[14:15], v[10:11]
	s_delay_alu instid0(VALU_DEP_2) | instskip(NEXT) | instid1(VALU_DEP_2)
	v_add_f64_e32 v[10:11], v[4:5], v[8:9]
	v_add_f64_e32 v[12:13], v[6:7], v[12:13]
	v_mul_f64_e32 v[4:5], s[38:39], v[141:142]
	flat_store_b128 v[0:1], v[10:13] offset:512
	flat_load_b128 v[10:13], v[2:3] offset:768
	v_mul_f64_e32 v[2:3], s[40:41], v[141:142]
	v_fma_f64 v[4:5], s[40:41], v[211:212], v[4:5]
	s_delay_alu instid0(VALU_DEP_2) | instskip(SKIP_3) | instid1(VALU_DEP_2)
	v_fma_f64 v[2:3], s[38:39], v[211:212], -v[2:3]
	s_wait_loadcnt_dscnt 0x0
	v_mul_f64_e32 v[6:7], s[8:9], v[12:13]
	v_mul_f64_e32 v[8:9], s[6:7], v[12:13]
	v_fma_f64 v[6:7], s[6:7], v[10:11], -v[6:7]
	s_delay_alu instid0(VALU_DEP_2) | instskip(NEXT) | instid1(VALU_DEP_2)
	v_fma_f64 v[8:9], s[8:9], v[10:11], v[8:9]
	v_add_f64_e32 v[2:3], v[2:3], v[6:7]
	s_delay_alu instid0(VALU_DEP_2)
	v_add_f64_e32 v[72:73], v[4:5], v[8:9]
	flat_store_b64 v[0:1], v[2:3] offset:768
	s_branch .LBB271_2
.LBB271_12:
	s_nop 0
	s_sendmsg sendmsg(MSG_DEALLOC_VGPRS)
	s_endpgm
	.section	.rodata,"a",@progbits
	.p2align	6, 0x0
	.amdhsa_kernel _ZN12_GLOBAL__N_127rocblas_gemm_batched_kernelI19rocblas_complex_numIdELi16ELi16ELi64ELi64ELi4ELi64ELi4ELi4ELi64ELc84ELc67EKPKS2_S5_KPS2_EEvlllT_PT11_llSA_llS8_PT12_llPT13_lli
		.amdhsa_group_segment_fixed_size 8192
		.amdhsa_private_segment_fixed_size 388
		.amdhsa_kernarg_size 156
		.amdhsa_user_sgpr_count 2
		.amdhsa_user_sgpr_dispatch_ptr 0
		.amdhsa_user_sgpr_queue_ptr 0
		.amdhsa_user_sgpr_kernarg_segment_ptr 1
		.amdhsa_user_sgpr_dispatch_id 0
		.amdhsa_user_sgpr_private_segment_size 0
		.amdhsa_wavefront_size32 1
		.amdhsa_uses_dynamic_stack 0
		.amdhsa_enable_private_segment 1
		.amdhsa_system_sgpr_workgroup_id_x 1
		.amdhsa_system_sgpr_workgroup_id_y 1
		.amdhsa_system_sgpr_workgroup_id_z 1
		.amdhsa_system_sgpr_workgroup_info 0
		.amdhsa_system_vgpr_workitem_id 1
		.amdhsa_next_free_vgpr 256
		.amdhsa_next_free_sgpr 52
		.amdhsa_reserve_vcc 1
		.amdhsa_float_round_mode_32 0
		.amdhsa_float_round_mode_16_64 0
		.amdhsa_float_denorm_mode_32 3
		.amdhsa_float_denorm_mode_16_64 3
		.amdhsa_fp16_overflow 0
		.amdhsa_workgroup_processor_mode 1
		.amdhsa_memory_ordered 1
		.amdhsa_forward_progress 1
		.amdhsa_inst_pref_size 69
		.amdhsa_round_robin_scheduling 0
		.amdhsa_exception_fp_ieee_invalid_op 0
		.amdhsa_exception_fp_denorm_src 0
		.amdhsa_exception_fp_ieee_div_zero 0
		.amdhsa_exception_fp_ieee_overflow 0
		.amdhsa_exception_fp_ieee_underflow 0
		.amdhsa_exception_fp_ieee_inexact 0
		.amdhsa_exception_int_div_zero 0
	.end_amdhsa_kernel
	.section	.text._ZN12_GLOBAL__N_127rocblas_gemm_batched_kernelI19rocblas_complex_numIdELi16ELi16ELi64ELi64ELi4ELi64ELi4ELi4ELi64ELc84ELc67EKPKS2_S5_KPS2_EEvlllT_PT11_llSA_llS8_PT12_llPT13_lli,"axG",@progbits,_ZN12_GLOBAL__N_127rocblas_gemm_batched_kernelI19rocblas_complex_numIdELi16ELi16ELi64ELi64ELi4ELi64ELi4ELi4ELi64ELc84ELc67EKPKS2_S5_KPS2_EEvlllT_PT11_llSA_llS8_PT12_llPT13_lli,comdat
.Lfunc_end271:
	.size	_ZN12_GLOBAL__N_127rocblas_gemm_batched_kernelI19rocblas_complex_numIdELi16ELi16ELi64ELi64ELi4ELi64ELi4ELi4ELi64ELc84ELc67EKPKS2_S5_KPS2_EEvlllT_PT11_llSA_llS8_PT12_llPT13_lli, .Lfunc_end271-_ZN12_GLOBAL__N_127rocblas_gemm_batched_kernelI19rocblas_complex_numIdELi16ELi16ELi64ELi64ELi4ELi64ELi4ELi4ELi64ELc84ELc67EKPKS2_S5_KPS2_EEvlllT_PT11_llSA_llS8_PT12_llPT13_lli
                                        ; -- End function
	.set _ZN12_GLOBAL__N_127rocblas_gemm_batched_kernelI19rocblas_complex_numIdELi16ELi16ELi64ELi64ELi4ELi64ELi4ELi4ELi64ELc84ELc67EKPKS2_S5_KPS2_EEvlllT_PT11_llSA_llS8_PT12_llPT13_lli.num_vgpr, 256
	.set _ZN12_GLOBAL__N_127rocblas_gemm_batched_kernelI19rocblas_complex_numIdELi16ELi16ELi64ELi64ELi4ELi64ELi4ELi4ELi64ELc84ELc67EKPKS2_S5_KPS2_EEvlllT_PT11_llSA_llS8_PT12_llPT13_lli.num_agpr, 0
	.set _ZN12_GLOBAL__N_127rocblas_gemm_batched_kernelI19rocblas_complex_numIdELi16ELi16ELi64ELi64ELi4ELi64ELi4ELi4ELi64ELc84ELc67EKPKS2_S5_KPS2_EEvlllT_PT11_llSA_llS8_PT12_llPT13_lli.numbered_sgpr, 52
	.set _ZN12_GLOBAL__N_127rocblas_gemm_batched_kernelI19rocblas_complex_numIdELi16ELi16ELi64ELi64ELi4ELi64ELi4ELi4ELi64ELc84ELc67EKPKS2_S5_KPS2_EEvlllT_PT11_llSA_llS8_PT12_llPT13_lli.num_named_barrier, 0
	.set _ZN12_GLOBAL__N_127rocblas_gemm_batched_kernelI19rocblas_complex_numIdELi16ELi16ELi64ELi64ELi4ELi64ELi4ELi4ELi64ELc84ELc67EKPKS2_S5_KPS2_EEvlllT_PT11_llSA_llS8_PT12_llPT13_lli.private_seg_size, 388
	.set _ZN12_GLOBAL__N_127rocblas_gemm_batched_kernelI19rocblas_complex_numIdELi16ELi16ELi64ELi64ELi4ELi64ELi4ELi4ELi64ELc84ELc67EKPKS2_S5_KPS2_EEvlllT_PT11_llSA_llS8_PT12_llPT13_lli.uses_vcc, 1
	.set _ZN12_GLOBAL__N_127rocblas_gemm_batched_kernelI19rocblas_complex_numIdELi16ELi16ELi64ELi64ELi4ELi64ELi4ELi4ELi64ELc84ELc67EKPKS2_S5_KPS2_EEvlllT_PT11_llSA_llS8_PT12_llPT13_lli.uses_flat_scratch, 1
	.set _ZN12_GLOBAL__N_127rocblas_gemm_batched_kernelI19rocblas_complex_numIdELi16ELi16ELi64ELi64ELi4ELi64ELi4ELi4ELi64ELc84ELc67EKPKS2_S5_KPS2_EEvlllT_PT11_llSA_llS8_PT12_llPT13_lli.has_dyn_sized_stack, 0
	.set _ZN12_GLOBAL__N_127rocblas_gemm_batched_kernelI19rocblas_complex_numIdELi16ELi16ELi64ELi64ELi4ELi64ELi4ELi4ELi64ELc84ELc67EKPKS2_S5_KPS2_EEvlllT_PT11_llSA_llS8_PT12_llPT13_lli.has_recursion, 0
	.set _ZN12_GLOBAL__N_127rocblas_gemm_batched_kernelI19rocblas_complex_numIdELi16ELi16ELi64ELi64ELi4ELi64ELi4ELi4ELi64ELc84ELc67EKPKS2_S5_KPS2_EEvlllT_PT11_llSA_llS8_PT12_llPT13_lli.has_indirect_call, 0
	.section	.AMDGPU.csdata,"",@progbits
; Kernel info:
; codeLenInByte = 8804
; TotalNumSgprs: 54
; NumVgprs: 256
; ScratchSize: 388
; MemoryBound: 0
; FloatMode: 240
; IeeeMode: 1
; LDSByteSize: 8192 bytes/workgroup (compile time only)
; SGPRBlocks: 0
; VGPRBlocks: 31
; NumSGPRsForWavesPerEU: 54
; NumVGPRsForWavesPerEU: 256
; Occupancy: 5
; WaveLimiterHint : 1
; COMPUTE_PGM_RSRC2:SCRATCH_EN: 1
; COMPUTE_PGM_RSRC2:USER_SGPR: 2
; COMPUTE_PGM_RSRC2:TRAP_HANDLER: 0
; COMPUTE_PGM_RSRC2:TGID_X_EN: 1
; COMPUTE_PGM_RSRC2:TGID_Y_EN: 1
; COMPUTE_PGM_RSRC2:TGID_Z_EN: 1
; COMPUTE_PGM_RSRC2:TIDIG_COMP_CNT: 1
	.section	.text._ZN12_GLOBAL__N_127rocblas_gemm_batched_kernelI19rocblas_complex_numIdELi16ELi16ELi32ELi32ELi8ELi32ELi8ELi8ELi32ELc78ELc78EKPKS2_S5_KPS2_EEvlllT_PT11_llSA_llS8_PT12_llPT13_lli,"axG",@progbits,_ZN12_GLOBAL__N_127rocblas_gemm_batched_kernelI19rocblas_complex_numIdELi16ELi16ELi32ELi32ELi8ELi32ELi8ELi8ELi32ELc78ELc78EKPKS2_S5_KPS2_EEvlllT_PT11_llSA_llS8_PT12_llPT13_lli,comdat
	.globl	_ZN12_GLOBAL__N_127rocblas_gemm_batched_kernelI19rocblas_complex_numIdELi16ELi16ELi32ELi32ELi8ELi32ELi8ELi8ELi32ELc78ELc78EKPKS2_S5_KPS2_EEvlllT_PT11_llSA_llS8_PT12_llPT13_lli ; -- Begin function _ZN12_GLOBAL__N_127rocblas_gemm_batched_kernelI19rocblas_complex_numIdELi16ELi16ELi32ELi32ELi8ELi32ELi8ELi8ELi32ELc78ELc78EKPKS2_S5_KPS2_EEvlllT_PT11_llSA_llS8_PT12_llPT13_lli
	.p2align	8
	.type	_ZN12_GLOBAL__N_127rocblas_gemm_batched_kernelI19rocblas_complex_numIdELi16ELi16ELi32ELi32ELi8ELi32ELi8ELi8ELi32ELc78ELc78EKPKS2_S5_KPS2_EEvlllT_PT11_llSA_llS8_PT12_llPT13_lli,@function
_ZN12_GLOBAL__N_127rocblas_gemm_batched_kernelI19rocblas_complex_numIdELi16ELi16ELi32ELi32ELi8ELi32ELi8ELi8ELi32ELc78ELc78EKPKS2_S5_KPS2_EEvlllT_PT11_llSA_llS8_PT12_llPT13_lli: ; @_ZN12_GLOBAL__N_127rocblas_gemm_batched_kernelI19rocblas_complex_numIdELi16ELi16ELi32ELi32ELi8ELi32ELi8ELi8ELi32ELc78ELc78EKPKS2_S5_KPS2_EEvlllT_PT11_llSA_llS8_PT12_llPT13_lli
; %bb.0:
	s_load_b32 s24, s[0:1], 0x98
	s_lshr_b32 s2, ttmp7, 16
	s_wait_kmcnt 0x0
	s_cmp_ge_i32 s2, s24
	s_cbranch_scc1 .LBB272_11
; %bb.1:
	s_clause 0x2
	s_load_b512 s[4:19], s[0:1], 0x50
	s_load_b512 s[36:51], s[0:1], 0x10
	s_load_b64 s[20:21], s[0:1], 0x90
	v_and_b32_e32 v2, 0x3ff, v0
	v_bfe_u32 v1, v0, 10, 10
	v_lshlrev_b32_e32 v0, 4, v0
	s_lshl_b32 s3, ttmp7, 5
	v_mov_b32_e32 v30, 0
	s_and_b32 s3, s3, 0x1fffe0
	v_lshl_add_u32 v3, v1, 4, v2
	v_and_b32_e32 v15, 0x70, v0
	v_add_nc_u32_e32 v14, s3, v1
	s_mov_b32 s22, ttmp9
	s_ashr_i32 s23, ttmp9, 31
	v_lshrrev_b32_e32 v0, 3, v3
	v_and_b32_e32 v16, 31, v3
	v_lshrrev_b32_e32 v12, 5, v3
	v_lshl_add_u32 v32, v1, 7, 0x1000
	s_lshl_b64 s[0:1], s[22:23], 5
	v_add_nc_u32_e32 v13, s3, v0
	v_lshl_or_b32 v11, v0, 7, v15
	s_wait_kmcnt 0x0
	v_mad_co_u64_u32 v[0:1], null, v14, s18, 0
	v_lshlrev_b32_e32 v31, 4, v2
	v_lshlrev_b32_e32 v10, 4, v16
	v_mad_co_u64_u32 v[6:7], null, s44, v12, s[0:1]
	v_add_co_u32 v2, s0, s0, v2
	v_mad_co_u64_u32 v[8:9], null, s50, v13, 0
	v_cmp_eq_f64_e64 s25, s[6:7], 0
	v_cmp_eq_f64_e64 s26, s[8:9], 0
	v_lshl_or_b32 v33, v12, 9, v10
	v_add_nc_u32_e32 v34, 0x1000, v11
	v_mad_co_u64_u32 v[10:11], null, v14, s19, v[1:2]
	v_mad_co_u64_u32 v[4:5], null, v14, s12, 0
	;; [unrolled: 1-line block ×3, first 2 shown]
	s_wait_alu 0xf1ff
	v_add_co_ci_u32_e64 v3, null, s1, 0, s0
	s_delay_alu instid0(VALU_DEP_4) | instskip(NEXT) | instid1(VALU_DEP_4)
	v_mad_co_u64_u32 v[12:13], null, s51, v13, v[9:10]
	v_mad_co_u64_u32 v[13:14], null, v14, s13, v[5:6]
	v_add_co_u32 v5, vcc_lo, v6, v16
	s_delay_alu instid0(VALU_DEP_1) | instskip(NEXT) | instid1(VALU_DEP_4)
	v_add_co_ci_u32_e64 v6, null, 0, v11, vcc_lo
	v_mov_b32_e32 v9, v12
	s_lshl_b64 s[22:23], s[18:19], 4
	s_lshl_b64 s[18:19], s[12:13], 4
	s_delay_alu instid0(VALU_DEP_2)
	v_lshlrev_b64_e32 v[6:7], 4, v[5:6]
	s_lshl_b64 s[12:13], s[46:47], 4
	v_lshlrev_b64_e32 v[8:9], 4, v[8:9]
	v_cmp_gt_i64_e64 s0, s[36:37], 0
	s_lshl_b64 s[4:5], s[4:5], 4
	v_mov_b32_e32 v5, v13
	s_wait_alu 0xfffe
	v_add_co_u32 v35, vcc_lo, s12, v6
	s_wait_alu 0xfffd
	v_add_co_ci_u32_e64 v36, null, s13, v7, vcc_lo
	v_add_co_u32 v6, vcc_lo, v8, s4
	s_wait_alu 0xfffd
	v_add_co_ci_u32_e64 v7, null, s5, v9, vcc_lo
	s_wait_alu 0xf1ff
	v_cndmask_b32_e64 v8, 0, 1, s0
	v_add_co_u32 v37, vcc_lo, v6, v15
	v_lshlrev_b64_e32 v[4:5], 4, v[4:5]
	v_mov_b32_e32 v1, v10
	s_wait_alu 0xfffd
	v_add_co_ci_u32_e64 v38, null, 0, v7, vcc_lo
	v_cmp_ne_u32_e64 s0, 1, v8
	s_and_b32 s1, s25, s26
	s_lshl_b64 s[12:13], s[44:45], 7
	s_mov_b32 s3, 0
	s_lshl_b64 s[4:5], s[20:21], 4
	s_lshl_b64 s[14:15], s[14:15], 4
	;; [unrolled: 1-line block ×4, first 2 shown]
	s_branch .LBB272_3
.LBB272_2:                              ;   in Loop: Header=BB272_3 Depth=1
	s_add_co_i32 s2, s2, 0x10000
	flat_store_b64 v[10:11], v[8:9] offset:8
	s_wait_alu 0xfffe
	s_cmp_lt_i32 s2, s24
	s_cbranch_scc0 .LBB272_11
.LBB272_3:                              ; =>This Loop Header: Depth=1
                                        ;     Child Loop BB272_5 Depth 2
	s_wait_alu 0xfffe
	s_lshl_b64 s[22:23], s[2:3], 3
	s_and_b32 vcc_lo, exec_lo, s0
	s_wait_alu 0xfffe
	s_add_nc_u64 s[26:27], s[10:11], s[22:23]
	s_add_nc_u64 s[28:29], s[16:17], s[22:23]
	s_clause 0x1
	global_load_b64 v[6:7], v30, s[26:27]
	global_load_b64 v[8:9], v30, s[28:29]
	s_cbranch_vccnz .LBB272_6
; %bb.4:                                ;   in Loop: Header=BB272_3 Depth=1
	s_add_nc_u64 s[26:27], s[42:43], s[22:23]
	s_add_nc_u64 s[22:23], s[48:49], s[22:23]
	s_clause 0x1
	global_load_b64 v[10:11], v30, s[26:27]
	global_load_b64 v[12:13], v30, s[22:23]
	v_mov_b32_e32 v16, 0
	v_mov_b32_e32 v20, 0
	;; [unrolled: 1-line block ×3, first 2 shown]
	v_dual_mov_b32 v28, 0 :: v_dual_mov_b32 v17, 0
	v_dual_mov_b32 v14, 0 :: v_dual_mov_b32 v21, 0
	;; [unrolled: 1-line block ×5, first 2 shown]
	v_mov_b32_e32 v19, 0
	v_mov_b32_e32 v23, 0
	;; [unrolled: 1-line block ×3, first 2 shown]
	s_mov_b64 s[22:23], 0
	s_wait_loadcnt 0x1
	v_add_co_u32 v10, vcc_lo, v10, v35
	s_wait_alu 0xfffd
	v_add_co_ci_u32_e64 v11, null, v11, v36, vcc_lo
	s_wait_loadcnt 0x0
	v_add_co_u32 v12, vcc_lo, v12, v37
	s_wait_alu 0xfffd
	v_add_co_ci_u32_e64 v13, null, v13, v38, vcc_lo
.LBB272_5:                              ;   Parent Loop BB272_3 Depth=1
                                        ; =>  This Inner Loop Header: Depth=2
	flat_load_b128 v[39:42], v[10:11]
	flat_load_b128 v[43:46], v[12:13]
	s_wait_alu 0xfffe
	s_add_nc_u64 s[22:23], s[22:23], 8
	v_add_co_u32 v10, vcc_lo, v10, s12
	s_wait_alu 0xfffe
	v_cmp_lt_i64_e64 s25, s[22:23], s[36:37]
	s_wait_alu 0xfffd
	v_add_co_ci_u32_e64 v11, null, s13, v11, vcc_lo
	v_add_co_u32 v12, vcc_lo, 0x80, v12
	s_wait_alu 0xfffd
	v_add_co_ci_u32_e64 v13, null, 0, v13, vcc_lo
	s_and_b32 vcc_lo, exec_lo, s25
	s_wait_loadcnt_dscnt 0x101
	ds_store_2addr_b64 v33, v[39:40], v[41:42] offset1:1
	s_wait_loadcnt_dscnt 0x1
	ds_store_2addr_b64 v34, v[43:44], v[45:46] offset1:1
	s_wait_dscnt 0x0
	s_barrier_signal -1
	s_barrier_wait -1
	global_inv scope:SCOPE_SE
	ds_load_b128 v[39:42], v32
	ds_load_b128 v[43:46], v31
	ds_load_b128 v[47:50], v31 offset:256
	ds_load_b128 v[51:54], v32 offset:2048
	;; [unrolled: 1-line block ×13, first 2 shown]
	s_wait_dscnt 0xd
	v_mul_f64_e32 v[99:100], v[41:42], v[45:46]
	v_mul_f64_e32 v[101:102], v[39:40], v[45:46]
	s_wait_dscnt 0xc
	v_mul_f64_e32 v[103:104], v[41:42], v[49:50]
	v_mul_f64_e32 v[105:106], v[39:40], v[49:50]
	;; [unrolled: 3-line block ×3, first 2 shown]
	v_mul_f64_e32 v[109:110], v[53:54], v[49:50]
	v_mul_f64_e32 v[49:50], v[51:52], v[49:50]
	s_wait_dscnt 0x9
	v_mul_f64_e32 v[111:112], v[57:58], v[61:62]
	v_mul_f64_e32 v[113:114], v[55:56], v[61:62]
	s_wait_dscnt 0x7
	v_mul_f64_e32 v[115:116], v[57:58], v[69:70]
	v_mul_f64_e32 v[117:118], v[55:56], v[69:70]
	;; [unrolled: 1-line block ×6, first 2 shown]
	s_wait_dscnt 0x3
	v_mul_f64_e32 v[125:126], v[71:72], v[85:86]
	s_wait_dscnt 0x1
	v_mul_f64_e32 v[127:128], v[93:94], v[81:82]
	v_mul_f64_e32 v[129:130], v[93:94], v[85:86]
	v_fma_f64 v[99:100], v[39:40], v[43:44], -v[99:100]
	v_fma_f64 v[101:102], v[41:42], v[43:44], v[101:102]
	v_fma_f64 v[103:104], v[39:40], v[47:48], -v[103:104]
	v_fma_f64 v[105:106], v[41:42], v[47:48], v[105:106]
	;; [unrolled: 2-line block ×4, first 2 shown]
	v_mul_f64_e32 v[49:50], v[73:74], v[81:82]
	v_mul_f64_e32 v[53:54], v[71:72], v[81:82]
	;; [unrolled: 1-line block ×5, first 2 shown]
	v_fma_f64 v[111:112], v[55:56], v[59:60], -v[111:112]
	v_fma_f64 v[113:114], v[57:58], v[59:60], v[113:114]
	v_fma_f64 v[55:56], v[55:56], v[67:68], -v[115:116]
	v_fma_f64 v[57:58], v[57:58], v[67:68], v[117:118]
	v_fma_f64 v[115:116], v[63:64], v[59:60], -v[119:120]
	v_fma_f64 v[59:60], v[65:66], v[59:60], v[61:62]
	v_fma_f64 v[61:62], v[63:64], v[67:68], -v[121:122]
	v_fma_f64 v[63:64], v[65:66], v[67:68], v[69:70]
	ds_load_b128 v[39:42], v31 offset:1792
	ds_load_b128 v[43:46], v32 offset:64
	v_mul_f64_e32 v[69:70], v[77:78], v[89:90]
	v_add_f64_e32 v[26:27], v[26:27], v[99:100]
	v_add_f64_e32 v[28:29], v[101:102], v[28:29]
	;; [unrolled: 1-line block ×8, first 2 shown]
	v_mul_f64_e32 v[99:100], v[75:76], v[89:90]
	s_wait_dscnt 0x1
	v_mul_f64_e32 v[101:102], v[77:78], v[41:42]
	v_mul_f64_e32 v[103:104], v[75:76], v[41:42]
	;; [unrolled: 1-line block ×6, first 2 shown]
	v_fma_f64 v[117:118], v[71:72], v[79:80], -v[49:50]
	v_fma_f64 v[119:120], v[73:74], v[79:80], v[53:54]
	v_fma_f64 v[71:72], v[71:72], v[83:84], -v[109:110]
	v_fma_f64 v[73:74], v[73:74], v[83:84], v[125:126]
	;; [unrolled: 2-line block ×4, first 2 shown]
	ds_load_b128 v[14:17], v31 offset:2048
	ds_load_b128 v[18:21], v31 offset:2304
	v_fma_f64 v[69:70], v[75:76], v[87:88], -v[69:70]
	v_add_f64_e32 v[85:86], v[26:27], v[111:112]
	v_add_f64_e32 v[91:92], v[113:114], v[28:29]
	;; [unrolled: 1-line block ×8, first 2 shown]
	ds_load_b128 v[22:25], v32 offset:2112
	ds_load_b128 v[26:29], v32 offset:80
	;; [unrolled: 1-line block ×4, first 2 shown]
	s_wait_dscnt 0x5
	v_mul_f64_e32 v[67:68], v[45:46], v[16:17]
	v_mul_f64_e32 v[93:94], v[43:44], v[16:17]
	s_wait_dscnt 0x4
	v_mul_f64_e32 v[111:112], v[45:46], v[20:21]
	v_mul_f64_e32 v[113:114], v[43:44], v[20:21]
	v_fma_f64 v[99:100], v[77:78], v[87:88], v[99:100]
	v_fma_f64 v[75:76], v[75:76], v[39:40], -v[101:102]
	v_fma_f64 v[77:78], v[77:78], v[39:40], v[103:104]
	v_fma_f64 v[101:102], v[95:96], v[87:88], -v[105:106]
	;; [unrolled: 2-line block ×3, first 2 shown]
	v_fma_f64 v[95:96], v[97:98], v[39:40], v[41:42]
	s_wait_dscnt 0x3
	v_mul_f64_e32 v[115:116], v[24:25], v[16:17]
	v_mul_f64_e32 v[16:17], v[22:23], v[16:17]
	;; [unrolled: 1-line block ×4, first 2 shown]
	s_wait_dscnt 0x1
	v_mul_f64_e32 v[103:104], v[28:29], v[49:50]
	v_mul_f64_e32 v[105:106], v[26:27], v[49:50]
	v_add_f64_e32 v[85:86], v[85:86], v[117:118]
	v_add_f64_e32 v[91:92], v[119:120], v[91:92]
	;; [unrolled: 1-line block ×8, first 2 shown]
	ds_load_b128 v[39:42], v31 offset:2816
	ds_load_b128 v[55:58], v32 offset:96
	;; [unrolled: 1-line block ×4, first 2 shown]
	s_wait_dscnt 0x4
	v_mul_f64_e32 v[117:118], v[53:54], v[49:50]
	v_mul_f64_e32 v[49:50], v[51:52], v[49:50]
	v_fma_f64 v[67:68], v[43:44], v[14:15], -v[67:68]
	v_fma_f64 v[93:94], v[45:46], v[14:15], v[93:94]
	v_fma_f64 v[111:112], v[43:44], v[18:19], -v[111:112]
	v_fma_f64 v[45:46], v[45:46], v[18:19], v[113:114]
	s_wait_dscnt 0x3
	v_mul_f64_e32 v[107:108], v[28:29], v[41:42]
	v_mul_f64_e32 v[109:110], v[26:27], v[41:42]
	;; [unrolled: 1-line block ×4, first 2 shown]
	v_fma_f64 v[113:114], v[22:23], v[14:15], -v[115:116]
	v_fma_f64 v[115:116], v[24:25], v[14:15], v[16:17]
	v_fma_f64 v[121:122], v[22:23], v[18:19], -v[121:122]
	v_fma_f64 v[125:126], v[24:25], v[18:19], v[20:21]
	ds_load_b128 v[14:17], v32 offset:2144
	ds_load_b128 v[18:21], v32 offset:112
	;; [unrolled: 1-line block ×4, first 2 shown]
	v_add_f64_e32 v[69:70], v[85:86], v[69:70]
	v_add_f64_e32 v[85:86], v[99:100], v[91:92]
	;; [unrolled: 1-line block ×8, first 2 shown]
	s_wait_dscnt 0x5
	v_mul_f64_e32 v[83:84], v[57:58], v[61:62]
	v_mul_f64_e32 v[87:88], v[55:56], v[61:62]
	s_wait_dscnt 0x4
	v_mul_f64_e32 v[89:90], v[57:58], v[65:66]
	v_mul_f64_e32 v[91:92], v[55:56], v[65:66]
	;; [unrolled: 3-line block ×3, first 2 shown]
	v_mul_f64_e32 v[97:98], v[16:17], v[65:66]
	v_mul_f64_e32 v[65:66], v[14:15], v[65:66]
	v_fma_f64 v[99:100], v[26:27], v[47:48], -v[103:104]
	v_fma_f64 v[101:102], v[28:29], v[47:48], v[105:106]
	v_fma_f64 v[103:104], v[26:27], v[39:40], -v[107:108]
	v_fma_f64 v[105:106], v[28:29], v[39:40], v[109:110]
	;; [unrolled: 2-line block ×4, first 2 shown]
	ds_load_b128 v[26:29], v31 offset:3840
	s_wait_loadcnt_dscnt 0x0
	s_barrier_signal -1
	s_barrier_wait -1
	global_inv scope:SCOPE_SE
	v_add_f64_e32 v[51:52], v[69:70], v[67:68]
	v_add_f64_e32 v[53:54], v[93:94], v[85:86]
	;; [unrolled: 1-line block ×8, first 2 shown]
	v_mul_f64_e32 v[77:78], v[20:21], v[24:25]
	v_mul_f64_e32 v[79:80], v[18:19], v[24:25]
	;; [unrolled: 1-line block ×4, first 2 shown]
	v_fma_f64 v[83:84], v[55:56], v[59:60], -v[83:84]
	v_mul_f64_e32 v[81:82], v[20:21], v[28:29]
	v_mul_f64_e32 v[85:86], v[18:19], v[28:29]
	;; [unrolled: 1-line block ×4, first 2 shown]
	v_fma_f64 v[87:88], v[57:58], v[59:60], v[87:88]
	v_fma_f64 v[55:56], v[55:56], v[63:64], -v[89:90]
	v_fma_f64 v[57:58], v[57:58], v[63:64], v[91:92]
	v_fma_f64 v[89:90], v[14:15], v[59:60], -v[95:96]
	;; [unrolled: 2-line block ×3, first 2 shown]
	v_fma_f64 v[16:17], v[16:17], v[63:64], v[65:66]
	v_add_f64_e32 v[51:52], v[51:52], v[99:100]
	v_add_f64_e32 v[53:54], v[101:102], v[53:54]
	;; [unrolled: 1-line block ×8, first 2 shown]
	v_fma_f64 v[65:66], v[18:19], v[22:23], -v[77:78]
	v_fma_f64 v[67:68], v[20:21], v[22:23], v[79:80]
	v_fma_f64 v[69:70], v[41:42], v[22:23], -v[93:94]
	v_fma_f64 v[71:72], v[43:44], v[22:23], v[24:25]
	;; [unrolled: 2-line block ×4, first 2 shown]
	v_add_f64_e32 v[22:23], v[51:52], v[83:84]
	v_add_f64_e32 v[24:25], v[87:88], v[53:54]
	;; [unrolled: 1-line block ×16, first 2 shown]
	s_wait_alu 0xfffe
	s_cbranch_vccnz .LBB272_5
	s_branch .LBB272_7
.LBB272_6:                              ;   in Loop: Header=BB272_3 Depth=1
	v_mov_b32_e32 v26, 0
	v_mov_b32_e32 v22, 0
	;; [unrolled: 1-line block ×3, first 2 shown]
	v_dual_mov_b32 v14, 0 :: v_dual_mov_b32 v27, 0
	v_dual_mov_b32 v28, 0 :: v_dual_mov_b32 v23, 0
	;; [unrolled: 1-line block ×5, first 2 shown]
	v_mov_b32_e32 v25, 0
	v_mov_b32_e32 v21, 0
	v_mov_b32_e32 v17, 0
.LBB272_7:                              ;   in Loop: Header=BB272_3 Depth=1
	s_wait_loadcnt 0x0
	v_add_co_u32 v12, vcc_lo, v8, s4
	s_wait_alu 0xfffd
	v_add_co_ci_u32_e64 v13, null, s5, v9, vcc_lo
	s_and_not1_b32 vcc_lo, exec_lo, s1
	s_mov_b32 s22, -1
                                        ; implicit-def: $vgpr8_vgpr9
                                        ; implicit-def: $vgpr10_vgpr11
	s_wait_alu 0xfffe
	s_cbranch_vccz .LBB272_9
; %bb.8:                                ;   in Loop: Header=BB272_3 Depth=1
	s_and_not1_b32 vcc_lo, exec_lo, s22
	s_wait_alu 0xfffe
	s_cbranch_vccnz .LBB272_2
	s_branch .LBB272_10
.LBB272_9:                              ;   in Loop: Header=BB272_3 Depth=1
	v_mul_f64_e32 v[8:9], s[40:41], v[28:29]
	v_mul_f64_e32 v[10:11], s[38:39], v[28:29]
	;; [unrolled: 1-line block ×8, first 2 shown]
	v_fma_f64 v[39:40], s[38:39], v[26:27], -v[8:9]
	v_fma_f64 v[41:42], s[40:41], v[26:27], v[10:11]
	v_fma_f64 v[8:9], s[40:41], v[14:15], v[53:54]
	v_fma_f64 v[43:44], s[38:39], v[22:23], -v[43:44]
	v_fma_f64 v[45:46], s[40:41], v[22:23], v[45:46]
	v_fma_f64 v[47:48], s[38:39], v[18:19], -v[47:48]
	;; [unrolled: 2-line block ×3, first 2 shown]
	v_lshlrev_b64_e32 v[10:11], 4, v[0:1]
	s_delay_alu instid0(VALU_DEP_1) | instskip(SKIP_1) | instid1(VALU_DEP_2)
	v_add_co_u32 v55, vcc_lo, v12, v10
	s_wait_alu 0xfffd
	v_add_co_ci_u32_e64 v56, null, v13, v11, vcc_lo
	v_lshlrev_b64_e32 v[10:11], 4, v[2:3]
	s_delay_alu instid0(VALU_DEP_3) | instskip(SKIP_1) | instid1(VALU_DEP_3)
	v_add_co_u32 v53, vcc_lo, v55, s20
	s_wait_alu 0xfffd
	v_add_co_ci_u32_e64 v54, null, s21, v56, vcc_lo
	s_delay_alu instid0(VALU_DEP_2) | instskip(SKIP_1) | instid1(VALU_DEP_2)
	v_add_co_u32 v53, vcc_lo, v53, v10
	s_wait_alu 0xfffd
	v_add_co_ci_u32_e64 v54, null, v54, v11, vcc_lo
	v_add_co_u32 v55, vcc_lo, v55, v10
	s_wait_alu 0xfffd
	v_add_co_ci_u32_e64 v56, null, v56, v11, vcc_lo
	;; [unrolled: 3-line block ×3, first 2 shown]
	s_clause 0x3
	flat_store_b128 v[55:56], v[39:42]
	flat_store_b128 v[55:56], v[43:46] offset:256
	flat_store_b128 v[53:54], v[47:50]
	flat_store_b64 v[53:54], v[51:52] offset:256
	s_cbranch_execnz .LBB272_2
.LBB272_10:                             ;   in Loop: Header=BB272_3 Depth=1
	v_add_co_u32 v6, vcc_lo, v6, s14
	s_wait_alu 0xfffd
	v_add_co_ci_u32_e64 v7, null, s15, v7, vcc_lo
	v_lshlrev_b64_e32 v[10:11], 4, v[2:3]
	s_delay_alu instid0(VALU_DEP_3) | instskip(SKIP_1) | instid1(VALU_DEP_3)
	v_add_co_u32 v45, vcc_lo, v6, v4
	s_wait_alu 0xfffd
	v_add_co_ci_u32_e64 v46, null, v7, v5, vcc_lo
	v_mul_f64_e32 v[41:42], s[40:41], v[28:29]
	s_delay_alu instid0(VALU_DEP_3) | instskip(SKIP_1) | instid1(VALU_DEP_3)
	v_add_co_u32 v39, vcc_lo, v45, v10
	s_wait_alu 0xfffd
	v_add_co_ci_u32_e64 v40, null, v46, v11, vcc_lo
	v_mul_f64_e32 v[28:29], s[38:39], v[28:29]
	flat_load_b128 v[6:9], v[39:40]
	v_fma_f64 v[41:42], s[38:39], v[26:27], -v[41:42]
	v_fma_f64 v[26:27], s[40:41], v[26:27], v[28:29]
	s_wait_loadcnt_dscnt 0x0
	v_mul_f64_e32 v[43:44], s[8:9], v[8:9]
	v_mul_f64_e32 v[8:9], s[6:7], v[8:9]
	s_delay_alu instid0(VALU_DEP_2) | instskip(NEXT) | instid1(VALU_DEP_2)
	v_fma_f64 v[28:29], s[6:7], v[6:7], -v[43:44]
	v_fma_f64 v[8:9], s[8:9], v[6:7], v[8:9]
	s_delay_alu instid0(VALU_DEP_2) | instskip(NEXT) | instid1(VALU_DEP_2)
	v_add_f64_e32 v[6:7], v[41:42], v[28:29]
	v_add_f64_e32 v[8:9], v[26:27], v[8:9]
	v_lshlrev_b64_e32 v[26:27], 4, v[0:1]
	s_delay_alu instid0(VALU_DEP_1) | instskip(SKIP_1) | instid1(VALU_DEP_2)
	v_add_co_u32 v41, vcc_lo, v12, v26
	s_wait_alu 0xfffd
	v_add_co_ci_u32_e64 v42, null, v13, v27, vcc_lo
	v_mul_f64_e32 v[26:27], s[40:41], v[24:25]
	s_delay_alu instid0(VALU_DEP_3) | instskip(SKIP_1) | instid1(VALU_DEP_3)
	v_add_co_u32 v12, vcc_lo, v41, v10
	s_wait_alu 0xfffd
	v_add_co_ci_u32_e64 v13, null, v42, v11, vcc_lo
	v_mul_f64_e32 v[24:25], s[38:39], v[24:25]
	flat_store_b128 v[12:13], v[6:9]
	flat_load_b128 v[6:9], v[39:40] offset:256
	v_fma_f64 v[26:27], s[38:39], v[22:23], -v[26:27]
	v_fma_f64 v[22:23], s[40:41], v[22:23], v[24:25]
	s_wait_loadcnt_dscnt 0x0
	v_mul_f64_e32 v[28:29], s[8:9], v[8:9]
	v_mul_f64_e32 v[8:9], s[6:7], v[8:9]
	s_delay_alu instid0(VALU_DEP_2) | instskip(NEXT) | instid1(VALU_DEP_2)
	v_fma_f64 v[24:25], s[6:7], v[6:7], -v[28:29]
	v_fma_f64 v[8:9], s[8:9], v[6:7], v[8:9]
	s_delay_alu instid0(VALU_DEP_2) | instskip(NEXT) | instid1(VALU_DEP_2)
	v_add_f64_e32 v[6:7], v[26:27], v[24:25]
	v_add_f64_e32 v[8:9], v[22:23], v[8:9]
	v_add_co_u32 v22, vcc_lo, v45, s18
	s_wait_alu 0xfffd
	v_add_co_ci_u32_e64 v23, null, s19, v46, vcc_lo
	s_delay_alu instid0(VALU_DEP_2) | instskip(SKIP_1) | instid1(VALU_DEP_2)
	v_add_co_u32 v22, vcc_lo, v22, v10
	s_wait_alu 0xfffd
	v_add_co_ci_u32_e64 v23, null, v23, v11, vcc_lo
	flat_store_b128 v[12:13], v[6:9] offset:256
	flat_load_b128 v[6:9], v[22:23]
	v_mul_f64_e32 v[12:13], s[40:41], v[20:21]
	v_mul_f64_e32 v[20:21], s[38:39], v[20:21]
	s_delay_alu instid0(VALU_DEP_2) | instskip(NEXT) | instid1(VALU_DEP_2)
	v_fma_f64 v[12:13], s[38:39], v[18:19], -v[12:13]
	v_fma_f64 v[18:19], s[40:41], v[18:19], v[20:21]
	s_wait_loadcnt_dscnt 0x0
	v_mul_f64_e32 v[24:25], s[8:9], v[8:9]
	v_mul_f64_e32 v[8:9], s[6:7], v[8:9]
	s_delay_alu instid0(VALU_DEP_2) | instskip(NEXT) | instid1(VALU_DEP_2)
	v_fma_f64 v[20:21], s[6:7], v[6:7], -v[24:25]
	v_fma_f64 v[8:9], s[8:9], v[6:7], v[8:9]
	s_delay_alu instid0(VALU_DEP_2) | instskip(NEXT) | instid1(VALU_DEP_2)
	v_add_f64_e32 v[6:7], v[12:13], v[20:21]
	v_add_f64_e32 v[8:9], v[18:19], v[8:9]
	v_add_co_u32 v12, vcc_lo, v41, s20
	s_wait_alu 0xfffd
	v_add_co_ci_u32_e64 v13, null, s21, v42, vcc_lo
	s_delay_alu instid0(VALU_DEP_2) | instskip(SKIP_1) | instid1(VALU_DEP_2)
	v_add_co_u32 v12, vcc_lo, v12, v10
	s_wait_alu 0xfffd
	v_add_co_ci_u32_e64 v13, null, v13, v11, vcc_lo
	v_mul_f64_e32 v[10:11], s[40:41], v[16:17]
	v_mul_f64_e32 v[16:17], s[38:39], v[16:17]
	flat_store_b128 v[12:13], v[6:9]
	flat_load_b128 v[6:9], v[22:23] offset:256
	v_fma_f64 v[10:11], s[38:39], v[14:15], -v[10:11]
	v_fma_f64 v[14:15], s[40:41], v[14:15], v[16:17]
	s_wait_loadcnt_dscnt 0x0
	v_mul_f64_e32 v[18:19], s[8:9], v[8:9]
	v_mul_f64_e32 v[8:9], s[6:7], v[8:9]
	s_delay_alu instid0(VALU_DEP_2) | instskip(NEXT) | instid1(VALU_DEP_2)
	v_fma_f64 v[16:17], s[6:7], v[6:7], -v[18:19]
	v_fma_f64 v[6:7], s[8:9], v[6:7], v[8:9]
	s_delay_alu instid0(VALU_DEP_2) | instskip(NEXT) | instid1(VALU_DEP_2)
	v_add_f64_e32 v[16:17], v[10:11], v[16:17]
	v_add_f64_e32 v[8:9], v[14:15], v[6:7]
	v_add_co_u32 v10, vcc_lo, 0x100, v12
	s_wait_alu 0xfffd
	v_add_co_ci_u32_e64 v11, null, 0, v13, vcc_lo
	flat_store_b64 v[12:13], v[16:17] offset:256
	s_branch .LBB272_2
.LBB272_11:
	s_nop 0
	s_sendmsg sendmsg(MSG_DEALLOC_VGPRS)
	s_endpgm
	.section	.rodata,"a",@progbits
	.p2align	6, 0x0
	.amdhsa_kernel _ZN12_GLOBAL__N_127rocblas_gemm_batched_kernelI19rocblas_complex_numIdELi16ELi16ELi32ELi32ELi8ELi32ELi8ELi8ELi32ELc78ELc78EKPKS2_S5_KPS2_EEvlllT_PT11_llSA_llS8_PT12_llPT13_lli
		.amdhsa_group_segment_fixed_size 8192
		.amdhsa_private_segment_fixed_size 0
		.amdhsa_kernarg_size 156
		.amdhsa_user_sgpr_count 2
		.amdhsa_user_sgpr_dispatch_ptr 0
		.amdhsa_user_sgpr_queue_ptr 0
		.amdhsa_user_sgpr_kernarg_segment_ptr 1
		.amdhsa_user_sgpr_dispatch_id 0
		.amdhsa_user_sgpr_private_segment_size 0
		.amdhsa_wavefront_size32 1
		.amdhsa_uses_dynamic_stack 0
		.amdhsa_enable_private_segment 0
		.amdhsa_system_sgpr_workgroup_id_x 1
		.amdhsa_system_sgpr_workgroup_id_y 1
		.amdhsa_system_sgpr_workgroup_id_z 1
		.amdhsa_system_sgpr_workgroup_info 0
		.amdhsa_system_vgpr_workitem_id 1
		.amdhsa_next_free_vgpr 131
		.amdhsa_next_free_sgpr 52
		.amdhsa_reserve_vcc 1
		.amdhsa_float_round_mode_32 0
		.amdhsa_float_round_mode_16_64 0
		.amdhsa_float_denorm_mode_32 3
		.amdhsa_float_denorm_mode_16_64 3
		.amdhsa_fp16_overflow 0
		.amdhsa_workgroup_processor_mode 1
		.amdhsa_memory_ordered 1
		.amdhsa_forward_progress 1
		.amdhsa_inst_pref_size 26
		.amdhsa_round_robin_scheduling 0
		.amdhsa_exception_fp_ieee_invalid_op 0
		.amdhsa_exception_fp_denorm_src 0
		.amdhsa_exception_fp_ieee_div_zero 0
		.amdhsa_exception_fp_ieee_overflow 0
		.amdhsa_exception_fp_ieee_underflow 0
		.amdhsa_exception_fp_ieee_inexact 0
		.amdhsa_exception_int_div_zero 0
	.end_amdhsa_kernel
	.section	.text._ZN12_GLOBAL__N_127rocblas_gemm_batched_kernelI19rocblas_complex_numIdELi16ELi16ELi32ELi32ELi8ELi32ELi8ELi8ELi32ELc78ELc78EKPKS2_S5_KPS2_EEvlllT_PT11_llSA_llS8_PT12_llPT13_lli,"axG",@progbits,_ZN12_GLOBAL__N_127rocblas_gemm_batched_kernelI19rocblas_complex_numIdELi16ELi16ELi32ELi32ELi8ELi32ELi8ELi8ELi32ELc78ELc78EKPKS2_S5_KPS2_EEvlllT_PT11_llSA_llS8_PT12_llPT13_lli,comdat
.Lfunc_end272:
	.size	_ZN12_GLOBAL__N_127rocblas_gemm_batched_kernelI19rocblas_complex_numIdELi16ELi16ELi32ELi32ELi8ELi32ELi8ELi8ELi32ELc78ELc78EKPKS2_S5_KPS2_EEvlllT_PT11_llSA_llS8_PT12_llPT13_lli, .Lfunc_end272-_ZN12_GLOBAL__N_127rocblas_gemm_batched_kernelI19rocblas_complex_numIdELi16ELi16ELi32ELi32ELi8ELi32ELi8ELi8ELi32ELc78ELc78EKPKS2_S5_KPS2_EEvlllT_PT11_llSA_llS8_PT12_llPT13_lli
                                        ; -- End function
	.set _ZN12_GLOBAL__N_127rocblas_gemm_batched_kernelI19rocblas_complex_numIdELi16ELi16ELi32ELi32ELi8ELi32ELi8ELi8ELi32ELc78ELc78EKPKS2_S5_KPS2_EEvlllT_PT11_llSA_llS8_PT12_llPT13_lli.num_vgpr, 131
	.set _ZN12_GLOBAL__N_127rocblas_gemm_batched_kernelI19rocblas_complex_numIdELi16ELi16ELi32ELi32ELi8ELi32ELi8ELi8ELi32ELc78ELc78EKPKS2_S5_KPS2_EEvlllT_PT11_llSA_llS8_PT12_llPT13_lli.num_agpr, 0
	.set _ZN12_GLOBAL__N_127rocblas_gemm_batched_kernelI19rocblas_complex_numIdELi16ELi16ELi32ELi32ELi8ELi32ELi8ELi8ELi32ELc78ELc78EKPKS2_S5_KPS2_EEvlllT_PT11_llSA_llS8_PT12_llPT13_lli.numbered_sgpr, 52
	.set _ZN12_GLOBAL__N_127rocblas_gemm_batched_kernelI19rocblas_complex_numIdELi16ELi16ELi32ELi32ELi8ELi32ELi8ELi8ELi32ELc78ELc78EKPKS2_S5_KPS2_EEvlllT_PT11_llSA_llS8_PT12_llPT13_lli.num_named_barrier, 0
	.set _ZN12_GLOBAL__N_127rocblas_gemm_batched_kernelI19rocblas_complex_numIdELi16ELi16ELi32ELi32ELi8ELi32ELi8ELi8ELi32ELc78ELc78EKPKS2_S5_KPS2_EEvlllT_PT11_llSA_llS8_PT12_llPT13_lli.private_seg_size, 0
	.set _ZN12_GLOBAL__N_127rocblas_gemm_batched_kernelI19rocblas_complex_numIdELi16ELi16ELi32ELi32ELi8ELi32ELi8ELi8ELi32ELc78ELc78EKPKS2_S5_KPS2_EEvlllT_PT11_llSA_llS8_PT12_llPT13_lli.uses_vcc, 1
	.set _ZN12_GLOBAL__N_127rocblas_gemm_batched_kernelI19rocblas_complex_numIdELi16ELi16ELi32ELi32ELi8ELi32ELi8ELi8ELi32ELc78ELc78EKPKS2_S5_KPS2_EEvlllT_PT11_llSA_llS8_PT12_llPT13_lli.uses_flat_scratch, 1
	.set _ZN12_GLOBAL__N_127rocblas_gemm_batched_kernelI19rocblas_complex_numIdELi16ELi16ELi32ELi32ELi8ELi32ELi8ELi8ELi32ELc78ELc78EKPKS2_S5_KPS2_EEvlllT_PT11_llSA_llS8_PT12_llPT13_lli.has_dyn_sized_stack, 0
	.set _ZN12_GLOBAL__N_127rocblas_gemm_batched_kernelI19rocblas_complex_numIdELi16ELi16ELi32ELi32ELi8ELi32ELi8ELi8ELi32ELc78ELc78EKPKS2_S5_KPS2_EEvlllT_PT11_llSA_llS8_PT12_llPT13_lli.has_recursion, 0
	.set _ZN12_GLOBAL__N_127rocblas_gemm_batched_kernelI19rocblas_complex_numIdELi16ELi16ELi32ELi32ELi8ELi32ELi8ELi8ELi32ELc78ELc78EKPKS2_S5_KPS2_EEvlllT_PT11_llSA_llS8_PT12_llPT13_lli.has_indirect_call, 0
	.section	.AMDGPU.csdata,"",@progbits
; Kernel info:
; codeLenInByte = 3260
; TotalNumSgprs: 54
; NumVgprs: 131
; ScratchSize: 0
; MemoryBound: 0
; FloatMode: 240
; IeeeMode: 1
; LDSByteSize: 8192 bytes/workgroup (compile time only)
; SGPRBlocks: 0
; VGPRBlocks: 16
; NumSGPRsForWavesPerEU: 54
; NumVGPRsForWavesPerEU: 131
; Occupancy: 10
; WaveLimiterHint : 1
; COMPUTE_PGM_RSRC2:SCRATCH_EN: 0
; COMPUTE_PGM_RSRC2:USER_SGPR: 2
; COMPUTE_PGM_RSRC2:TRAP_HANDLER: 0
; COMPUTE_PGM_RSRC2:TGID_X_EN: 1
; COMPUTE_PGM_RSRC2:TGID_Y_EN: 1
; COMPUTE_PGM_RSRC2:TGID_Z_EN: 1
; COMPUTE_PGM_RSRC2:TIDIG_COMP_CNT: 1
	.section	.text._ZN12_GLOBAL__N_127rocblas_gemm_batched_kernelI19rocblas_complex_numIdELi16ELi16ELi32ELi32ELi8ELi32ELi8ELi8ELi32ELc84ELc78EKPKS2_S5_KPS2_EEvlllT_PT11_llSA_llS8_PT12_llPT13_lli,"axG",@progbits,_ZN12_GLOBAL__N_127rocblas_gemm_batched_kernelI19rocblas_complex_numIdELi16ELi16ELi32ELi32ELi8ELi32ELi8ELi8ELi32ELc84ELc78EKPKS2_S5_KPS2_EEvlllT_PT11_llSA_llS8_PT12_llPT13_lli,comdat
	.globl	_ZN12_GLOBAL__N_127rocblas_gemm_batched_kernelI19rocblas_complex_numIdELi16ELi16ELi32ELi32ELi8ELi32ELi8ELi8ELi32ELc84ELc78EKPKS2_S5_KPS2_EEvlllT_PT11_llSA_llS8_PT12_llPT13_lli ; -- Begin function _ZN12_GLOBAL__N_127rocblas_gemm_batched_kernelI19rocblas_complex_numIdELi16ELi16ELi32ELi32ELi8ELi32ELi8ELi8ELi32ELc84ELc78EKPKS2_S5_KPS2_EEvlllT_PT11_llSA_llS8_PT12_llPT13_lli
	.p2align	8
	.type	_ZN12_GLOBAL__N_127rocblas_gemm_batched_kernelI19rocblas_complex_numIdELi16ELi16ELi32ELi32ELi8ELi32ELi8ELi8ELi32ELc84ELc78EKPKS2_S5_KPS2_EEvlllT_PT11_llSA_llS8_PT12_llPT13_lli,@function
_ZN12_GLOBAL__N_127rocblas_gemm_batched_kernelI19rocblas_complex_numIdELi16ELi16ELi32ELi32ELi8ELi32ELi8ELi8ELi32ELc84ELc78EKPKS2_S5_KPS2_EEvlllT_PT11_llSA_llS8_PT12_llPT13_lli: ; @_ZN12_GLOBAL__N_127rocblas_gemm_batched_kernelI19rocblas_complex_numIdELi16ELi16ELi32ELi32ELi8ELi32ELi8ELi8ELi32ELc84ELc78EKPKS2_S5_KPS2_EEvlllT_PT11_llSA_llS8_PT12_llPT13_lli
; %bb.0:
	s_load_b32 s22, s[0:1], 0x98
	s_lshr_b32 s2, ttmp7, 16
	s_wait_kmcnt 0x0
	s_cmp_ge_i32 s2, s22
	s_cbranch_scc1 .LBB273_11
; %bb.1:
	v_dual_mov_b32 v30, 0 :: v_dual_and_b32 v1, 0x3ff, v0
	v_bfe_u32 v2, v0, 10, 10
	s_clause 0x2
	s_load_b512 s[4:19], s[0:1], 0x50
	s_load_b512 s[36:51], s[0:1], 0x10
	s_load_b64 s[20:21], s[0:1], 0x90
	v_lshlrev_b32_e32 v0, 4, v0
	s_lshl_b32 s3, ttmp7, 5
	s_mov_b32 s24, ttmp9
	v_lshl_add_u32 v3, v2, 4, v1
	s_and_b32 s3, s3, 0x1fffe0
	v_and_b32_e32 v14, 0x70, v0
	v_lshl_add_u32 v32, v2, 7, 0x1000
	v_add_nc_u32_e32 v12, s3, v2
	v_and_b32_e32 v2, 31, v3
	v_lshrrev_b32_e32 v4, 3, v3
	s_ashr_i32 s25, ttmp9, 31
	v_lshrrev_b32_e32 v15, 5, v3
	s_lshl_b64 s[0:1], s[24:25], 5
	v_lshlrev_b32_e32 v3, 4, v2
	v_lshl_or_b32 v5, v4, 7, v14
	v_add_nc_u32_e32 v13, s3, v4
	v_or_b32_e32 v8, s0, v2
	s_wait_kmcnt 0x0
	v_cmp_eq_f64_e64 s23, s[6:7], 0
	v_lshl_or_b32 v33, v15, 9, v3
	v_add_nc_u32_e32 v34, 0x1000, v5
	v_mad_co_u64_u32 v[2:3], null, v12, s18, 0
	v_mad_co_u64_u32 v[4:5], null, v12, s12, 0
	v_cmp_eq_f64_e64 s26, s[8:9], 0
	v_mad_co_u64_u32 v[6:7], null, s50, v13, 0
	v_mul_lo_u32 v16, s45, v8
	v_mad_co_u64_u32 v[8:9], null, s44, v8, 0
	v_mad_co_u64_u32 v[10:11], null, v12, s19, v[3:4]
	v_add_co_u32 v0, s24, s0, v1
	s_mul_i32 s0, s44, s1
	v_mad_co_u64_u32 v[11:12], null, v12, s13, v[5:6]
	v_mad_co_u64_u32 v[12:13], null, s51, v13, v[7:8]
	s_wait_alu 0xfffe
	v_add3_u32 v9, v9, s0, v16
	v_lshlrev_b32_e32 v31, 4, v1
	v_add_co_ci_u32_e64 v1, null, s1, 0, s24
	s_lshl_b64 s[24:25], s[18:19], 4
	v_lshlrev_b64_e32 v[8:9], 4, v[8:9]
	v_mov_b32_e32 v7, v12
	s_lshl_b64 s[18:19], s[12:13], 4
	s_lshl_b64 s[12:13], s[46:47], 4
	v_dual_mov_b32 v3, v10 :: v_dual_lshlrev_b32 v10, 4, v15
	s_wait_alu 0xfffe
	v_add_co_u32 v8, vcc_lo, v8, s12
	v_lshlrev_b64_e32 v[6:7], 4, v[6:7]
	v_add_co_ci_u32_e64 v9, null, s13, v9, vcc_lo
	v_cmp_gt_i64_e64 s0, s[36:37], 0
	s_delay_alu instid0(VALU_DEP_4)
	v_add_co_u32 v35, vcc_lo, v8, v10
	s_lshl_b64 s[4:5], s[4:5], 4
	s_wait_alu 0xfffd
	v_add_co_ci_u32_e64 v36, null, 0, v9, vcc_lo
	v_add_co_u32 v6, vcc_lo, v6, s4
	v_mov_b32_e32 v5, v11
	s_wait_alu 0xfffd
	v_add_co_ci_u32_e64 v7, null, s5, v7, vcc_lo
	s_wait_alu 0xf1ff
	v_cndmask_b32_e64 v8, 0, 1, s0
	v_add_co_u32 v37, vcc_lo, v6, v14
	v_lshlrev_b64_e32 v[4:5], 4, v[4:5]
	s_wait_alu 0xfffd
	v_add_co_ci_u32_e64 v38, null, 0, v7, vcc_lo
	v_cmp_ne_u32_e64 s0, 1, v8
	s_and_b32 s1, s23, s26
	s_mov_b32 s3, 0
	s_lshl_b64 s[4:5], s[20:21], 4
	s_lshl_b64 s[12:13], s[14:15], 4
	;; [unrolled: 1-line block ×4, first 2 shown]
	s_branch .LBB273_3
.LBB273_2:                              ;   in Loop: Header=BB273_3 Depth=1
	s_add_co_i32 s2, s2, 0x10000
	flat_store_b64 v[10:11], v[8:9] offset:8
	s_wait_alu 0xfffe
	s_cmp_lt_i32 s2, s22
	s_cbranch_scc0 .LBB273_11
.LBB273_3:                              ; =>This Loop Header: Depth=1
                                        ;     Child Loop BB273_5 Depth 2
	s_wait_alu 0xfffe
	s_lshl_b64 s[20:21], s[2:3], 3
	s_and_b32 vcc_lo, exec_lo, s0
	s_wait_alu 0xfffe
	s_add_nc_u64 s[24:25], s[10:11], s[20:21]
	s_add_nc_u64 s[26:27], s[16:17], s[20:21]
	s_clause 0x1
	global_load_b64 v[6:7], v30, s[24:25]
	global_load_b64 v[8:9], v30, s[26:27]
	s_cbranch_vccnz .LBB273_6
; %bb.4:                                ;   in Loop: Header=BB273_3 Depth=1
	s_add_nc_u64 s[24:25], s[42:43], s[20:21]
	s_add_nc_u64 s[20:21], s[48:49], s[20:21]
	s_clause 0x1
	global_load_b64 v[10:11], v30, s[24:25]
	global_load_b64 v[12:13], v30, s[20:21]
	v_mov_b32_e32 v16, 0
	v_mov_b32_e32 v20, 0
	v_mov_b32_e32 v24, 0
	v_dual_mov_b32 v28, 0 :: v_dual_mov_b32 v17, 0
	v_dual_mov_b32 v14, 0 :: v_dual_mov_b32 v21, 0
	;; [unrolled: 1-line block ×5, first 2 shown]
	v_mov_b32_e32 v19, 0
	v_mov_b32_e32 v23, 0
	;; [unrolled: 1-line block ×3, first 2 shown]
	s_mov_b64 s[20:21], 0
	s_wait_loadcnt 0x1
	v_add_co_u32 v10, vcc_lo, v10, v35
	s_wait_alu 0xfffd
	v_add_co_ci_u32_e64 v11, null, v11, v36, vcc_lo
	s_wait_loadcnt 0x0
	v_add_co_u32 v12, vcc_lo, v12, v37
	s_wait_alu 0xfffd
	v_add_co_ci_u32_e64 v13, null, v13, v38, vcc_lo
.LBB273_5:                              ;   Parent Loop BB273_3 Depth=1
                                        ; =>  This Inner Loop Header: Depth=2
	flat_load_b128 v[39:42], v[10:11]
	flat_load_b128 v[43:46], v[12:13]
	s_wait_alu 0xfffe
	s_add_nc_u64 s[20:21], s[20:21], 8
	v_add_co_u32 v10, vcc_lo, 0x80, v10
	s_wait_alu 0xfffe
	v_cmp_lt_i64_e64 s23, s[20:21], s[36:37]
	s_wait_alu 0xfffd
	v_add_co_ci_u32_e64 v11, null, 0, v11, vcc_lo
	v_add_co_u32 v12, vcc_lo, 0x80, v12
	s_wait_alu 0xfffd
	v_add_co_ci_u32_e64 v13, null, 0, v13, vcc_lo
	s_and_b32 vcc_lo, exec_lo, s23
	s_wait_loadcnt_dscnt 0x101
	ds_store_2addr_b64 v33, v[39:40], v[41:42] offset1:1
	s_wait_loadcnt_dscnt 0x1
	ds_store_2addr_b64 v34, v[43:44], v[45:46] offset1:1
	s_wait_dscnt 0x0
	s_barrier_signal -1
	s_barrier_wait -1
	global_inv scope:SCOPE_SE
	ds_load_b128 v[39:42], v32
	ds_load_b128 v[43:46], v31
	ds_load_b128 v[47:50], v31 offset:256
	ds_load_b128 v[51:54], v32 offset:2048
	;; [unrolled: 1-line block ×13, first 2 shown]
	s_wait_dscnt 0xd
	v_mul_f64_e32 v[99:100], v[41:42], v[45:46]
	v_mul_f64_e32 v[101:102], v[39:40], v[45:46]
	s_wait_dscnt 0xc
	v_mul_f64_e32 v[103:104], v[41:42], v[49:50]
	v_mul_f64_e32 v[105:106], v[39:40], v[49:50]
	;; [unrolled: 3-line block ×3, first 2 shown]
	v_mul_f64_e32 v[109:110], v[53:54], v[49:50]
	v_mul_f64_e32 v[49:50], v[51:52], v[49:50]
	s_wait_dscnt 0x9
	v_mul_f64_e32 v[111:112], v[57:58], v[61:62]
	v_mul_f64_e32 v[113:114], v[55:56], v[61:62]
	s_wait_dscnt 0x7
	v_mul_f64_e32 v[115:116], v[57:58], v[69:70]
	v_mul_f64_e32 v[117:118], v[55:56], v[69:70]
	;; [unrolled: 1-line block ×6, first 2 shown]
	s_wait_dscnt 0x3
	v_mul_f64_e32 v[125:126], v[71:72], v[85:86]
	s_wait_dscnt 0x1
	v_mul_f64_e32 v[127:128], v[93:94], v[81:82]
	v_mul_f64_e32 v[129:130], v[93:94], v[85:86]
	v_fma_f64 v[99:100], v[39:40], v[43:44], -v[99:100]
	v_fma_f64 v[101:102], v[41:42], v[43:44], v[101:102]
	v_fma_f64 v[103:104], v[39:40], v[47:48], -v[103:104]
	v_fma_f64 v[105:106], v[41:42], v[47:48], v[105:106]
	;; [unrolled: 2-line block ×4, first 2 shown]
	v_mul_f64_e32 v[49:50], v[73:74], v[81:82]
	v_mul_f64_e32 v[53:54], v[71:72], v[81:82]
	;; [unrolled: 1-line block ×5, first 2 shown]
	v_fma_f64 v[111:112], v[55:56], v[59:60], -v[111:112]
	v_fma_f64 v[113:114], v[57:58], v[59:60], v[113:114]
	v_fma_f64 v[55:56], v[55:56], v[67:68], -v[115:116]
	v_fma_f64 v[57:58], v[57:58], v[67:68], v[117:118]
	v_fma_f64 v[115:116], v[63:64], v[59:60], -v[119:120]
	v_fma_f64 v[59:60], v[65:66], v[59:60], v[61:62]
	v_fma_f64 v[61:62], v[63:64], v[67:68], -v[121:122]
	v_fma_f64 v[63:64], v[65:66], v[67:68], v[69:70]
	ds_load_b128 v[39:42], v31 offset:1792
	ds_load_b128 v[43:46], v32 offset:64
	v_mul_f64_e32 v[69:70], v[77:78], v[89:90]
	v_add_f64_e32 v[26:27], v[26:27], v[99:100]
	v_add_f64_e32 v[28:29], v[101:102], v[28:29]
	;; [unrolled: 1-line block ×8, first 2 shown]
	v_mul_f64_e32 v[99:100], v[75:76], v[89:90]
	s_wait_dscnt 0x1
	v_mul_f64_e32 v[101:102], v[77:78], v[41:42]
	v_mul_f64_e32 v[103:104], v[75:76], v[41:42]
	;; [unrolled: 1-line block ×6, first 2 shown]
	v_fma_f64 v[117:118], v[71:72], v[79:80], -v[49:50]
	v_fma_f64 v[119:120], v[73:74], v[79:80], v[53:54]
	v_fma_f64 v[71:72], v[71:72], v[83:84], -v[109:110]
	v_fma_f64 v[73:74], v[73:74], v[83:84], v[125:126]
	;; [unrolled: 2-line block ×4, first 2 shown]
	ds_load_b128 v[14:17], v31 offset:2048
	ds_load_b128 v[18:21], v31 offset:2304
	v_fma_f64 v[69:70], v[75:76], v[87:88], -v[69:70]
	v_add_f64_e32 v[85:86], v[26:27], v[111:112]
	v_add_f64_e32 v[91:92], v[113:114], v[28:29]
	;; [unrolled: 1-line block ×8, first 2 shown]
	ds_load_b128 v[22:25], v32 offset:2112
	ds_load_b128 v[26:29], v32 offset:80
	;; [unrolled: 1-line block ×4, first 2 shown]
	s_wait_dscnt 0x5
	v_mul_f64_e32 v[67:68], v[45:46], v[16:17]
	v_mul_f64_e32 v[93:94], v[43:44], v[16:17]
	s_wait_dscnt 0x4
	v_mul_f64_e32 v[111:112], v[45:46], v[20:21]
	v_mul_f64_e32 v[113:114], v[43:44], v[20:21]
	v_fma_f64 v[99:100], v[77:78], v[87:88], v[99:100]
	v_fma_f64 v[75:76], v[75:76], v[39:40], -v[101:102]
	v_fma_f64 v[77:78], v[77:78], v[39:40], v[103:104]
	v_fma_f64 v[101:102], v[95:96], v[87:88], -v[105:106]
	;; [unrolled: 2-line block ×3, first 2 shown]
	v_fma_f64 v[95:96], v[97:98], v[39:40], v[41:42]
	s_wait_dscnt 0x3
	v_mul_f64_e32 v[115:116], v[24:25], v[16:17]
	v_mul_f64_e32 v[16:17], v[22:23], v[16:17]
	;; [unrolled: 1-line block ×4, first 2 shown]
	s_wait_dscnt 0x1
	v_mul_f64_e32 v[103:104], v[28:29], v[49:50]
	v_mul_f64_e32 v[105:106], v[26:27], v[49:50]
	v_add_f64_e32 v[85:86], v[85:86], v[117:118]
	v_add_f64_e32 v[91:92], v[119:120], v[91:92]
	;; [unrolled: 1-line block ×8, first 2 shown]
	ds_load_b128 v[39:42], v31 offset:2816
	ds_load_b128 v[55:58], v32 offset:96
	;; [unrolled: 1-line block ×4, first 2 shown]
	s_wait_dscnt 0x4
	v_mul_f64_e32 v[117:118], v[53:54], v[49:50]
	v_mul_f64_e32 v[49:50], v[51:52], v[49:50]
	v_fma_f64 v[67:68], v[43:44], v[14:15], -v[67:68]
	v_fma_f64 v[93:94], v[45:46], v[14:15], v[93:94]
	v_fma_f64 v[111:112], v[43:44], v[18:19], -v[111:112]
	v_fma_f64 v[45:46], v[45:46], v[18:19], v[113:114]
	s_wait_dscnt 0x3
	v_mul_f64_e32 v[107:108], v[28:29], v[41:42]
	v_mul_f64_e32 v[109:110], v[26:27], v[41:42]
	;; [unrolled: 1-line block ×4, first 2 shown]
	v_fma_f64 v[113:114], v[22:23], v[14:15], -v[115:116]
	v_fma_f64 v[115:116], v[24:25], v[14:15], v[16:17]
	v_fma_f64 v[121:122], v[22:23], v[18:19], -v[121:122]
	v_fma_f64 v[125:126], v[24:25], v[18:19], v[20:21]
	ds_load_b128 v[14:17], v32 offset:2144
	ds_load_b128 v[18:21], v32 offset:112
	;; [unrolled: 1-line block ×4, first 2 shown]
	v_add_f64_e32 v[69:70], v[85:86], v[69:70]
	v_add_f64_e32 v[85:86], v[99:100], v[91:92]
	;; [unrolled: 1-line block ×8, first 2 shown]
	s_wait_dscnt 0x5
	v_mul_f64_e32 v[83:84], v[57:58], v[61:62]
	v_mul_f64_e32 v[87:88], v[55:56], v[61:62]
	s_wait_dscnt 0x4
	v_mul_f64_e32 v[89:90], v[57:58], v[65:66]
	v_mul_f64_e32 v[91:92], v[55:56], v[65:66]
	;; [unrolled: 3-line block ×3, first 2 shown]
	v_mul_f64_e32 v[97:98], v[16:17], v[65:66]
	v_mul_f64_e32 v[65:66], v[14:15], v[65:66]
	v_fma_f64 v[99:100], v[26:27], v[47:48], -v[103:104]
	v_fma_f64 v[101:102], v[28:29], v[47:48], v[105:106]
	v_fma_f64 v[103:104], v[26:27], v[39:40], -v[107:108]
	v_fma_f64 v[105:106], v[28:29], v[39:40], v[109:110]
	;; [unrolled: 2-line block ×4, first 2 shown]
	ds_load_b128 v[26:29], v31 offset:3840
	s_wait_loadcnt_dscnt 0x0
	s_barrier_signal -1
	s_barrier_wait -1
	global_inv scope:SCOPE_SE
	v_add_f64_e32 v[51:52], v[69:70], v[67:68]
	v_add_f64_e32 v[53:54], v[93:94], v[85:86]
	;; [unrolled: 1-line block ×8, first 2 shown]
	v_mul_f64_e32 v[77:78], v[20:21], v[24:25]
	v_mul_f64_e32 v[79:80], v[18:19], v[24:25]
	;; [unrolled: 1-line block ×4, first 2 shown]
	v_fma_f64 v[83:84], v[55:56], v[59:60], -v[83:84]
	v_mul_f64_e32 v[81:82], v[20:21], v[28:29]
	v_mul_f64_e32 v[85:86], v[18:19], v[28:29]
	v_mul_f64_e32 v[109:110], v[43:44], v[28:29]
	v_mul_f64_e32 v[28:29], v[41:42], v[28:29]
	v_fma_f64 v[87:88], v[57:58], v[59:60], v[87:88]
	v_fma_f64 v[55:56], v[55:56], v[63:64], -v[89:90]
	v_fma_f64 v[57:58], v[57:58], v[63:64], v[91:92]
	v_fma_f64 v[89:90], v[14:15], v[59:60], -v[95:96]
	;; [unrolled: 2-line block ×3, first 2 shown]
	v_fma_f64 v[16:17], v[16:17], v[63:64], v[65:66]
	v_add_f64_e32 v[51:52], v[51:52], v[99:100]
	v_add_f64_e32 v[53:54], v[101:102], v[53:54]
	;; [unrolled: 1-line block ×8, first 2 shown]
	v_fma_f64 v[65:66], v[18:19], v[22:23], -v[77:78]
	v_fma_f64 v[67:68], v[20:21], v[22:23], v[79:80]
	v_fma_f64 v[69:70], v[41:42], v[22:23], -v[93:94]
	v_fma_f64 v[71:72], v[43:44], v[22:23], v[24:25]
	;; [unrolled: 2-line block ×4, first 2 shown]
	v_add_f64_e32 v[22:23], v[51:52], v[83:84]
	v_add_f64_e32 v[24:25], v[87:88], v[53:54]
	;; [unrolled: 1-line block ×16, first 2 shown]
	s_wait_alu 0xfffe
	s_cbranch_vccnz .LBB273_5
	s_branch .LBB273_7
.LBB273_6:                              ;   in Loop: Header=BB273_3 Depth=1
	v_mov_b32_e32 v26, 0
	v_mov_b32_e32 v22, 0
	;; [unrolled: 1-line block ×3, first 2 shown]
	v_dual_mov_b32 v14, 0 :: v_dual_mov_b32 v27, 0
	v_dual_mov_b32 v28, 0 :: v_dual_mov_b32 v23, 0
	;; [unrolled: 1-line block ×5, first 2 shown]
	v_mov_b32_e32 v25, 0
	v_mov_b32_e32 v21, 0
	;; [unrolled: 1-line block ×3, first 2 shown]
.LBB273_7:                              ;   in Loop: Header=BB273_3 Depth=1
	s_wait_loadcnt 0x0
	v_add_co_u32 v12, vcc_lo, v8, s4
	s_wait_alu 0xfffd
	v_add_co_ci_u32_e64 v13, null, s5, v9, vcc_lo
	s_and_not1_b32 vcc_lo, exec_lo, s1
	s_mov_b32 s20, -1
                                        ; implicit-def: $vgpr8_vgpr9
                                        ; implicit-def: $vgpr10_vgpr11
	s_wait_alu 0xfffe
	s_cbranch_vccz .LBB273_9
; %bb.8:                                ;   in Loop: Header=BB273_3 Depth=1
	s_and_not1_b32 vcc_lo, exec_lo, s20
	s_wait_alu 0xfffe
	s_cbranch_vccnz .LBB273_2
	s_branch .LBB273_10
.LBB273_9:                              ;   in Loop: Header=BB273_3 Depth=1
	v_mul_f64_e32 v[8:9], s[40:41], v[28:29]
	v_mul_f64_e32 v[10:11], s[38:39], v[28:29]
	;; [unrolled: 1-line block ×8, first 2 shown]
	v_fma_f64 v[39:40], s[38:39], v[26:27], -v[8:9]
	v_fma_f64 v[41:42], s[40:41], v[26:27], v[10:11]
	v_fma_f64 v[8:9], s[40:41], v[14:15], v[53:54]
	v_fma_f64 v[43:44], s[38:39], v[22:23], -v[43:44]
	v_fma_f64 v[45:46], s[40:41], v[22:23], v[45:46]
	v_fma_f64 v[47:48], s[38:39], v[18:19], -v[47:48]
	;; [unrolled: 2-line block ×3, first 2 shown]
	v_lshlrev_b64_e32 v[10:11], 4, v[2:3]
	s_delay_alu instid0(VALU_DEP_1) | instskip(SKIP_1) | instid1(VALU_DEP_2)
	v_add_co_u32 v55, vcc_lo, v12, v10
	s_wait_alu 0xfffd
	v_add_co_ci_u32_e64 v56, null, v13, v11, vcc_lo
	v_lshlrev_b64_e32 v[10:11], 4, v[0:1]
	s_delay_alu instid0(VALU_DEP_3) | instskip(SKIP_1) | instid1(VALU_DEP_3)
	v_add_co_u32 v53, vcc_lo, v55, s18
	s_wait_alu 0xfffd
	v_add_co_ci_u32_e64 v54, null, s19, v56, vcc_lo
	s_delay_alu instid0(VALU_DEP_2) | instskip(SKIP_1) | instid1(VALU_DEP_2)
	v_add_co_u32 v53, vcc_lo, v53, v10
	s_wait_alu 0xfffd
	v_add_co_ci_u32_e64 v54, null, v54, v11, vcc_lo
	v_add_co_u32 v55, vcc_lo, v55, v10
	s_wait_alu 0xfffd
	v_add_co_ci_u32_e64 v56, null, v56, v11, vcc_lo
	;; [unrolled: 3-line block ×3, first 2 shown]
	s_clause 0x3
	flat_store_b128 v[55:56], v[39:42]
	flat_store_b128 v[55:56], v[43:46] offset:256
	flat_store_b128 v[53:54], v[47:50]
	flat_store_b64 v[53:54], v[51:52] offset:256
	s_cbranch_execnz .LBB273_2
.LBB273_10:                             ;   in Loop: Header=BB273_3 Depth=1
	v_add_co_u32 v6, vcc_lo, v6, s12
	s_wait_alu 0xfffd
	v_add_co_ci_u32_e64 v7, null, s13, v7, vcc_lo
	v_lshlrev_b64_e32 v[10:11], 4, v[0:1]
	s_delay_alu instid0(VALU_DEP_3) | instskip(SKIP_1) | instid1(VALU_DEP_3)
	v_add_co_u32 v45, vcc_lo, v6, v4
	s_wait_alu 0xfffd
	v_add_co_ci_u32_e64 v46, null, v7, v5, vcc_lo
	v_mul_f64_e32 v[41:42], s[40:41], v[28:29]
	s_delay_alu instid0(VALU_DEP_3) | instskip(SKIP_1) | instid1(VALU_DEP_3)
	v_add_co_u32 v39, vcc_lo, v45, v10
	s_wait_alu 0xfffd
	v_add_co_ci_u32_e64 v40, null, v46, v11, vcc_lo
	v_mul_f64_e32 v[28:29], s[38:39], v[28:29]
	flat_load_b128 v[6:9], v[39:40]
	v_fma_f64 v[41:42], s[38:39], v[26:27], -v[41:42]
	v_fma_f64 v[26:27], s[40:41], v[26:27], v[28:29]
	s_wait_loadcnt_dscnt 0x0
	v_mul_f64_e32 v[43:44], s[8:9], v[8:9]
	v_mul_f64_e32 v[8:9], s[6:7], v[8:9]
	s_delay_alu instid0(VALU_DEP_2) | instskip(NEXT) | instid1(VALU_DEP_2)
	v_fma_f64 v[28:29], s[6:7], v[6:7], -v[43:44]
	v_fma_f64 v[8:9], s[8:9], v[6:7], v[8:9]
	s_delay_alu instid0(VALU_DEP_2) | instskip(NEXT) | instid1(VALU_DEP_2)
	v_add_f64_e32 v[6:7], v[41:42], v[28:29]
	v_add_f64_e32 v[8:9], v[26:27], v[8:9]
	v_lshlrev_b64_e32 v[26:27], 4, v[2:3]
	s_delay_alu instid0(VALU_DEP_1) | instskip(SKIP_1) | instid1(VALU_DEP_2)
	v_add_co_u32 v41, vcc_lo, v12, v26
	s_wait_alu 0xfffd
	v_add_co_ci_u32_e64 v42, null, v13, v27, vcc_lo
	v_mul_f64_e32 v[26:27], s[40:41], v[24:25]
	s_delay_alu instid0(VALU_DEP_3) | instskip(SKIP_1) | instid1(VALU_DEP_3)
	v_add_co_u32 v12, vcc_lo, v41, v10
	s_wait_alu 0xfffd
	v_add_co_ci_u32_e64 v13, null, v42, v11, vcc_lo
	v_mul_f64_e32 v[24:25], s[38:39], v[24:25]
	flat_store_b128 v[12:13], v[6:9]
	flat_load_b128 v[6:9], v[39:40] offset:256
	v_fma_f64 v[26:27], s[38:39], v[22:23], -v[26:27]
	v_fma_f64 v[22:23], s[40:41], v[22:23], v[24:25]
	s_wait_loadcnt_dscnt 0x0
	v_mul_f64_e32 v[28:29], s[8:9], v[8:9]
	v_mul_f64_e32 v[8:9], s[6:7], v[8:9]
	s_delay_alu instid0(VALU_DEP_2) | instskip(NEXT) | instid1(VALU_DEP_2)
	v_fma_f64 v[24:25], s[6:7], v[6:7], -v[28:29]
	v_fma_f64 v[8:9], s[8:9], v[6:7], v[8:9]
	s_delay_alu instid0(VALU_DEP_2) | instskip(NEXT) | instid1(VALU_DEP_2)
	v_add_f64_e32 v[6:7], v[26:27], v[24:25]
	v_add_f64_e32 v[8:9], v[22:23], v[8:9]
	v_add_co_u32 v22, vcc_lo, v45, s14
	s_wait_alu 0xfffd
	v_add_co_ci_u32_e64 v23, null, s15, v46, vcc_lo
	s_delay_alu instid0(VALU_DEP_2) | instskip(SKIP_1) | instid1(VALU_DEP_2)
	v_add_co_u32 v22, vcc_lo, v22, v10
	s_wait_alu 0xfffd
	v_add_co_ci_u32_e64 v23, null, v23, v11, vcc_lo
	flat_store_b128 v[12:13], v[6:9] offset:256
	flat_load_b128 v[6:9], v[22:23]
	v_mul_f64_e32 v[12:13], s[40:41], v[20:21]
	v_mul_f64_e32 v[20:21], s[38:39], v[20:21]
	s_delay_alu instid0(VALU_DEP_2) | instskip(NEXT) | instid1(VALU_DEP_2)
	v_fma_f64 v[12:13], s[38:39], v[18:19], -v[12:13]
	v_fma_f64 v[18:19], s[40:41], v[18:19], v[20:21]
	s_wait_loadcnt_dscnt 0x0
	v_mul_f64_e32 v[24:25], s[8:9], v[8:9]
	v_mul_f64_e32 v[8:9], s[6:7], v[8:9]
	s_delay_alu instid0(VALU_DEP_2) | instskip(NEXT) | instid1(VALU_DEP_2)
	v_fma_f64 v[20:21], s[6:7], v[6:7], -v[24:25]
	v_fma_f64 v[8:9], s[8:9], v[6:7], v[8:9]
	s_delay_alu instid0(VALU_DEP_2) | instskip(NEXT) | instid1(VALU_DEP_2)
	v_add_f64_e32 v[6:7], v[12:13], v[20:21]
	v_add_f64_e32 v[8:9], v[18:19], v[8:9]
	v_add_co_u32 v12, vcc_lo, v41, s18
	s_wait_alu 0xfffd
	v_add_co_ci_u32_e64 v13, null, s19, v42, vcc_lo
	s_delay_alu instid0(VALU_DEP_2) | instskip(SKIP_1) | instid1(VALU_DEP_2)
	v_add_co_u32 v12, vcc_lo, v12, v10
	s_wait_alu 0xfffd
	v_add_co_ci_u32_e64 v13, null, v13, v11, vcc_lo
	v_mul_f64_e32 v[10:11], s[40:41], v[16:17]
	v_mul_f64_e32 v[16:17], s[38:39], v[16:17]
	flat_store_b128 v[12:13], v[6:9]
	flat_load_b128 v[6:9], v[22:23] offset:256
	v_fma_f64 v[10:11], s[38:39], v[14:15], -v[10:11]
	v_fma_f64 v[14:15], s[40:41], v[14:15], v[16:17]
	s_wait_loadcnt_dscnt 0x0
	v_mul_f64_e32 v[18:19], s[8:9], v[8:9]
	v_mul_f64_e32 v[8:9], s[6:7], v[8:9]
	s_delay_alu instid0(VALU_DEP_2) | instskip(NEXT) | instid1(VALU_DEP_2)
	v_fma_f64 v[16:17], s[6:7], v[6:7], -v[18:19]
	v_fma_f64 v[6:7], s[8:9], v[6:7], v[8:9]
	s_delay_alu instid0(VALU_DEP_2) | instskip(NEXT) | instid1(VALU_DEP_2)
	v_add_f64_e32 v[16:17], v[10:11], v[16:17]
	v_add_f64_e32 v[8:9], v[14:15], v[6:7]
	v_add_co_u32 v10, vcc_lo, 0x100, v12
	s_wait_alu 0xfffd
	v_add_co_ci_u32_e64 v11, null, 0, v13, vcc_lo
	flat_store_b64 v[12:13], v[16:17] offset:256
	s_branch .LBB273_2
.LBB273_11:
	s_nop 0
	s_sendmsg sendmsg(MSG_DEALLOC_VGPRS)
	s_endpgm
	.section	.rodata,"a",@progbits
	.p2align	6, 0x0
	.amdhsa_kernel _ZN12_GLOBAL__N_127rocblas_gemm_batched_kernelI19rocblas_complex_numIdELi16ELi16ELi32ELi32ELi8ELi32ELi8ELi8ELi32ELc84ELc78EKPKS2_S5_KPS2_EEvlllT_PT11_llSA_llS8_PT12_llPT13_lli
		.amdhsa_group_segment_fixed_size 8192
		.amdhsa_private_segment_fixed_size 0
		.amdhsa_kernarg_size 156
		.amdhsa_user_sgpr_count 2
		.amdhsa_user_sgpr_dispatch_ptr 0
		.amdhsa_user_sgpr_queue_ptr 0
		.amdhsa_user_sgpr_kernarg_segment_ptr 1
		.amdhsa_user_sgpr_dispatch_id 0
		.amdhsa_user_sgpr_private_segment_size 0
		.amdhsa_wavefront_size32 1
		.amdhsa_uses_dynamic_stack 0
		.amdhsa_enable_private_segment 0
		.amdhsa_system_sgpr_workgroup_id_x 1
		.amdhsa_system_sgpr_workgroup_id_y 1
		.amdhsa_system_sgpr_workgroup_id_z 1
		.amdhsa_system_sgpr_workgroup_info 0
		.amdhsa_system_vgpr_workitem_id 1
		.amdhsa_next_free_vgpr 131
		.amdhsa_next_free_sgpr 52
		.amdhsa_reserve_vcc 1
		.amdhsa_float_round_mode_32 0
		.amdhsa_float_round_mode_16_64 0
		.amdhsa_float_denorm_mode_32 3
		.amdhsa_float_denorm_mode_16_64 3
		.amdhsa_fp16_overflow 0
		.amdhsa_workgroup_processor_mode 1
		.amdhsa_memory_ordered 1
		.amdhsa_forward_progress 1
		.amdhsa_inst_pref_size 26
		.amdhsa_round_robin_scheduling 0
		.amdhsa_exception_fp_ieee_invalid_op 0
		.amdhsa_exception_fp_denorm_src 0
		.amdhsa_exception_fp_ieee_div_zero 0
		.amdhsa_exception_fp_ieee_overflow 0
		.amdhsa_exception_fp_ieee_underflow 0
		.amdhsa_exception_fp_ieee_inexact 0
		.amdhsa_exception_int_div_zero 0
	.end_amdhsa_kernel
	.section	.text._ZN12_GLOBAL__N_127rocblas_gemm_batched_kernelI19rocblas_complex_numIdELi16ELi16ELi32ELi32ELi8ELi32ELi8ELi8ELi32ELc84ELc78EKPKS2_S5_KPS2_EEvlllT_PT11_llSA_llS8_PT12_llPT13_lli,"axG",@progbits,_ZN12_GLOBAL__N_127rocblas_gemm_batched_kernelI19rocblas_complex_numIdELi16ELi16ELi32ELi32ELi8ELi32ELi8ELi8ELi32ELc84ELc78EKPKS2_S5_KPS2_EEvlllT_PT11_llSA_llS8_PT12_llPT13_lli,comdat
.Lfunc_end273:
	.size	_ZN12_GLOBAL__N_127rocblas_gemm_batched_kernelI19rocblas_complex_numIdELi16ELi16ELi32ELi32ELi8ELi32ELi8ELi8ELi32ELc84ELc78EKPKS2_S5_KPS2_EEvlllT_PT11_llSA_llS8_PT12_llPT13_lli, .Lfunc_end273-_ZN12_GLOBAL__N_127rocblas_gemm_batched_kernelI19rocblas_complex_numIdELi16ELi16ELi32ELi32ELi8ELi32ELi8ELi8ELi32ELc84ELc78EKPKS2_S5_KPS2_EEvlllT_PT11_llSA_llS8_PT12_llPT13_lli
                                        ; -- End function
	.set _ZN12_GLOBAL__N_127rocblas_gemm_batched_kernelI19rocblas_complex_numIdELi16ELi16ELi32ELi32ELi8ELi32ELi8ELi8ELi32ELc84ELc78EKPKS2_S5_KPS2_EEvlllT_PT11_llSA_llS8_PT12_llPT13_lli.num_vgpr, 131
	.set _ZN12_GLOBAL__N_127rocblas_gemm_batched_kernelI19rocblas_complex_numIdELi16ELi16ELi32ELi32ELi8ELi32ELi8ELi8ELi32ELc84ELc78EKPKS2_S5_KPS2_EEvlllT_PT11_llSA_llS8_PT12_llPT13_lli.num_agpr, 0
	.set _ZN12_GLOBAL__N_127rocblas_gemm_batched_kernelI19rocblas_complex_numIdELi16ELi16ELi32ELi32ELi8ELi32ELi8ELi8ELi32ELc84ELc78EKPKS2_S5_KPS2_EEvlllT_PT11_llSA_llS8_PT12_llPT13_lli.numbered_sgpr, 52
	.set _ZN12_GLOBAL__N_127rocblas_gemm_batched_kernelI19rocblas_complex_numIdELi16ELi16ELi32ELi32ELi8ELi32ELi8ELi8ELi32ELc84ELc78EKPKS2_S5_KPS2_EEvlllT_PT11_llSA_llS8_PT12_llPT13_lli.num_named_barrier, 0
	.set _ZN12_GLOBAL__N_127rocblas_gemm_batched_kernelI19rocblas_complex_numIdELi16ELi16ELi32ELi32ELi8ELi32ELi8ELi8ELi32ELc84ELc78EKPKS2_S5_KPS2_EEvlllT_PT11_llSA_llS8_PT12_llPT13_lli.private_seg_size, 0
	.set _ZN12_GLOBAL__N_127rocblas_gemm_batched_kernelI19rocblas_complex_numIdELi16ELi16ELi32ELi32ELi8ELi32ELi8ELi8ELi32ELc84ELc78EKPKS2_S5_KPS2_EEvlllT_PT11_llSA_llS8_PT12_llPT13_lli.uses_vcc, 1
	.set _ZN12_GLOBAL__N_127rocblas_gemm_batched_kernelI19rocblas_complex_numIdELi16ELi16ELi32ELi32ELi8ELi32ELi8ELi8ELi32ELc84ELc78EKPKS2_S5_KPS2_EEvlllT_PT11_llSA_llS8_PT12_llPT13_lli.uses_flat_scratch, 1
	.set _ZN12_GLOBAL__N_127rocblas_gemm_batched_kernelI19rocblas_complex_numIdELi16ELi16ELi32ELi32ELi8ELi32ELi8ELi8ELi32ELc84ELc78EKPKS2_S5_KPS2_EEvlllT_PT11_llSA_llS8_PT12_llPT13_lli.has_dyn_sized_stack, 0
	.set _ZN12_GLOBAL__N_127rocblas_gemm_batched_kernelI19rocblas_complex_numIdELi16ELi16ELi32ELi32ELi8ELi32ELi8ELi8ELi32ELc84ELc78EKPKS2_S5_KPS2_EEvlllT_PT11_llSA_llS8_PT12_llPT13_lli.has_recursion, 0
	.set _ZN12_GLOBAL__N_127rocblas_gemm_batched_kernelI19rocblas_complex_numIdELi16ELi16ELi32ELi32ELi8ELi32ELi8ELi8ELi32ELc84ELc78EKPKS2_S5_KPS2_EEvlllT_PT11_llSA_llS8_PT12_llPT13_lli.has_indirect_call, 0
	.section	.AMDGPU.csdata,"",@progbits
; Kernel info:
; codeLenInByte = 3272
; TotalNumSgprs: 54
; NumVgprs: 131
; ScratchSize: 0
; MemoryBound: 0
; FloatMode: 240
; IeeeMode: 1
; LDSByteSize: 8192 bytes/workgroup (compile time only)
; SGPRBlocks: 0
; VGPRBlocks: 16
; NumSGPRsForWavesPerEU: 54
; NumVGPRsForWavesPerEU: 131
; Occupancy: 10
; WaveLimiterHint : 1
; COMPUTE_PGM_RSRC2:SCRATCH_EN: 0
; COMPUTE_PGM_RSRC2:USER_SGPR: 2
; COMPUTE_PGM_RSRC2:TRAP_HANDLER: 0
; COMPUTE_PGM_RSRC2:TGID_X_EN: 1
; COMPUTE_PGM_RSRC2:TGID_Y_EN: 1
; COMPUTE_PGM_RSRC2:TGID_Z_EN: 1
; COMPUTE_PGM_RSRC2:TIDIG_COMP_CNT: 1
	.section	.text._ZN12_GLOBAL__N_127rocblas_gemm_batched_kernelI19rocblas_complex_numIdELi16ELi16ELi32ELi32ELi8ELi32ELi8ELi8ELi32ELc78ELc84EKPKS2_S5_KPS2_EEvlllT_PT11_llSA_llS8_PT12_llPT13_lli,"axG",@progbits,_ZN12_GLOBAL__N_127rocblas_gemm_batched_kernelI19rocblas_complex_numIdELi16ELi16ELi32ELi32ELi8ELi32ELi8ELi8ELi32ELc78ELc84EKPKS2_S5_KPS2_EEvlllT_PT11_llSA_llS8_PT12_llPT13_lli,comdat
	.globl	_ZN12_GLOBAL__N_127rocblas_gemm_batched_kernelI19rocblas_complex_numIdELi16ELi16ELi32ELi32ELi8ELi32ELi8ELi8ELi32ELc78ELc84EKPKS2_S5_KPS2_EEvlllT_PT11_llSA_llS8_PT12_llPT13_lli ; -- Begin function _ZN12_GLOBAL__N_127rocblas_gemm_batched_kernelI19rocblas_complex_numIdELi16ELi16ELi32ELi32ELi8ELi32ELi8ELi8ELi32ELc78ELc84EKPKS2_S5_KPS2_EEvlllT_PT11_llSA_llS8_PT12_llPT13_lli
	.p2align	8
	.type	_ZN12_GLOBAL__N_127rocblas_gemm_batched_kernelI19rocblas_complex_numIdELi16ELi16ELi32ELi32ELi8ELi32ELi8ELi8ELi32ELc78ELc84EKPKS2_S5_KPS2_EEvlllT_PT11_llSA_llS8_PT12_llPT13_lli,@function
_ZN12_GLOBAL__N_127rocblas_gemm_batched_kernelI19rocblas_complex_numIdELi16ELi16ELi32ELi32ELi8ELi32ELi8ELi8ELi32ELc78ELc84EKPKS2_S5_KPS2_EEvlllT_PT11_llSA_llS8_PT12_llPT13_lli: ; @_ZN12_GLOBAL__N_127rocblas_gemm_batched_kernelI19rocblas_complex_numIdELi16ELi16ELi32ELi32ELi8ELi32ELi8ELi8ELi32ELc78ELc84EKPKS2_S5_KPS2_EEvlllT_PT11_llSA_llS8_PT12_llPT13_lli
; %bb.0:
	s_load_b32 s26, s[0:1], 0x98
	s_lshr_b32 s2, ttmp7, 16
	s_wait_kmcnt 0x0
	s_cmp_ge_i32 s2, s26
	s_cbranch_scc1 .LBB274_11
; %bb.1:
	s_clause 0x2
	s_load_b512 s[4:19], s[0:1], 0x50
	s_load_b512 s[36:51], s[0:1], 0x10
	s_load_b64 s[20:21], s[0:1], 0x90
	v_dual_mov_b32 v30, 0 :: v_dual_and_b32 v13, 0x3ff, v0
	v_bfe_u32 v2, v0, 10, 10
	s_lshl_b32 s0, ttmp7, 5
	v_and_b32_e32 v8, 7, v0
	s_and_b32 s0, s0, 0x1fffe0
	s_mov_b32 s22, ttmp9
	v_lshl_add_u32 v3, v2, 4, v13
	v_add_nc_u32_e32 v12, s0, v2
	v_lshlrev_b32_e32 v6, 4, v8
	s_ashr_i32 s23, ttmp9, 31
	v_lshl_add_u32 v32, v2, 7, 0x1000
	v_lshrrev_b32_e32 v7, 3, v3
	v_lshrrev_b32_e32 v10, 5, v3
	v_and_b32_e32 v14, 31, v3
	s_lshl_b64 s[22:23], s[22:23], 5
	v_lshlrev_b32_e32 v31, 4, v13
	s_wait_kmcnt 0x0
	v_cmp_eq_f64_e64 s1, s[6:7], 0
	v_cmp_eq_f64_e64 s24, s[8:9], 0
	v_add_co_u32 v0, s25, v7, s0
	s_delay_alu instid0(VALU_DEP_1) | instskip(SKIP_2) | instid1(VALU_DEP_3)
	v_add_co_ci_u32_e64 v1, null, 0, 0, s25
	v_lshl_or_b32 v11, v7, 7, v6
	v_mad_co_u64_u32 v[6:7], null, v12, s12, 0
	v_mad_co_u64_u32 v[4:5], null, s50, v8, v[0:1]
	;; [unrolled: 1-line block ×4, first 2 shown]
	v_lshlrev_b32_e32 v9, 4, v14
	v_add_nc_u32_e32 v34, 0x1000, v11
	s_lshl_b64 s[4:5], s[4:5], 4
	s_mov_b32 s3, 0
	s_lshl_b64 s[14:15], s[14:15], 4
	v_lshl_or_b32 v33, v10, 9, v9
	v_mad_co_u64_u32 v[8:9], null, s51, v8, v[5:6]
	v_mad_co_u64_u32 v[9:10], null, s45, v10, v[3:4]
	;; [unrolled: 1-line block ×3, first 2 shown]
	v_mov_b32_e32 v5, v7
	s_delay_alu instid0(VALU_DEP_1) | instskip(NEXT) | instid1(VALU_DEP_3)
	v_mad_co_u64_u32 v[11:12], null, v12, s13, v[5:6]
	v_mov_b32_e32 v1, v10
	v_add_co_u32 v7, vcc_lo, v2, v14
	v_mov_b32_e32 v5, v8
	v_add_co_ci_u32_e64 v8, null, 0, v9, vcc_lo
	v_add_co_u32 v2, s0, s22, v13
	s_wait_alu 0xf1ff
	v_add_co_ci_u32_e64 v3, null, s23, 0, s0
	s_delay_alu instid0(VALU_DEP_3)
	v_lshlrev_b64_e32 v[8:9], 4, v[7:8]
	v_cmp_gt_i64_e64 s0, s[36:37], 0
	v_lshlrev_b64_e32 v[4:5], 4, v[4:5]
	s_and_b32 s1, s1, s24
	s_lshl_b64 s[24:25], s[12:13], 4
	s_lshl_b64 s[12:13], s[46:47], 4
	v_mov_b32_e32 v7, v11
	s_wait_alu 0xfffe
	v_add_co_u32 v35, vcc_lo, s12, v8
	v_cndmask_b32_e64 v8, 0, 1, s0
	s_wait_alu 0xfffd
	v_add_co_ci_u32_e64 v36, null, s13, v9, vcc_lo
	v_add_co_u32 v37, vcc_lo, s4, v4
	s_wait_alu 0xfffd
	v_add_co_ci_u32_e64 v38, null, s5, v5, vcc_lo
	v_lshlrev_b64_e32 v[4:5], 4, v[6:7]
	v_cmp_ne_u32_e64 s0, 1, v8
	s_lshl_b64 s[22:23], s[18:19], 4
	s_lshl_b64 s[12:13], s[44:45], 7
	;; [unrolled: 1-line block ×5, first 2 shown]
	s_wait_alu 0xfffe
	s_lshl_b64 s[22:23], s[22:23], 4
	s_branch .LBB274_3
.LBB274_2:                              ;   in Loop: Header=BB274_3 Depth=1
	s_add_co_i32 s2, s2, 0x10000
	flat_store_b64 v[10:11], v[8:9] offset:8
	s_cmp_lt_i32 s2, s26
	s_cbranch_scc0 .LBB274_11
.LBB274_3:                              ; =>This Loop Header: Depth=1
                                        ;     Child Loop BB274_5 Depth 2
	s_lshl_b64 s[24:25], s[2:3], 3
	s_and_b32 vcc_lo, exec_lo, s0
	s_wait_alu 0xfffe
	s_add_nc_u64 s[28:29], s[10:11], s[24:25]
	s_add_nc_u64 s[30:31], s[16:17], s[24:25]
	s_clause 0x1
	global_load_b64 v[6:7], v30, s[28:29]
	global_load_b64 v[8:9], v30, s[30:31]
	s_cbranch_vccnz .LBB274_6
; %bb.4:                                ;   in Loop: Header=BB274_3 Depth=1
	s_add_nc_u64 s[28:29], s[42:43], s[24:25]
	s_add_nc_u64 s[24:25], s[48:49], s[24:25]
	s_clause 0x1
	global_load_b64 v[10:11], v30, s[28:29]
	global_load_b64 v[12:13], v30, s[24:25]
	v_mov_b32_e32 v16, 0
	v_mov_b32_e32 v20, 0
	;; [unrolled: 1-line block ×3, first 2 shown]
	v_dual_mov_b32 v28, 0 :: v_dual_mov_b32 v17, 0
	v_dual_mov_b32 v14, 0 :: v_dual_mov_b32 v21, 0
	;; [unrolled: 1-line block ×5, first 2 shown]
	v_mov_b32_e32 v19, 0
	v_mov_b32_e32 v23, 0
	;; [unrolled: 1-line block ×3, first 2 shown]
	s_mov_b64 s[24:25], 0
	s_wait_loadcnt 0x1
	v_add_co_u32 v10, vcc_lo, v10, v35
	s_wait_alu 0xfffd
	v_add_co_ci_u32_e64 v11, null, v11, v36, vcc_lo
	s_wait_loadcnt 0x0
	v_add_co_u32 v12, vcc_lo, v12, v37
	s_wait_alu 0xfffd
	v_add_co_ci_u32_e64 v13, null, v13, v38, vcc_lo
.LBB274_5:                              ;   Parent Loop BB274_3 Depth=1
                                        ; =>  This Inner Loop Header: Depth=2
	flat_load_b128 v[39:42], v[10:11]
	flat_load_b128 v[43:46], v[12:13]
	s_wait_alu 0xfffe
	s_add_nc_u64 s[24:25], s[24:25], 8
	v_add_co_u32 v10, vcc_lo, v10, s12
	s_wait_alu 0xfffe
	v_cmp_lt_i64_e64 s27, s[24:25], s[36:37]
	s_wait_alu 0xfffd
	v_add_co_ci_u32_e64 v11, null, s13, v11, vcc_lo
	v_add_co_u32 v12, vcc_lo, v12, s4
	s_wait_alu 0xfffd
	v_add_co_ci_u32_e64 v13, null, s5, v13, vcc_lo
	s_and_b32 vcc_lo, exec_lo, s27
	s_wait_loadcnt_dscnt 0x101
	ds_store_2addr_b64 v33, v[39:40], v[41:42] offset1:1
	s_wait_loadcnt_dscnt 0x1
	ds_store_2addr_b64 v34, v[43:44], v[45:46] offset1:1
	s_wait_dscnt 0x0
	s_barrier_signal -1
	s_barrier_wait -1
	global_inv scope:SCOPE_SE
	ds_load_b128 v[39:42], v32
	ds_load_b128 v[43:46], v31
	ds_load_b128 v[47:50], v31 offset:256
	ds_load_b128 v[51:54], v32 offset:2048
	;; [unrolled: 1-line block ×13, first 2 shown]
	s_wait_dscnt 0xd
	v_mul_f64_e32 v[99:100], v[41:42], v[45:46]
	v_mul_f64_e32 v[101:102], v[39:40], v[45:46]
	s_wait_dscnt 0xc
	v_mul_f64_e32 v[103:104], v[41:42], v[49:50]
	v_mul_f64_e32 v[105:106], v[39:40], v[49:50]
	;; [unrolled: 3-line block ×3, first 2 shown]
	v_mul_f64_e32 v[109:110], v[53:54], v[49:50]
	v_mul_f64_e32 v[49:50], v[51:52], v[49:50]
	s_wait_dscnt 0x9
	v_mul_f64_e32 v[111:112], v[57:58], v[61:62]
	v_mul_f64_e32 v[113:114], v[55:56], v[61:62]
	s_wait_dscnt 0x7
	v_mul_f64_e32 v[115:116], v[57:58], v[69:70]
	v_mul_f64_e32 v[117:118], v[55:56], v[69:70]
	;; [unrolled: 1-line block ×6, first 2 shown]
	s_wait_dscnt 0x3
	v_mul_f64_e32 v[125:126], v[71:72], v[85:86]
	s_wait_dscnt 0x1
	v_mul_f64_e32 v[127:128], v[93:94], v[81:82]
	v_mul_f64_e32 v[129:130], v[93:94], v[85:86]
	v_fma_f64 v[99:100], v[39:40], v[43:44], -v[99:100]
	v_fma_f64 v[101:102], v[41:42], v[43:44], v[101:102]
	v_fma_f64 v[103:104], v[39:40], v[47:48], -v[103:104]
	v_fma_f64 v[105:106], v[41:42], v[47:48], v[105:106]
	;; [unrolled: 2-line block ×4, first 2 shown]
	v_mul_f64_e32 v[49:50], v[73:74], v[81:82]
	v_mul_f64_e32 v[53:54], v[71:72], v[81:82]
	;; [unrolled: 1-line block ×5, first 2 shown]
	v_fma_f64 v[111:112], v[55:56], v[59:60], -v[111:112]
	v_fma_f64 v[113:114], v[57:58], v[59:60], v[113:114]
	v_fma_f64 v[55:56], v[55:56], v[67:68], -v[115:116]
	v_fma_f64 v[57:58], v[57:58], v[67:68], v[117:118]
	;; [unrolled: 2-line block ×4, first 2 shown]
	ds_load_b128 v[39:42], v31 offset:1792
	ds_load_b128 v[43:46], v32 offset:64
	v_mul_f64_e32 v[69:70], v[77:78], v[89:90]
	v_add_f64_e32 v[26:27], v[26:27], v[99:100]
	v_add_f64_e32 v[28:29], v[101:102], v[28:29]
	;; [unrolled: 1-line block ×8, first 2 shown]
	v_mul_f64_e32 v[99:100], v[75:76], v[89:90]
	s_wait_dscnt 0x1
	v_mul_f64_e32 v[101:102], v[77:78], v[41:42]
	v_mul_f64_e32 v[103:104], v[75:76], v[41:42]
	;; [unrolled: 1-line block ×6, first 2 shown]
	v_fma_f64 v[117:118], v[71:72], v[79:80], -v[49:50]
	v_fma_f64 v[119:120], v[73:74], v[79:80], v[53:54]
	v_fma_f64 v[71:72], v[71:72], v[83:84], -v[109:110]
	v_fma_f64 v[73:74], v[73:74], v[83:84], v[125:126]
	;; [unrolled: 2-line block ×4, first 2 shown]
	ds_load_b128 v[14:17], v31 offset:2048
	ds_load_b128 v[18:21], v31 offset:2304
	v_fma_f64 v[69:70], v[75:76], v[87:88], -v[69:70]
	v_add_f64_e32 v[85:86], v[26:27], v[111:112]
	v_add_f64_e32 v[91:92], v[113:114], v[28:29]
	;; [unrolled: 1-line block ×8, first 2 shown]
	ds_load_b128 v[22:25], v32 offset:2112
	ds_load_b128 v[26:29], v32 offset:80
	;; [unrolled: 1-line block ×4, first 2 shown]
	s_wait_dscnt 0x5
	v_mul_f64_e32 v[67:68], v[45:46], v[16:17]
	v_mul_f64_e32 v[93:94], v[43:44], v[16:17]
	s_wait_dscnt 0x4
	v_mul_f64_e32 v[111:112], v[45:46], v[20:21]
	v_mul_f64_e32 v[113:114], v[43:44], v[20:21]
	v_fma_f64 v[99:100], v[77:78], v[87:88], v[99:100]
	v_fma_f64 v[75:76], v[75:76], v[39:40], -v[101:102]
	v_fma_f64 v[77:78], v[77:78], v[39:40], v[103:104]
	v_fma_f64 v[101:102], v[95:96], v[87:88], -v[105:106]
	v_fma_f64 v[87:88], v[97:98], v[87:88], v[89:90]
	v_fma_f64 v[89:90], v[95:96], v[39:40], -v[107:108]
	v_fma_f64 v[95:96], v[97:98], v[39:40], v[41:42]
	s_wait_dscnt 0x3
	v_mul_f64_e32 v[115:116], v[24:25], v[16:17]
	v_mul_f64_e32 v[16:17], v[22:23], v[16:17]
	;; [unrolled: 1-line block ×4, first 2 shown]
	s_wait_dscnt 0x1
	v_mul_f64_e32 v[103:104], v[28:29], v[49:50]
	v_mul_f64_e32 v[105:106], v[26:27], v[49:50]
	v_add_f64_e32 v[85:86], v[85:86], v[117:118]
	v_add_f64_e32 v[91:92], v[119:120], v[91:92]
	;; [unrolled: 1-line block ×8, first 2 shown]
	ds_load_b128 v[39:42], v31 offset:2816
	ds_load_b128 v[55:58], v32 offset:96
	;; [unrolled: 1-line block ×4, first 2 shown]
	s_wait_dscnt 0x4
	v_mul_f64_e32 v[117:118], v[53:54], v[49:50]
	v_mul_f64_e32 v[49:50], v[51:52], v[49:50]
	v_fma_f64 v[67:68], v[43:44], v[14:15], -v[67:68]
	v_fma_f64 v[93:94], v[45:46], v[14:15], v[93:94]
	v_fma_f64 v[111:112], v[43:44], v[18:19], -v[111:112]
	v_fma_f64 v[45:46], v[45:46], v[18:19], v[113:114]
	s_wait_dscnt 0x3
	v_mul_f64_e32 v[107:108], v[28:29], v[41:42]
	v_mul_f64_e32 v[109:110], v[26:27], v[41:42]
	;; [unrolled: 1-line block ×4, first 2 shown]
	v_fma_f64 v[113:114], v[22:23], v[14:15], -v[115:116]
	v_fma_f64 v[115:116], v[24:25], v[14:15], v[16:17]
	v_fma_f64 v[121:122], v[22:23], v[18:19], -v[121:122]
	v_fma_f64 v[125:126], v[24:25], v[18:19], v[20:21]
	ds_load_b128 v[14:17], v32 offset:2144
	ds_load_b128 v[18:21], v32 offset:112
	;; [unrolled: 1-line block ×4, first 2 shown]
	v_add_f64_e32 v[69:70], v[85:86], v[69:70]
	v_add_f64_e32 v[85:86], v[99:100], v[91:92]
	;; [unrolled: 1-line block ×8, first 2 shown]
	s_wait_dscnt 0x5
	v_mul_f64_e32 v[83:84], v[57:58], v[61:62]
	v_mul_f64_e32 v[87:88], v[55:56], v[61:62]
	s_wait_dscnt 0x4
	v_mul_f64_e32 v[89:90], v[57:58], v[65:66]
	v_mul_f64_e32 v[91:92], v[55:56], v[65:66]
	;; [unrolled: 3-line block ×3, first 2 shown]
	v_mul_f64_e32 v[97:98], v[16:17], v[65:66]
	v_mul_f64_e32 v[65:66], v[14:15], v[65:66]
	v_fma_f64 v[99:100], v[26:27], v[47:48], -v[103:104]
	v_fma_f64 v[101:102], v[28:29], v[47:48], v[105:106]
	v_fma_f64 v[103:104], v[26:27], v[39:40], -v[107:108]
	v_fma_f64 v[105:106], v[28:29], v[39:40], v[109:110]
	;; [unrolled: 2-line block ×4, first 2 shown]
	ds_load_b128 v[26:29], v31 offset:3840
	s_wait_loadcnt_dscnt 0x0
	s_barrier_signal -1
	s_barrier_wait -1
	global_inv scope:SCOPE_SE
	v_add_f64_e32 v[51:52], v[69:70], v[67:68]
	v_add_f64_e32 v[53:54], v[93:94], v[85:86]
	;; [unrolled: 1-line block ×8, first 2 shown]
	v_mul_f64_e32 v[77:78], v[20:21], v[24:25]
	v_mul_f64_e32 v[79:80], v[18:19], v[24:25]
	;; [unrolled: 1-line block ×4, first 2 shown]
	v_fma_f64 v[83:84], v[55:56], v[59:60], -v[83:84]
	v_mul_f64_e32 v[81:82], v[20:21], v[28:29]
	v_mul_f64_e32 v[85:86], v[18:19], v[28:29]
	;; [unrolled: 1-line block ×4, first 2 shown]
	v_fma_f64 v[87:88], v[57:58], v[59:60], v[87:88]
	v_fma_f64 v[55:56], v[55:56], v[63:64], -v[89:90]
	v_fma_f64 v[57:58], v[57:58], v[63:64], v[91:92]
	v_fma_f64 v[89:90], v[14:15], v[59:60], -v[95:96]
	;; [unrolled: 2-line block ×3, first 2 shown]
	v_fma_f64 v[16:17], v[16:17], v[63:64], v[65:66]
	v_add_f64_e32 v[51:52], v[51:52], v[99:100]
	v_add_f64_e32 v[53:54], v[101:102], v[53:54]
	;; [unrolled: 1-line block ×8, first 2 shown]
	v_fma_f64 v[65:66], v[18:19], v[22:23], -v[77:78]
	v_fma_f64 v[67:68], v[20:21], v[22:23], v[79:80]
	v_fma_f64 v[69:70], v[41:42], v[22:23], -v[93:94]
	v_fma_f64 v[71:72], v[43:44], v[22:23], v[24:25]
	;; [unrolled: 2-line block ×4, first 2 shown]
	v_add_f64_e32 v[22:23], v[51:52], v[83:84]
	v_add_f64_e32 v[24:25], v[87:88], v[53:54]
	;; [unrolled: 1-line block ×16, first 2 shown]
	s_wait_alu 0xfffe
	s_cbranch_vccnz .LBB274_5
	s_branch .LBB274_7
.LBB274_6:                              ;   in Loop: Header=BB274_3 Depth=1
	v_mov_b32_e32 v26, 0
	v_mov_b32_e32 v22, 0
	;; [unrolled: 1-line block ×3, first 2 shown]
	v_dual_mov_b32 v14, 0 :: v_dual_mov_b32 v27, 0
	v_dual_mov_b32 v28, 0 :: v_dual_mov_b32 v23, 0
	;; [unrolled: 1-line block ×5, first 2 shown]
	v_mov_b32_e32 v25, 0
	v_mov_b32_e32 v21, 0
	;; [unrolled: 1-line block ×3, first 2 shown]
.LBB274_7:                              ;   in Loop: Header=BB274_3 Depth=1
	s_wait_loadcnt 0x0
	v_add_co_u32 v12, vcc_lo, v8, s18
	s_wait_alu 0xfffd
	v_add_co_ci_u32_e64 v13, null, s19, v9, vcc_lo
	s_and_not1_b32 vcc_lo, exec_lo, s1
	s_mov_b32 s24, -1
                                        ; implicit-def: $vgpr8_vgpr9
                                        ; implicit-def: $vgpr10_vgpr11
	s_wait_alu 0xfffe
	s_cbranch_vccz .LBB274_9
; %bb.8:                                ;   in Loop: Header=BB274_3 Depth=1
	s_and_not1_b32 vcc_lo, exec_lo, s24
	s_wait_alu 0xfffe
	s_cbranch_vccnz .LBB274_2
	s_branch .LBB274_10
.LBB274_9:                              ;   in Loop: Header=BB274_3 Depth=1
	v_mul_f64_e32 v[8:9], s[40:41], v[28:29]
	v_mul_f64_e32 v[10:11], s[38:39], v[28:29]
	;; [unrolled: 1-line block ×8, first 2 shown]
	v_fma_f64 v[39:40], s[38:39], v[26:27], -v[8:9]
	v_fma_f64 v[41:42], s[40:41], v[26:27], v[10:11]
	v_fma_f64 v[8:9], s[40:41], v[14:15], v[53:54]
	v_fma_f64 v[43:44], s[38:39], v[22:23], -v[43:44]
	v_fma_f64 v[45:46], s[40:41], v[22:23], v[45:46]
	v_fma_f64 v[47:48], s[38:39], v[18:19], -v[47:48]
	v_fma_f64 v[49:50], s[40:41], v[18:19], v[49:50]
	v_fma_f64 v[51:52], s[38:39], v[14:15], -v[51:52]
	v_lshlrev_b64_e32 v[10:11], 4, v[0:1]
	s_delay_alu instid0(VALU_DEP_1) | instskip(SKIP_1) | instid1(VALU_DEP_2)
	v_add_co_u32 v55, vcc_lo, v12, v10
	s_wait_alu 0xfffd
	v_add_co_ci_u32_e64 v56, null, v13, v11, vcc_lo
	v_lshlrev_b64_e32 v[10:11], 4, v[2:3]
	s_delay_alu instid0(VALU_DEP_3) | instskip(SKIP_1) | instid1(VALU_DEP_3)
	v_add_co_u32 v53, vcc_lo, v55, s22
	s_wait_alu 0xfffd
	v_add_co_ci_u32_e64 v54, null, s23, v56, vcc_lo
	s_delay_alu instid0(VALU_DEP_2) | instskip(SKIP_1) | instid1(VALU_DEP_2)
	v_add_co_u32 v53, vcc_lo, v53, v10
	s_wait_alu 0xfffd
	v_add_co_ci_u32_e64 v54, null, v54, v11, vcc_lo
	v_add_co_u32 v55, vcc_lo, v55, v10
	s_wait_alu 0xfffd
	v_add_co_ci_u32_e64 v56, null, v56, v11, vcc_lo
	;; [unrolled: 3-line block ×3, first 2 shown]
	s_clause 0x3
	flat_store_b128 v[55:56], v[39:42]
	flat_store_b128 v[55:56], v[43:46] offset:256
	flat_store_b128 v[53:54], v[47:50]
	flat_store_b64 v[53:54], v[51:52] offset:256
	s_cbranch_execnz .LBB274_2
.LBB274_10:                             ;   in Loop: Header=BB274_3 Depth=1
	v_add_co_u32 v6, vcc_lo, v6, s14
	s_wait_alu 0xfffd
	v_add_co_ci_u32_e64 v7, null, s15, v7, vcc_lo
	v_lshlrev_b64_e32 v[10:11], 4, v[2:3]
	s_delay_alu instid0(VALU_DEP_3) | instskip(SKIP_1) | instid1(VALU_DEP_3)
	v_add_co_u32 v45, vcc_lo, v6, v4
	s_wait_alu 0xfffd
	v_add_co_ci_u32_e64 v46, null, v7, v5, vcc_lo
	v_mul_f64_e32 v[41:42], s[40:41], v[28:29]
	s_delay_alu instid0(VALU_DEP_3) | instskip(SKIP_1) | instid1(VALU_DEP_3)
	v_add_co_u32 v39, vcc_lo, v45, v10
	s_wait_alu 0xfffd
	v_add_co_ci_u32_e64 v40, null, v46, v11, vcc_lo
	v_mul_f64_e32 v[28:29], s[38:39], v[28:29]
	flat_load_b128 v[6:9], v[39:40]
	v_fma_f64 v[41:42], s[38:39], v[26:27], -v[41:42]
	v_fma_f64 v[26:27], s[40:41], v[26:27], v[28:29]
	s_wait_loadcnt_dscnt 0x0
	v_mul_f64_e32 v[43:44], s[8:9], v[8:9]
	v_mul_f64_e32 v[8:9], s[6:7], v[8:9]
	s_delay_alu instid0(VALU_DEP_2) | instskip(NEXT) | instid1(VALU_DEP_2)
	v_fma_f64 v[28:29], s[6:7], v[6:7], -v[43:44]
	v_fma_f64 v[8:9], s[8:9], v[6:7], v[8:9]
	s_delay_alu instid0(VALU_DEP_2) | instskip(NEXT) | instid1(VALU_DEP_2)
	v_add_f64_e32 v[6:7], v[41:42], v[28:29]
	v_add_f64_e32 v[8:9], v[26:27], v[8:9]
	v_lshlrev_b64_e32 v[26:27], 4, v[0:1]
	s_delay_alu instid0(VALU_DEP_1) | instskip(SKIP_1) | instid1(VALU_DEP_2)
	v_add_co_u32 v41, vcc_lo, v12, v26
	s_wait_alu 0xfffd
	v_add_co_ci_u32_e64 v42, null, v13, v27, vcc_lo
	v_mul_f64_e32 v[26:27], s[40:41], v[24:25]
	s_delay_alu instid0(VALU_DEP_3) | instskip(SKIP_1) | instid1(VALU_DEP_3)
	v_add_co_u32 v12, vcc_lo, v41, v10
	s_wait_alu 0xfffd
	v_add_co_ci_u32_e64 v13, null, v42, v11, vcc_lo
	v_mul_f64_e32 v[24:25], s[38:39], v[24:25]
	flat_store_b128 v[12:13], v[6:9]
	flat_load_b128 v[6:9], v[39:40] offset:256
	v_fma_f64 v[26:27], s[38:39], v[22:23], -v[26:27]
	v_fma_f64 v[22:23], s[40:41], v[22:23], v[24:25]
	s_wait_loadcnt_dscnt 0x0
	v_mul_f64_e32 v[28:29], s[8:9], v[8:9]
	v_mul_f64_e32 v[8:9], s[6:7], v[8:9]
	s_delay_alu instid0(VALU_DEP_2) | instskip(NEXT) | instid1(VALU_DEP_2)
	v_fma_f64 v[24:25], s[6:7], v[6:7], -v[28:29]
	v_fma_f64 v[8:9], s[8:9], v[6:7], v[8:9]
	s_delay_alu instid0(VALU_DEP_2) | instskip(NEXT) | instid1(VALU_DEP_2)
	v_add_f64_e32 v[6:7], v[26:27], v[24:25]
	v_add_f64_e32 v[8:9], v[22:23], v[8:9]
	v_add_co_u32 v22, vcc_lo, v45, s20
	s_wait_alu 0xfffd
	v_add_co_ci_u32_e64 v23, null, s21, v46, vcc_lo
	s_delay_alu instid0(VALU_DEP_2) | instskip(SKIP_1) | instid1(VALU_DEP_2)
	v_add_co_u32 v22, vcc_lo, v22, v10
	s_wait_alu 0xfffd
	v_add_co_ci_u32_e64 v23, null, v23, v11, vcc_lo
	flat_store_b128 v[12:13], v[6:9] offset:256
	flat_load_b128 v[6:9], v[22:23]
	v_mul_f64_e32 v[12:13], s[40:41], v[20:21]
	v_mul_f64_e32 v[20:21], s[38:39], v[20:21]
	s_delay_alu instid0(VALU_DEP_2) | instskip(NEXT) | instid1(VALU_DEP_2)
	v_fma_f64 v[12:13], s[38:39], v[18:19], -v[12:13]
	v_fma_f64 v[18:19], s[40:41], v[18:19], v[20:21]
	s_wait_loadcnt_dscnt 0x0
	v_mul_f64_e32 v[24:25], s[8:9], v[8:9]
	v_mul_f64_e32 v[8:9], s[6:7], v[8:9]
	s_delay_alu instid0(VALU_DEP_2) | instskip(NEXT) | instid1(VALU_DEP_2)
	v_fma_f64 v[20:21], s[6:7], v[6:7], -v[24:25]
	v_fma_f64 v[8:9], s[8:9], v[6:7], v[8:9]
	s_delay_alu instid0(VALU_DEP_2) | instskip(NEXT) | instid1(VALU_DEP_2)
	v_add_f64_e32 v[6:7], v[12:13], v[20:21]
	v_add_f64_e32 v[8:9], v[18:19], v[8:9]
	v_add_co_u32 v12, vcc_lo, v41, s22
	s_wait_alu 0xfffd
	v_add_co_ci_u32_e64 v13, null, s23, v42, vcc_lo
	s_delay_alu instid0(VALU_DEP_2) | instskip(SKIP_1) | instid1(VALU_DEP_2)
	v_add_co_u32 v12, vcc_lo, v12, v10
	s_wait_alu 0xfffd
	v_add_co_ci_u32_e64 v13, null, v13, v11, vcc_lo
	v_mul_f64_e32 v[10:11], s[40:41], v[16:17]
	v_mul_f64_e32 v[16:17], s[38:39], v[16:17]
	flat_store_b128 v[12:13], v[6:9]
	flat_load_b128 v[6:9], v[22:23] offset:256
	v_fma_f64 v[10:11], s[38:39], v[14:15], -v[10:11]
	v_fma_f64 v[14:15], s[40:41], v[14:15], v[16:17]
	s_wait_loadcnt_dscnt 0x0
	v_mul_f64_e32 v[18:19], s[8:9], v[8:9]
	v_mul_f64_e32 v[8:9], s[6:7], v[8:9]
	s_delay_alu instid0(VALU_DEP_2) | instskip(NEXT) | instid1(VALU_DEP_2)
	v_fma_f64 v[16:17], s[6:7], v[6:7], -v[18:19]
	v_fma_f64 v[6:7], s[8:9], v[6:7], v[8:9]
	s_delay_alu instid0(VALU_DEP_2) | instskip(NEXT) | instid1(VALU_DEP_2)
	v_add_f64_e32 v[16:17], v[10:11], v[16:17]
	v_add_f64_e32 v[8:9], v[14:15], v[6:7]
	v_add_co_u32 v10, vcc_lo, 0x100, v12
	s_wait_alu 0xfffd
	v_add_co_ci_u32_e64 v11, null, 0, v13, vcc_lo
	flat_store_b64 v[12:13], v[16:17] offset:256
	s_branch .LBB274_2
.LBB274_11:
	s_nop 0
	s_sendmsg sendmsg(MSG_DEALLOC_VGPRS)
	s_endpgm
	.section	.rodata,"a",@progbits
	.p2align	6, 0x0
	.amdhsa_kernel _ZN12_GLOBAL__N_127rocblas_gemm_batched_kernelI19rocblas_complex_numIdELi16ELi16ELi32ELi32ELi8ELi32ELi8ELi8ELi32ELc78ELc84EKPKS2_S5_KPS2_EEvlllT_PT11_llSA_llS8_PT12_llPT13_lli
		.amdhsa_group_segment_fixed_size 8192
		.amdhsa_private_segment_fixed_size 0
		.amdhsa_kernarg_size 156
		.amdhsa_user_sgpr_count 2
		.amdhsa_user_sgpr_dispatch_ptr 0
		.amdhsa_user_sgpr_queue_ptr 0
		.amdhsa_user_sgpr_kernarg_segment_ptr 1
		.amdhsa_user_sgpr_dispatch_id 0
		.amdhsa_user_sgpr_private_segment_size 0
		.amdhsa_wavefront_size32 1
		.amdhsa_uses_dynamic_stack 0
		.amdhsa_enable_private_segment 0
		.amdhsa_system_sgpr_workgroup_id_x 1
		.amdhsa_system_sgpr_workgroup_id_y 1
		.amdhsa_system_sgpr_workgroup_id_z 1
		.amdhsa_system_sgpr_workgroup_info 0
		.amdhsa_system_vgpr_workitem_id 1
		.amdhsa_next_free_vgpr 131
		.amdhsa_next_free_sgpr 52
		.amdhsa_reserve_vcc 1
		.amdhsa_float_round_mode_32 0
		.amdhsa_float_round_mode_16_64 0
		.amdhsa_float_denorm_mode_32 3
		.amdhsa_float_denorm_mode_16_64 3
		.amdhsa_fp16_overflow 0
		.amdhsa_workgroup_processor_mode 1
		.amdhsa_memory_ordered 1
		.amdhsa_forward_progress 1
		.amdhsa_inst_pref_size 26
		.amdhsa_round_robin_scheduling 0
		.amdhsa_exception_fp_ieee_invalid_op 0
		.amdhsa_exception_fp_denorm_src 0
		.amdhsa_exception_fp_ieee_div_zero 0
		.amdhsa_exception_fp_ieee_overflow 0
		.amdhsa_exception_fp_ieee_underflow 0
		.amdhsa_exception_fp_ieee_inexact 0
		.amdhsa_exception_int_div_zero 0
	.end_amdhsa_kernel
	.section	.text._ZN12_GLOBAL__N_127rocblas_gemm_batched_kernelI19rocblas_complex_numIdELi16ELi16ELi32ELi32ELi8ELi32ELi8ELi8ELi32ELc78ELc84EKPKS2_S5_KPS2_EEvlllT_PT11_llSA_llS8_PT12_llPT13_lli,"axG",@progbits,_ZN12_GLOBAL__N_127rocblas_gemm_batched_kernelI19rocblas_complex_numIdELi16ELi16ELi32ELi32ELi8ELi32ELi8ELi8ELi32ELc78ELc84EKPKS2_S5_KPS2_EEvlllT_PT11_llSA_llS8_PT12_llPT13_lli,comdat
.Lfunc_end274:
	.size	_ZN12_GLOBAL__N_127rocblas_gemm_batched_kernelI19rocblas_complex_numIdELi16ELi16ELi32ELi32ELi8ELi32ELi8ELi8ELi32ELc78ELc84EKPKS2_S5_KPS2_EEvlllT_PT11_llSA_llS8_PT12_llPT13_lli, .Lfunc_end274-_ZN12_GLOBAL__N_127rocblas_gemm_batched_kernelI19rocblas_complex_numIdELi16ELi16ELi32ELi32ELi8ELi32ELi8ELi8ELi32ELc78ELc84EKPKS2_S5_KPS2_EEvlllT_PT11_llSA_llS8_PT12_llPT13_lli
                                        ; -- End function
	.set _ZN12_GLOBAL__N_127rocblas_gemm_batched_kernelI19rocblas_complex_numIdELi16ELi16ELi32ELi32ELi8ELi32ELi8ELi8ELi32ELc78ELc84EKPKS2_S5_KPS2_EEvlllT_PT11_llSA_llS8_PT12_llPT13_lli.num_vgpr, 131
	.set _ZN12_GLOBAL__N_127rocblas_gemm_batched_kernelI19rocblas_complex_numIdELi16ELi16ELi32ELi32ELi8ELi32ELi8ELi8ELi32ELc78ELc84EKPKS2_S5_KPS2_EEvlllT_PT11_llSA_llS8_PT12_llPT13_lli.num_agpr, 0
	.set _ZN12_GLOBAL__N_127rocblas_gemm_batched_kernelI19rocblas_complex_numIdELi16ELi16ELi32ELi32ELi8ELi32ELi8ELi8ELi32ELc78ELc84EKPKS2_S5_KPS2_EEvlllT_PT11_llSA_llS8_PT12_llPT13_lli.numbered_sgpr, 52
	.set _ZN12_GLOBAL__N_127rocblas_gemm_batched_kernelI19rocblas_complex_numIdELi16ELi16ELi32ELi32ELi8ELi32ELi8ELi8ELi32ELc78ELc84EKPKS2_S5_KPS2_EEvlllT_PT11_llSA_llS8_PT12_llPT13_lli.num_named_barrier, 0
	.set _ZN12_GLOBAL__N_127rocblas_gemm_batched_kernelI19rocblas_complex_numIdELi16ELi16ELi32ELi32ELi8ELi32ELi8ELi8ELi32ELc78ELc84EKPKS2_S5_KPS2_EEvlllT_PT11_llSA_llS8_PT12_llPT13_lli.private_seg_size, 0
	.set _ZN12_GLOBAL__N_127rocblas_gemm_batched_kernelI19rocblas_complex_numIdELi16ELi16ELi32ELi32ELi8ELi32ELi8ELi8ELi32ELc78ELc84EKPKS2_S5_KPS2_EEvlllT_PT11_llSA_llS8_PT12_llPT13_lli.uses_vcc, 1
	.set _ZN12_GLOBAL__N_127rocblas_gemm_batched_kernelI19rocblas_complex_numIdELi16ELi16ELi32ELi32ELi8ELi32ELi8ELi8ELi32ELc78ELc84EKPKS2_S5_KPS2_EEvlllT_PT11_llSA_llS8_PT12_llPT13_lli.uses_flat_scratch, 1
	.set _ZN12_GLOBAL__N_127rocblas_gemm_batched_kernelI19rocblas_complex_numIdELi16ELi16ELi32ELi32ELi8ELi32ELi8ELi8ELi32ELc78ELc84EKPKS2_S5_KPS2_EEvlllT_PT11_llSA_llS8_PT12_llPT13_lli.has_dyn_sized_stack, 0
	.set _ZN12_GLOBAL__N_127rocblas_gemm_batched_kernelI19rocblas_complex_numIdELi16ELi16ELi32ELi32ELi8ELi32ELi8ELi8ELi32ELc78ELc84EKPKS2_S5_KPS2_EEvlllT_PT11_llSA_llS8_PT12_llPT13_lli.has_recursion, 0
	.set _ZN12_GLOBAL__N_127rocblas_gemm_batched_kernelI19rocblas_complex_numIdELi16ELi16ELi32ELi32ELi8ELi32ELi8ELi8ELi32ELc78ELc84EKPKS2_S5_KPS2_EEvlllT_PT11_llSA_llS8_PT12_llPT13_lli.has_indirect_call, 0
	.section	.AMDGPU.csdata,"",@progbits
; Kernel info:
; codeLenInByte = 3244
; TotalNumSgprs: 54
; NumVgprs: 131
; ScratchSize: 0
; MemoryBound: 0
; FloatMode: 240
; IeeeMode: 1
; LDSByteSize: 8192 bytes/workgroup (compile time only)
; SGPRBlocks: 0
; VGPRBlocks: 16
; NumSGPRsForWavesPerEU: 54
; NumVGPRsForWavesPerEU: 131
; Occupancy: 10
; WaveLimiterHint : 1
; COMPUTE_PGM_RSRC2:SCRATCH_EN: 0
; COMPUTE_PGM_RSRC2:USER_SGPR: 2
; COMPUTE_PGM_RSRC2:TRAP_HANDLER: 0
; COMPUTE_PGM_RSRC2:TGID_X_EN: 1
; COMPUTE_PGM_RSRC2:TGID_Y_EN: 1
; COMPUTE_PGM_RSRC2:TGID_Z_EN: 1
; COMPUTE_PGM_RSRC2:TIDIG_COMP_CNT: 1
	.section	.text._ZN12_GLOBAL__N_127rocblas_gemm_batched_kernelI19rocblas_complex_numIdELi16ELi16ELi32ELi32ELi8ELi32ELi8ELi8ELi32ELc84ELc84EKPKS2_S5_KPS2_EEvlllT_PT11_llSA_llS8_PT12_llPT13_lli,"axG",@progbits,_ZN12_GLOBAL__N_127rocblas_gemm_batched_kernelI19rocblas_complex_numIdELi16ELi16ELi32ELi32ELi8ELi32ELi8ELi8ELi32ELc84ELc84EKPKS2_S5_KPS2_EEvlllT_PT11_llSA_llS8_PT12_llPT13_lli,comdat
	.globl	_ZN12_GLOBAL__N_127rocblas_gemm_batched_kernelI19rocblas_complex_numIdELi16ELi16ELi32ELi32ELi8ELi32ELi8ELi8ELi32ELc84ELc84EKPKS2_S5_KPS2_EEvlllT_PT11_llSA_llS8_PT12_llPT13_lli ; -- Begin function _ZN12_GLOBAL__N_127rocblas_gemm_batched_kernelI19rocblas_complex_numIdELi16ELi16ELi32ELi32ELi8ELi32ELi8ELi8ELi32ELc84ELc84EKPKS2_S5_KPS2_EEvlllT_PT11_llSA_llS8_PT12_llPT13_lli
	.p2align	8
	.type	_ZN12_GLOBAL__N_127rocblas_gemm_batched_kernelI19rocblas_complex_numIdELi16ELi16ELi32ELi32ELi8ELi32ELi8ELi8ELi32ELc84ELc84EKPKS2_S5_KPS2_EEvlllT_PT11_llSA_llS8_PT12_llPT13_lli,@function
_ZN12_GLOBAL__N_127rocblas_gemm_batched_kernelI19rocblas_complex_numIdELi16ELi16ELi32ELi32ELi8ELi32ELi8ELi8ELi32ELc84ELc84EKPKS2_S5_KPS2_EEvlllT_PT11_llSA_llS8_PT12_llPT13_lli: ; @_ZN12_GLOBAL__N_127rocblas_gemm_batched_kernelI19rocblas_complex_numIdELi16ELi16ELi32ELi32ELi8ELi32ELi8ELi8ELi32ELc84ELc84EKPKS2_S5_KPS2_EEvlllT_PT11_llSA_llS8_PT12_llPT13_lli
; %bb.0:
	s_load_b32 s24, s[0:1], 0x98
	s_lshr_b32 s2, ttmp7, 16
	s_wait_kmcnt 0x0
	s_cmp_ge_i32 s2, s24
	s_cbranch_scc1 .LBB275_11
; %bb.1:
	s_clause 0x2
	s_load_b512 s[4:19], s[0:1], 0x50
	s_load_b512 s[36:51], s[0:1], 0x10
	s_load_b64 s[20:21], s[0:1], 0x90
	v_dual_mov_b32 v30, 0 :: v_dual_and_b32 v1, 0x3ff, v0
	v_bfe_u32 v2, v0, 10, 10
	s_mov_b32 s22, ttmp9
	s_ashr_i32 s23, ttmp9, 31
	s_lshl_b32 s25, ttmp7, 5
	s_lshl_b64 s[0:1], s[22:23], 5
	v_lshl_add_u32 v4, v2, 4, v1
	s_and_b32 s22, s25, 0x1fffe0
	v_lshl_add_u32 v32, v2, 7, 0x1000
	v_add_nc_u32_e32 v13, s22, v2
	v_and_b32_e32 v10, 7, v0
	v_lshrrev_b32_e32 v9, 3, v4
	v_and_b32_e32 v11, 31, v4
	v_lshrrev_b32_e32 v14, 5, v4
	v_lshlrev_b32_e32 v31, 4, v1
	v_lshlrev_b32_e32 v8, 4, v10
	v_add_co_u32 v2, s22, v9, s22
	s_wait_kmcnt 0x0
	v_cmp_eq_f64_e64 s23, s[6:7], 0
	v_cmp_eq_f64_e64 s25, s[8:9], 0
	s_wait_alu 0xf1ff
	v_add_co_ci_u32_e64 v3, null, 0, 0, s22
	v_mad_co_u64_u32 v[6:7], null, v13, s12, 0
	v_or_b32_e32 v12, s0, v11
	s_delay_alu instid0(VALU_DEP_3) | instskip(SKIP_2) | instid1(VALU_DEP_4)
	v_mad_co_u64_u32 v[4:5], null, s50, v10, v[2:3]
	v_lshlrev_b32_e32 v15, 4, v11
	v_mad_co_u64_u32 v[2:3], null, v13, s18, 0
	v_mul_lo_u32 v17, s45, v12
	v_add_co_u32 v0, s22, s0, v1
	v_mad_co_u64_u32 v[10:11], null, s51, v10, v[5:6]
	s_mul_i32 s0, s44, s1
	v_add_co_ci_u32_e64 v1, null, s1, 0, s22
	s_lshl_b64 s[4:5], s[4:5], 4
	v_lshl_or_b32 v33, v14, 9, v15
	s_mov_b32 s3, 0
	v_mov_b32_e32 v5, v10
	v_lshl_or_b32 v16, v9, 7, v8
	v_mad_co_u64_u32 v[8:9], null, s44, v12, 0
	v_mad_co_u64_u32 v[11:12], null, v13, s19, v[3:4]
	v_lshlrev_b32_e32 v10, 4, v14
	v_lshlrev_b64_e32 v[4:5], 4, v[4:5]
	s_lshl_b64 s[14:15], s[14:15], 4
	s_wait_alu 0xfffe
	s_delay_alu instid0(VALU_DEP_4) | instskip(SKIP_3) | instid1(VALU_DEP_4)
	v_add3_u32 v9, v9, s0, v17
	v_mad_co_u64_u32 v[12:13], null, v13, s13, v[7:8]
	v_cmp_gt_i64_e64 s0, s[36:37], 0
	v_add_nc_u32_e32 v34, 0x1000, v16
	v_lshlrev_b64_e32 v[8:9], 4, v[8:9]
	s_and_b32 s1, s23, s25
	s_lshl_b64 s[22:23], s[18:19], 4
	s_lshl_b64 s[18:19], s[12:13], 4
	;; [unrolled: 1-line block ×3, first 2 shown]
	v_mov_b32_e32 v7, v12
	s_wait_alu 0xfffe
	v_add_co_u32 v8, vcc_lo, v8, s12
	s_delay_alu instid0(VALU_DEP_1) | instskip(SKIP_1) | instid1(VALU_DEP_3)
	v_add_co_ci_u32_e64 v9, null, s13, v9, vcc_lo
	v_mov_b32_e32 v3, v11
	v_add_co_u32 v35, vcc_lo, v8, v10
	v_cndmask_b32_e64 v8, 0, 1, s0
	s_wait_alu 0xfffd
	v_add_co_ci_u32_e64 v36, null, 0, v9, vcc_lo
	v_add_co_u32 v37, vcc_lo, s4, v4
	s_wait_alu 0xfffd
	v_add_co_ci_u32_e64 v38, null, s5, v5, vcc_lo
	v_lshlrev_b64_e32 v[4:5], 4, v[6:7]
	v_cmp_ne_u32_e64 s0, 1, v8
	s_lshl_b64 s[4:5], s[50:51], 7
	s_lshl_b64 s[12:13], s[20:21], 4
	;; [unrolled: 1-line block ×4, first 2 shown]
	s_branch .LBB275_3
.LBB275_2:                              ;   in Loop: Header=BB275_3 Depth=1
	s_add_co_i32 s2, s2, 0x10000
	flat_store_b64 v[10:11], v[8:9] offset:8
	s_cmp_lt_i32 s2, s24
	s_cbranch_scc0 .LBB275_11
.LBB275_3:                              ; =>This Loop Header: Depth=1
                                        ;     Child Loop BB275_5 Depth 2
	s_lshl_b64 s[22:23], s[2:3], 3
	s_and_b32 vcc_lo, exec_lo, s0
	s_wait_alu 0xfffe
	s_add_nc_u64 s[26:27], s[10:11], s[22:23]
	s_add_nc_u64 s[28:29], s[16:17], s[22:23]
	s_clause 0x1
	global_load_b64 v[6:7], v30, s[26:27]
	global_load_b64 v[8:9], v30, s[28:29]
	s_cbranch_vccnz .LBB275_6
; %bb.4:                                ;   in Loop: Header=BB275_3 Depth=1
	s_add_nc_u64 s[26:27], s[42:43], s[22:23]
	s_add_nc_u64 s[22:23], s[48:49], s[22:23]
	s_clause 0x1
	global_load_b64 v[10:11], v30, s[26:27]
	global_load_b64 v[12:13], v30, s[22:23]
	v_mov_b32_e32 v16, 0
	v_mov_b32_e32 v20, 0
	;; [unrolled: 1-line block ×3, first 2 shown]
	v_dual_mov_b32 v28, 0 :: v_dual_mov_b32 v17, 0
	v_dual_mov_b32 v14, 0 :: v_dual_mov_b32 v21, 0
	;; [unrolled: 1-line block ×5, first 2 shown]
	v_mov_b32_e32 v19, 0
	v_mov_b32_e32 v23, 0
	v_mov_b32_e32 v27, 0
	s_mov_b64 s[22:23], 0
	s_wait_loadcnt 0x1
	v_add_co_u32 v10, vcc_lo, v10, v35
	s_wait_alu 0xfffd
	v_add_co_ci_u32_e64 v11, null, v11, v36, vcc_lo
	s_wait_loadcnt 0x0
	v_add_co_u32 v12, vcc_lo, v12, v37
	s_wait_alu 0xfffd
	v_add_co_ci_u32_e64 v13, null, v13, v38, vcc_lo
.LBB275_5:                              ;   Parent Loop BB275_3 Depth=1
                                        ; =>  This Inner Loop Header: Depth=2
	flat_load_b128 v[39:42], v[10:11]
	flat_load_b128 v[43:46], v[12:13]
	s_wait_alu 0xfffe
	s_add_nc_u64 s[22:23], s[22:23], 8
	v_add_co_u32 v10, vcc_lo, 0x80, v10
	s_wait_alu 0xfffe
	v_cmp_lt_i64_e64 s25, s[22:23], s[36:37]
	s_wait_alu 0xfffd
	v_add_co_ci_u32_e64 v11, null, 0, v11, vcc_lo
	v_add_co_u32 v12, vcc_lo, v12, s4
	s_wait_alu 0xfffd
	v_add_co_ci_u32_e64 v13, null, s5, v13, vcc_lo
	s_and_b32 vcc_lo, exec_lo, s25
	s_wait_loadcnt_dscnt 0x101
	ds_store_2addr_b64 v33, v[39:40], v[41:42] offset1:1
	s_wait_loadcnt_dscnt 0x1
	ds_store_2addr_b64 v34, v[43:44], v[45:46] offset1:1
	s_wait_dscnt 0x0
	s_barrier_signal -1
	s_barrier_wait -1
	global_inv scope:SCOPE_SE
	ds_load_b128 v[39:42], v32
	ds_load_b128 v[43:46], v31
	ds_load_b128 v[47:50], v31 offset:256
	ds_load_b128 v[51:54], v32 offset:2048
	;; [unrolled: 1-line block ×13, first 2 shown]
	s_wait_dscnt 0xd
	v_mul_f64_e32 v[99:100], v[41:42], v[45:46]
	v_mul_f64_e32 v[101:102], v[39:40], v[45:46]
	s_wait_dscnt 0xc
	v_mul_f64_e32 v[103:104], v[41:42], v[49:50]
	v_mul_f64_e32 v[105:106], v[39:40], v[49:50]
	;; [unrolled: 3-line block ×3, first 2 shown]
	v_mul_f64_e32 v[109:110], v[53:54], v[49:50]
	v_mul_f64_e32 v[49:50], v[51:52], v[49:50]
	s_wait_dscnt 0x9
	v_mul_f64_e32 v[111:112], v[57:58], v[61:62]
	v_mul_f64_e32 v[113:114], v[55:56], v[61:62]
	s_wait_dscnt 0x7
	v_mul_f64_e32 v[115:116], v[57:58], v[69:70]
	v_mul_f64_e32 v[117:118], v[55:56], v[69:70]
	;; [unrolled: 1-line block ×6, first 2 shown]
	s_wait_dscnt 0x3
	v_mul_f64_e32 v[125:126], v[71:72], v[85:86]
	s_wait_dscnt 0x1
	v_mul_f64_e32 v[127:128], v[93:94], v[81:82]
	v_mul_f64_e32 v[129:130], v[93:94], v[85:86]
	v_fma_f64 v[99:100], v[39:40], v[43:44], -v[99:100]
	v_fma_f64 v[101:102], v[41:42], v[43:44], v[101:102]
	v_fma_f64 v[103:104], v[39:40], v[47:48], -v[103:104]
	v_fma_f64 v[105:106], v[41:42], v[47:48], v[105:106]
	;; [unrolled: 2-line block ×4, first 2 shown]
	v_mul_f64_e32 v[49:50], v[73:74], v[81:82]
	v_mul_f64_e32 v[53:54], v[71:72], v[81:82]
	;; [unrolled: 1-line block ×5, first 2 shown]
	v_fma_f64 v[111:112], v[55:56], v[59:60], -v[111:112]
	v_fma_f64 v[113:114], v[57:58], v[59:60], v[113:114]
	v_fma_f64 v[55:56], v[55:56], v[67:68], -v[115:116]
	v_fma_f64 v[57:58], v[57:58], v[67:68], v[117:118]
	;; [unrolled: 2-line block ×4, first 2 shown]
	ds_load_b128 v[39:42], v31 offset:1792
	ds_load_b128 v[43:46], v32 offset:64
	v_mul_f64_e32 v[69:70], v[77:78], v[89:90]
	v_add_f64_e32 v[26:27], v[26:27], v[99:100]
	v_add_f64_e32 v[28:29], v[101:102], v[28:29]
	;; [unrolled: 1-line block ×8, first 2 shown]
	v_mul_f64_e32 v[99:100], v[75:76], v[89:90]
	s_wait_dscnt 0x1
	v_mul_f64_e32 v[101:102], v[77:78], v[41:42]
	v_mul_f64_e32 v[103:104], v[75:76], v[41:42]
	;; [unrolled: 1-line block ×6, first 2 shown]
	v_fma_f64 v[117:118], v[71:72], v[79:80], -v[49:50]
	v_fma_f64 v[119:120], v[73:74], v[79:80], v[53:54]
	v_fma_f64 v[71:72], v[71:72], v[83:84], -v[109:110]
	v_fma_f64 v[73:74], v[73:74], v[83:84], v[125:126]
	v_fma_f64 v[109:110], v[91:92], v[79:80], -v[127:128]
	v_fma_f64 v[79:80], v[93:94], v[79:80], v[81:82]
	v_fma_f64 v[81:82], v[91:92], v[83:84], -v[129:130]
	v_fma_f64 v[83:84], v[93:94], v[83:84], v[85:86]
	ds_load_b128 v[14:17], v31 offset:2048
	ds_load_b128 v[18:21], v31 offset:2304
	v_fma_f64 v[69:70], v[75:76], v[87:88], -v[69:70]
	v_add_f64_e32 v[85:86], v[26:27], v[111:112]
	v_add_f64_e32 v[91:92], v[113:114], v[28:29]
	;; [unrolled: 1-line block ×8, first 2 shown]
	ds_load_b128 v[22:25], v32 offset:2112
	ds_load_b128 v[26:29], v32 offset:80
	ds_load_b128 v[47:50], v31 offset:2560
	ds_load_b128 v[51:54], v32 offset:2128
	s_wait_dscnt 0x5
	v_mul_f64_e32 v[67:68], v[45:46], v[16:17]
	v_mul_f64_e32 v[93:94], v[43:44], v[16:17]
	s_wait_dscnt 0x4
	v_mul_f64_e32 v[111:112], v[45:46], v[20:21]
	v_mul_f64_e32 v[113:114], v[43:44], v[20:21]
	v_fma_f64 v[99:100], v[77:78], v[87:88], v[99:100]
	v_fma_f64 v[75:76], v[75:76], v[39:40], -v[101:102]
	v_fma_f64 v[77:78], v[77:78], v[39:40], v[103:104]
	v_fma_f64 v[101:102], v[95:96], v[87:88], -v[105:106]
	;; [unrolled: 2-line block ×3, first 2 shown]
	v_fma_f64 v[95:96], v[97:98], v[39:40], v[41:42]
	s_wait_dscnt 0x3
	v_mul_f64_e32 v[115:116], v[24:25], v[16:17]
	v_mul_f64_e32 v[16:17], v[22:23], v[16:17]
	;; [unrolled: 1-line block ×4, first 2 shown]
	s_wait_dscnt 0x1
	v_mul_f64_e32 v[103:104], v[28:29], v[49:50]
	v_mul_f64_e32 v[105:106], v[26:27], v[49:50]
	v_add_f64_e32 v[85:86], v[85:86], v[117:118]
	v_add_f64_e32 v[91:92], v[119:120], v[91:92]
	;; [unrolled: 1-line block ×8, first 2 shown]
	ds_load_b128 v[39:42], v31 offset:2816
	ds_load_b128 v[55:58], v32 offset:96
	;; [unrolled: 1-line block ×4, first 2 shown]
	s_wait_dscnt 0x4
	v_mul_f64_e32 v[117:118], v[53:54], v[49:50]
	v_mul_f64_e32 v[49:50], v[51:52], v[49:50]
	v_fma_f64 v[67:68], v[43:44], v[14:15], -v[67:68]
	v_fma_f64 v[93:94], v[45:46], v[14:15], v[93:94]
	v_fma_f64 v[111:112], v[43:44], v[18:19], -v[111:112]
	v_fma_f64 v[45:46], v[45:46], v[18:19], v[113:114]
	s_wait_dscnt 0x3
	v_mul_f64_e32 v[107:108], v[28:29], v[41:42]
	v_mul_f64_e32 v[109:110], v[26:27], v[41:42]
	;; [unrolled: 1-line block ×4, first 2 shown]
	v_fma_f64 v[113:114], v[22:23], v[14:15], -v[115:116]
	v_fma_f64 v[115:116], v[24:25], v[14:15], v[16:17]
	v_fma_f64 v[121:122], v[22:23], v[18:19], -v[121:122]
	v_fma_f64 v[125:126], v[24:25], v[18:19], v[20:21]
	ds_load_b128 v[14:17], v32 offset:2144
	ds_load_b128 v[18:21], v32 offset:112
	;; [unrolled: 1-line block ×4, first 2 shown]
	v_add_f64_e32 v[69:70], v[85:86], v[69:70]
	v_add_f64_e32 v[85:86], v[99:100], v[91:92]
	;; [unrolled: 1-line block ×8, first 2 shown]
	s_wait_dscnt 0x5
	v_mul_f64_e32 v[83:84], v[57:58], v[61:62]
	v_mul_f64_e32 v[87:88], v[55:56], v[61:62]
	s_wait_dscnt 0x4
	v_mul_f64_e32 v[89:90], v[57:58], v[65:66]
	v_mul_f64_e32 v[91:92], v[55:56], v[65:66]
	;; [unrolled: 3-line block ×3, first 2 shown]
	v_mul_f64_e32 v[97:98], v[16:17], v[65:66]
	v_mul_f64_e32 v[65:66], v[14:15], v[65:66]
	v_fma_f64 v[99:100], v[26:27], v[47:48], -v[103:104]
	v_fma_f64 v[101:102], v[28:29], v[47:48], v[105:106]
	v_fma_f64 v[103:104], v[26:27], v[39:40], -v[107:108]
	v_fma_f64 v[105:106], v[28:29], v[39:40], v[109:110]
	;; [unrolled: 2-line block ×4, first 2 shown]
	ds_load_b128 v[26:29], v31 offset:3840
	s_wait_loadcnt_dscnt 0x0
	s_barrier_signal -1
	s_barrier_wait -1
	global_inv scope:SCOPE_SE
	v_add_f64_e32 v[51:52], v[69:70], v[67:68]
	v_add_f64_e32 v[53:54], v[93:94], v[85:86]
	;; [unrolled: 1-line block ×8, first 2 shown]
	v_mul_f64_e32 v[77:78], v[20:21], v[24:25]
	v_mul_f64_e32 v[79:80], v[18:19], v[24:25]
	v_mul_f64_e32 v[93:94], v[43:44], v[24:25]
	v_mul_f64_e32 v[24:25], v[41:42], v[24:25]
	v_fma_f64 v[83:84], v[55:56], v[59:60], -v[83:84]
	v_mul_f64_e32 v[81:82], v[20:21], v[28:29]
	v_mul_f64_e32 v[85:86], v[18:19], v[28:29]
	;; [unrolled: 1-line block ×4, first 2 shown]
	v_fma_f64 v[87:88], v[57:58], v[59:60], v[87:88]
	v_fma_f64 v[55:56], v[55:56], v[63:64], -v[89:90]
	v_fma_f64 v[57:58], v[57:58], v[63:64], v[91:92]
	v_fma_f64 v[89:90], v[14:15], v[59:60], -v[95:96]
	;; [unrolled: 2-line block ×3, first 2 shown]
	v_fma_f64 v[16:17], v[16:17], v[63:64], v[65:66]
	v_add_f64_e32 v[51:52], v[51:52], v[99:100]
	v_add_f64_e32 v[53:54], v[101:102], v[53:54]
	;; [unrolled: 1-line block ×8, first 2 shown]
	v_fma_f64 v[65:66], v[18:19], v[22:23], -v[77:78]
	v_fma_f64 v[67:68], v[20:21], v[22:23], v[79:80]
	v_fma_f64 v[69:70], v[41:42], v[22:23], -v[93:94]
	v_fma_f64 v[71:72], v[43:44], v[22:23], v[24:25]
	;; [unrolled: 2-line block ×4, first 2 shown]
	v_add_f64_e32 v[22:23], v[51:52], v[83:84]
	v_add_f64_e32 v[24:25], v[87:88], v[53:54]
	;; [unrolled: 1-line block ×16, first 2 shown]
	s_wait_alu 0xfffe
	s_cbranch_vccnz .LBB275_5
	s_branch .LBB275_7
.LBB275_6:                              ;   in Loop: Header=BB275_3 Depth=1
	v_mov_b32_e32 v26, 0
	v_mov_b32_e32 v22, 0
	;; [unrolled: 1-line block ×3, first 2 shown]
	v_dual_mov_b32 v14, 0 :: v_dual_mov_b32 v27, 0
	v_dual_mov_b32 v28, 0 :: v_dual_mov_b32 v23, 0
	;; [unrolled: 1-line block ×5, first 2 shown]
	v_mov_b32_e32 v25, 0
	v_mov_b32_e32 v21, 0
	;; [unrolled: 1-line block ×3, first 2 shown]
.LBB275_7:                              ;   in Loop: Header=BB275_3 Depth=1
	s_wait_loadcnt 0x0
	v_add_co_u32 v12, vcc_lo, v8, s12
	s_wait_alu 0xfffd
	v_add_co_ci_u32_e64 v13, null, s13, v9, vcc_lo
	s_and_not1_b32 vcc_lo, exec_lo, s1
	s_mov_b32 s22, -1
                                        ; implicit-def: $vgpr8_vgpr9
                                        ; implicit-def: $vgpr10_vgpr11
	s_wait_alu 0xfffe
	s_cbranch_vccz .LBB275_9
; %bb.8:                                ;   in Loop: Header=BB275_3 Depth=1
	s_and_not1_b32 vcc_lo, exec_lo, s22
	s_wait_alu 0xfffe
	s_cbranch_vccnz .LBB275_2
	s_branch .LBB275_10
.LBB275_9:                              ;   in Loop: Header=BB275_3 Depth=1
	v_mul_f64_e32 v[8:9], s[40:41], v[28:29]
	v_mul_f64_e32 v[10:11], s[38:39], v[28:29]
	;; [unrolled: 1-line block ×8, first 2 shown]
	v_fma_f64 v[39:40], s[38:39], v[26:27], -v[8:9]
	v_fma_f64 v[41:42], s[40:41], v[26:27], v[10:11]
	v_fma_f64 v[8:9], s[40:41], v[14:15], v[53:54]
	v_fma_f64 v[43:44], s[38:39], v[22:23], -v[43:44]
	v_fma_f64 v[45:46], s[40:41], v[22:23], v[45:46]
	v_fma_f64 v[47:48], s[38:39], v[18:19], -v[47:48]
	;; [unrolled: 2-line block ×3, first 2 shown]
	v_lshlrev_b64_e32 v[10:11], 4, v[2:3]
	s_delay_alu instid0(VALU_DEP_1) | instskip(SKIP_1) | instid1(VALU_DEP_2)
	v_add_co_u32 v55, vcc_lo, v12, v10
	s_wait_alu 0xfffd
	v_add_co_ci_u32_e64 v56, null, v13, v11, vcc_lo
	v_lshlrev_b64_e32 v[10:11], 4, v[0:1]
	s_delay_alu instid0(VALU_DEP_3) | instskip(SKIP_1) | instid1(VALU_DEP_3)
	v_add_co_u32 v53, vcc_lo, v55, s20
	s_wait_alu 0xfffd
	v_add_co_ci_u32_e64 v54, null, s21, v56, vcc_lo
	s_delay_alu instid0(VALU_DEP_2) | instskip(SKIP_1) | instid1(VALU_DEP_2)
	v_add_co_u32 v53, vcc_lo, v53, v10
	s_wait_alu 0xfffd
	v_add_co_ci_u32_e64 v54, null, v54, v11, vcc_lo
	v_add_co_u32 v55, vcc_lo, v55, v10
	s_wait_alu 0xfffd
	v_add_co_ci_u32_e64 v56, null, v56, v11, vcc_lo
	;; [unrolled: 3-line block ×3, first 2 shown]
	s_clause 0x3
	flat_store_b128 v[55:56], v[39:42]
	flat_store_b128 v[55:56], v[43:46] offset:256
	flat_store_b128 v[53:54], v[47:50]
	flat_store_b64 v[53:54], v[51:52] offset:256
	s_cbranch_execnz .LBB275_2
.LBB275_10:                             ;   in Loop: Header=BB275_3 Depth=1
	v_add_co_u32 v6, vcc_lo, v6, s14
	s_wait_alu 0xfffd
	v_add_co_ci_u32_e64 v7, null, s15, v7, vcc_lo
	v_lshlrev_b64_e32 v[10:11], 4, v[0:1]
	s_delay_alu instid0(VALU_DEP_3) | instskip(SKIP_1) | instid1(VALU_DEP_3)
	v_add_co_u32 v45, vcc_lo, v6, v4
	s_wait_alu 0xfffd
	v_add_co_ci_u32_e64 v46, null, v7, v5, vcc_lo
	v_mul_f64_e32 v[41:42], s[40:41], v[28:29]
	s_delay_alu instid0(VALU_DEP_3) | instskip(SKIP_1) | instid1(VALU_DEP_3)
	v_add_co_u32 v39, vcc_lo, v45, v10
	s_wait_alu 0xfffd
	v_add_co_ci_u32_e64 v40, null, v46, v11, vcc_lo
	v_mul_f64_e32 v[28:29], s[38:39], v[28:29]
	flat_load_b128 v[6:9], v[39:40]
	v_fma_f64 v[41:42], s[38:39], v[26:27], -v[41:42]
	v_fma_f64 v[26:27], s[40:41], v[26:27], v[28:29]
	s_wait_loadcnt_dscnt 0x0
	v_mul_f64_e32 v[43:44], s[8:9], v[8:9]
	v_mul_f64_e32 v[8:9], s[6:7], v[8:9]
	s_delay_alu instid0(VALU_DEP_2) | instskip(NEXT) | instid1(VALU_DEP_2)
	v_fma_f64 v[28:29], s[6:7], v[6:7], -v[43:44]
	v_fma_f64 v[8:9], s[8:9], v[6:7], v[8:9]
	s_delay_alu instid0(VALU_DEP_2) | instskip(NEXT) | instid1(VALU_DEP_2)
	v_add_f64_e32 v[6:7], v[41:42], v[28:29]
	v_add_f64_e32 v[8:9], v[26:27], v[8:9]
	v_lshlrev_b64_e32 v[26:27], 4, v[2:3]
	s_delay_alu instid0(VALU_DEP_1) | instskip(SKIP_1) | instid1(VALU_DEP_2)
	v_add_co_u32 v41, vcc_lo, v12, v26
	s_wait_alu 0xfffd
	v_add_co_ci_u32_e64 v42, null, v13, v27, vcc_lo
	v_mul_f64_e32 v[26:27], s[40:41], v[24:25]
	s_delay_alu instid0(VALU_DEP_3) | instskip(SKIP_1) | instid1(VALU_DEP_3)
	v_add_co_u32 v12, vcc_lo, v41, v10
	s_wait_alu 0xfffd
	v_add_co_ci_u32_e64 v13, null, v42, v11, vcc_lo
	v_mul_f64_e32 v[24:25], s[38:39], v[24:25]
	flat_store_b128 v[12:13], v[6:9]
	flat_load_b128 v[6:9], v[39:40] offset:256
	v_fma_f64 v[26:27], s[38:39], v[22:23], -v[26:27]
	v_fma_f64 v[22:23], s[40:41], v[22:23], v[24:25]
	s_wait_loadcnt_dscnt 0x0
	v_mul_f64_e32 v[28:29], s[8:9], v[8:9]
	v_mul_f64_e32 v[8:9], s[6:7], v[8:9]
	s_delay_alu instid0(VALU_DEP_2) | instskip(NEXT) | instid1(VALU_DEP_2)
	v_fma_f64 v[24:25], s[6:7], v[6:7], -v[28:29]
	v_fma_f64 v[8:9], s[8:9], v[6:7], v[8:9]
	s_delay_alu instid0(VALU_DEP_2) | instskip(NEXT) | instid1(VALU_DEP_2)
	v_add_f64_e32 v[6:7], v[26:27], v[24:25]
	v_add_f64_e32 v[8:9], v[22:23], v[8:9]
	v_add_co_u32 v22, vcc_lo, v45, s18
	s_wait_alu 0xfffd
	v_add_co_ci_u32_e64 v23, null, s19, v46, vcc_lo
	s_delay_alu instid0(VALU_DEP_2) | instskip(SKIP_1) | instid1(VALU_DEP_2)
	v_add_co_u32 v22, vcc_lo, v22, v10
	s_wait_alu 0xfffd
	v_add_co_ci_u32_e64 v23, null, v23, v11, vcc_lo
	flat_store_b128 v[12:13], v[6:9] offset:256
	flat_load_b128 v[6:9], v[22:23]
	v_mul_f64_e32 v[12:13], s[40:41], v[20:21]
	v_mul_f64_e32 v[20:21], s[38:39], v[20:21]
	s_delay_alu instid0(VALU_DEP_2) | instskip(NEXT) | instid1(VALU_DEP_2)
	v_fma_f64 v[12:13], s[38:39], v[18:19], -v[12:13]
	v_fma_f64 v[18:19], s[40:41], v[18:19], v[20:21]
	s_wait_loadcnt_dscnt 0x0
	v_mul_f64_e32 v[24:25], s[8:9], v[8:9]
	v_mul_f64_e32 v[8:9], s[6:7], v[8:9]
	s_delay_alu instid0(VALU_DEP_2) | instskip(NEXT) | instid1(VALU_DEP_2)
	v_fma_f64 v[20:21], s[6:7], v[6:7], -v[24:25]
	v_fma_f64 v[8:9], s[8:9], v[6:7], v[8:9]
	s_delay_alu instid0(VALU_DEP_2) | instskip(NEXT) | instid1(VALU_DEP_2)
	v_add_f64_e32 v[6:7], v[12:13], v[20:21]
	v_add_f64_e32 v[8:9], v[18:19], v[8:9]
	v_add_co_u32 v12, vcc_lo, v41, s20
	s_wait_alu 0xfffd
	v_add_co_ci_u32_e64 v13, null, s21, v42, vcc_lo
	s_delay_alu instid0(VALU_DEP_2) | instskip(SKIP_1) | instid1(VALU_DEP_2)
	v_add_co_u32 v12, vcc_lo, v12, v10
	s_wait_alu 0xfffd
	v_add_co_ci_u32_e64 v13, null, v13, v11, vcc_lo
	v_mul_f64_e32 v[10:11], s[40:41], v[16:17]
	v_mul_f64_e32 v[16:17], s[38:39], v[16:17]
	flat_store_b128 v[12:13], v[6:9]
	flat_load_b128 v[6:9], v[22:23] offset:256
	v_fma_f64 v[10:11], s[38:39], v[14:15], -v[10:11]
	v_fma_f64 v[14:15], s[40:41], v[14:15], v[16:17]
	s_wait_loadcnt_dscnt 0x0
	v_mul_f64_e32 v[18:19], s[8:9], v[8:9]
	v_mul_f64_e32 v[8:9], s[6:7], v[8:9]
	s_delay_alu instid0(VALU_DEP_2) | instskip(NEXT) | instid1(VALU_DEP_2)
	v_fma_f64 v[16:17], s[6:7], v[6:7], -v[18:19]
	v_fma_f64 v[6:7], s[8:9], v[6:7], v[8:9]
	s_delay_alu instid0(VALU_DEP_2) | instskip(NEXT) | instid1(VALU_DEP_2)
	v_add_f64_e32 v[16:17], v[10:11], v[16:17]
	v_add_f64_e32 v[8:9], v[14:15], v[6:7]
	v_add_co_u32 v10, vcc_lo, 0x100, v12
	s_wait_alu 0xfffd
	v_add_co_ci_u32_e64 v11, null, 0, v13, vcc_lo
	flat_store_b64 v[12:13], v[16:17] offset:256
	s_branch .LBB275_2
.LBB275_11:
	s_nop 0
	s_sendmsg sendmsg(MSG_DEALLOC_VGPRS)
	s_endpgm
	.section	.rodata,"a",@progbits
	.p2align	6, 0x0
	.amdhsa_kernel _ZN12_GLOBAL__N_127rocblas_gemm_batched_kernelI19rocblas_complex_numIdELi16ELi16ELi32ELi32ELi8ELi32ELi8ELi8ELi32ELc84ELc84EKPKS2_S5_KPS2_EEvlllT_PT11_llSA_llS8_PT12_llPT13_lli
		.amdhsa_group_segment_fixed_size 8192
		.amdhsa_private_segment_fixed_size 0
		.amdhsa_kernarg_size 156
		.amdhsa_user_sgpr_count 2
		.amdhsa_user_sgpr_dispatch_ptr 0
		.amdhsa_user_sgpr_queue_ptr 0
		.amdhsa_user_sgpr_kernarg_segment_ptr 1
		.amdhsa_user_sgpr_dispatch_id 0
		.amdhsa_user_sgpr_private_segment_size 0
		.amdhsa_wavefront_size32 1
		.amdhsa_uses_dynamic_stack 0
		.amdhsa_enable_private_segment 0
		.amdhsa_system_sgpr_workgroup_id_x 1
		.amdhsa_system_sgpr_workgroup_id_y 1
		.amdhsa_system_sgpr_workgroup_id_z 1
		.amdhsa_system_sgpr_workgroup_info 0
		.amdhsa_system_vgpr_workitem_id 1
		.amdhsa_next_free_vgpr 131
		.amdhsa_next_free_sgpr 52
		.amdhsa_reserve_vcc 1
		.amdhsa_float_round_mode_32 0
		.amdhsa_float_round_mode_16_64 0
		.amdhsa_float_denorm_mode_32 3
		.amdhsa_float_denorm_mode_16_64 3
		.amdhsa_fp16_overflow 0
		.amdhsa_workgroup_processor_mode 1
		.amdhsa_memory_ordered 1
		.amdhsa_forward_progress 1
		.amdhsa_inst_pref_size 26
		.amdhsa_round_robin_scheduling 0
		.amdhsa_exception_fp_ieee_invalid_op 0
		.amdhsa_exception_fp_denorm_src 0
		.amdhsa_exception_fp_ieee_div_zero 0
		.amdhsa_exception_fp_ieee_overflow 0
		.amdhsa_exception_fp_ieee_underflow 0
		.amdhsa_exception_fp_ieee_inexact 0
		.amdhsa_exception_int_div_zero 0
	.end_amdhsa_kernel
	.section	.text._ZN12_GLOBAL__N_127rocblas_gemm_batched_kernelI19rocblas_complex_numIdELi16ELi16ELi32ELi32ELi8ELi32ELi8ELi8ELi32ELc84ELc84EKPKS2_S5_KPS2_EEvlllT_PT11_llSA_llS8_PT12_llPT13_lli,"axG",@progbits,_ZN12_GLOBAL__N_127rocblas_gemm_batched_kernelI19rocblas_complex_numIdELi16ELi16ELi32ELi32ELi8ELi32ELi8ELi8ELi32ELc84ELc84EKPKS2_S5_KPS2_EEvlllT_PT11_llSA_llS8_PT12_llPT13_lli,comdat
.Lfunc_end275:
	.size	_ZN12_GLOBAL__N_127rocblas_gemm_batched_kernelI19rocblas_complex_numIdELi16ELi16ELi32ELi32ELi8ELi32ELi8ELi8ELi32ELc84ELc84EKPKS2_S5_KPS2_EEvlllT_PT11_llSA_llS8_PT12_llPT13_lli, .Lfunc_end275-_ZN12_GLOBAL__N_127rocblas_gemm_batched_kernelI19rocblas_complex_numIdELi16ELi16ELi32ELi32ELi8ELi32ELi8ELi8ELi32ELc84ELc84EKPKS2_S5_KPS2_EEvlllT_PT11_llSA_llS8_PT12_llPT13_lli
                                        ; -- End function
	.set _ZN12_GLOBAL__N_127rocblas_gemm_batched_kernelI19rocblas_complex_numIdELi16ELi16ELi32ELi32ELi8ELi32ELi8ELi8ELi32ELc84ELc84EKPKS2_S5_KPS2_EEvlllT_PT11_llSA_llS8_PT12_llPT13_lli.num_vgpr, 131
	.set _ZN12_GLOBAL__N_127rocblas_gemm_batched_kernelI19rocblas_complex_numIdELi16ELi16ELi32ELi32ELi8ELi32ELi8ELi8ELi32ELc84ELc84EKPKS2_S5_KPS2_EEvlllT_PT11_llSA_llS8_PT12_llPT13_lli.num_agpr, 0
	.set _ZN12_GLOBAL__N_127rocblas_gemm_batched_kernelI19rocblas_complex_numIdELi16ELi16ELi32ELi32ELi8ELi32ELi8ELi8ELi32ELc84ELc84EKPKS2_S5_KPS2_EEvlllT_PT11_llSA_llS8_PT12_llPT13_lli.numbered_sgpr, 52
	.set _ZN12_GLOBAL__N_127rocblas_gemm_batched_kernelI19rocblas_complex_numIdELi16ELi16ELi32ELi32ELi8ELi32ELi8ELi8ELi32ELc84ELc84EKPKS2_S5_KPS2_EEvlllT_PT11_llSA_llS8_PT12_llPT13_lli.num_named_barrier, 0
	.set _ZN12_GLOBAL__N_127rocblas_gemm_batched_kernelI19rocblas_complex_numIdELi16ELi16ELi32ELi32ELi8ELi32ELi8ELi8ELi32ELc84ELc84EKPKS2_S5_KPS2_EEvlllT_PT11_llSA_llS8_PT12_llPT13_lli.private_seg_size, 0
	.set _ZN12_GLOBAL__N_127rocblas_gemm_batched_kernelI19rocblas_complex_numIdELi16ELi16ELi32ELi32ELi8ELi32ELi8ELi8ELi32ELc84ELc84EKPKS2_S5_KPS2_EEvlllT_PT11_llSA_llS8_PT12_llPT13_lli.uses_vcc, 1
	.set _ZN12_GLOBAL__N_127rocblas_gemm_batched_kernelI19rocblas_complex_numIdELi16ELi16ELi32ELi32ELi8ELi32ELi8ELi8ELi32ELc84ELc84EKPKS2_S5_KPS2_EEvlllT_PT11_llSA_llS8_PT12_llPT13_lli.uses_flat_scratch, 1
	.set _ZN12_GLOBAL__N_127rocblas_gemm_batched_kernelI19rocblas_complex_numIdELi16ELi16ELi32ELi32ELi8ELi32ELi8ELi8ELi32ELc84ELc84EKPKS2_S5_KPS2_EEvlllT_PT11_llSA_llS8_PT12_llPT13_lli.has_dyn_sized_stack, 0
	.set _ZN12_GLOBAL__N_127rocblas_gemm_batched_kernelI19rocblas_complex_numIdELi16ELi16ELi32ELi32ELi8ELi32ELi8ELi8ELi32ELc84ELc84EKPKS2_S5_KPS2_EEvlllT_PT11_llSA_llS8_PT12_llPT13_lli.has_recursion, 0
	.set _ZN12_GLOBAL__N_127rocblas_gemm_batched_kernelI19rocblas_complex_numIdELi16ELi16ELi32ELi32ELi8ELi32ELi8ELi8ELi32ELc84ELc84EKPKS2_S5_KPS2_EEvlllT_PT11_llSA_llS8_PT12_llPT13_lli.has_indirect_call, 0
	.section	.AMDGPU.csdata,"",@progbits
; Kernel info:
; codeLenInByte = 3260
; TotalNumSgprs: 54
; NumVgprs: 131
; ScratchSize: 0
; MemoryBound: 0
; FloatMode: 240
; IeeeMode: 1
; LDSByteSize: 8192 bytes/workgroup (compile time only)
; SGPRBlocks: 0
; VGPRBlocks: 16
; NumSGPRsForWavesPerEU: 54
; NumVGPRsForWavesPerEU: 131
; Occupancy: 10
; WaveLimiterHint : 1
; COMPUTE_PGM_RSRC2:SCRATCH_EN: 0
; COMPUTE_PGM_RSRC2:USER_SGPR: 2
; COMPUTE_PGM_RSRC2:TRAP_HANDLER: 0
; COMPUTE_PGM_RSRC2:TGID_X_EN: 1
; COMPUTE_PGM_RSRC2:TGID_Y_EN: 1
; COMPUTE_PGM_RSRC2:TGID_Z_EN: 1
; COMPUTE_PGM_RSRC2:TIDIG_COMP_CNT: 1
	.section	.text._ZN12_GLOBAL__N_127rocblas_gemm_batched_kernelI19rocblas_complex_numIdELi16ELi16ELi32ELi32ELi8ELi32ELi8ELi8ELi32ELc67ELc67EKPKS2_S5_KPS2_EEvlllT_PT11_llSA_llS8_PT12_llPT13_lli,"axG",@progbits,_ZN12_GLOBAL__N_127rocblas_gemm_batched_kernelI19rocblas_complex_numIdELi16ELi16ELi32ELi32ELi8ELi32ELi8ELi8ELi32ELc67ELc67EKPKS2_S5_KPS2_EEvlllT_PT11_llSA_llS8_PT12_llPT13_lli,comdat
	.globl	_ZN12_GLOBAL__N_127rocblas_gemm_batched_kernelI19rocblas_complex_numIdELi16ELi16ELi32ELi32ELi8ELi32ELi8ELi8ELi32ELc67ELc67EKPKS2_S5_KPS2_EEvlllT_PT11_llSA_llS8_PT12_llPT13_lli ; -- Begin function _ZN12_GLOBAL__N_127rocblas_gemm_batched_kernelI19rocblas_complex_numIdELi16ELi16ELi32ELi32ELi8ELi32ELi8ELi8ELi32ELc67ELc67EKPKS2_S5_KPS2_EEvlllT_PT11_llSA_llS8_PT12_llPT13_lli
	.p2align	8
	.type	_ZN12_GLOBAL__N_127rocblas_gemm_batched_kernelI19rocblas_complex_numIdELi16ELi16ELi32ELi32ELi8ELi32ELi8ELi8ELi32ELc67ELc67EKPKS2_S5_KPS2_EEvlllT_PT11_llSA_llS8_PT12_llPT13_lli,@function
_ZN12_GLOBAL__N_127rocblas_gemm_batched_kernelI19rocblas_complex_numIdELi16ELi16ELi32ELi32ELi8ELi32ELi8ELi8ELi32ELc67ELc67EKPKS2_S5_KPS2_EEvlllT_PT11_llSA_llS8_PT12_llPT13_lli: ; @_ZN12_GLOBAL__N_127rocblas_gemm_batched_kernelI19rocblas_complex_numIdELi16ELi16ELi32ELi32ELi8ELi32ELi8ELi8ELi32ELc67ELc67EKPKS2_S5_KPS2_EEvlllT_PT11_llSA_llS8_PT12_llPT13_lli
; %bb.0:
	s_load_b32 s24, s[0:1], 0x98
	s_lshr_b32 s2, ttmp7, 16
	s_wait_kmcnt 0x0
	s_cmp_ge_i32 s2, s24
	s_cbranch_scc1 .LBB276_11
; %bb.1:
	v_dual_mov_b32 v30, 0 :: v_dual_and_b32 v1, 0x3ff, v0
	v_bfe_u32 v2, v0, 10, 10
	s_clause 0x2
	s_load_b512 s[4:19], s[0:1], 0x50
	s_load_b512 s[36:51], s[0:1], 0x10
	s_load_b64 s[20:21], s[0:1], 0x90
	s_mov_b32 s22, ttmp9
	s_ashr_i32 s23, ttmp9, 31
	s_lshl_b32 s25, ttmp7, 5
	v_lshl_add_u32 v11, v2, 4, v1
	s_lshl_b64 s[0:1], s[22:23], 5
	s_and_b32 s22, s25, 0x1fffe0
	v_lshl_add_u32 v32, v2, 7, 0x1000
	v_add_nc_u32_e32 v13, s22, v2
	v_lshrrev_b32_e32 v14, 3, v11
	v_and_b32_e32 v15, 31, v11
	v_and_b32_e32 v10, 7, v0
	v_lshrrev_b32_e32 v17, 5, v11
	v_lshlrev_b32_e32 v31, 4, v1
	v_add_co_u32 v2, s22, v14, s22
	s_wait_alu 0xf1ff
	v_add_co_ci_u32_e64 v3, null, 0, 0, s22
	v_or_b32_e32 v8, s0, v15
	s_wait_kmcnt 0x0
	v_mad_co_u64_u32 v[6:7], null, v13, s12, 0
	s_delay_alu instid0(VALU_DEP_3)
	v_mad_co_u64_u32 v[4:5], null, s50, v10, v[2:3]
	v_cmp_eq_f64_e64 s23, s[6:7], 0
	v_cmp_eq_f64_e64 s25, s[8:9], 0
	v_mul_lo_u32 v16, s45, v8
	v_mad_co_u64_u32 v[8:9], null, s44, v8, 0
	v_lshlrev_b32_e32 v12, 4, v10
	v_mad_co_u64_u32 v[2:3], null, v13, s18, 0
	v_mad_co_u64_u32 v[10:11], null, s51, v10, v[5:6]
	v_add_co_u32 v0, s22, s0, v1
	s_mul_i32 s0, s44, s1
	v_add_co_ci_u32_e64 v1, null, s1, 0, s22
	s_wait_alu 0xfffe
	v_add3_u32 v9, v9, s0, v16
	v_mov_b32_e32 v5, v10
	v_lshl_or_b32 v14, v14, 7, v12
	v_mad_co_u64_u32 v[11:12], null, v13, s19, v[3:4]
	v_mad_co_u64_u32 v[12:13], null, v13, s13, v[7:8]
	v_lshlrev_b64_e32 v[7:8], 4, v[8:9]
	s_lshl_b64 s[0:1], s[46:47], 4
	v_lshlrev_b32_e32 v10, 4, v17
	v_lshlrev_b64_e32 v[4:5], 4, v[4:5]
	v_add_nc_u32_e32 v34, 0x1000, v14
	v_lshlrev_b32_e32 v15, 4, v15
	s_wait_alu 0xfffe
	v_add_co_u32 v9, vcc_lo, v7, s0
	s_delay_alu instid0(VALU_DEP_1)
	v_add_co_ci_u32_e64 v8, null, s1, v8, vcc_lo
	s_lshl_b64 s[0:1], s[4:5], 4
	v_add_co_u32 v9, vcc_lo, v9, v10
	s_wait_alu 0xfffd
	v_add_co_ci_u32_e64 v35, null, 0, v8, vcc_lo
	s_wait_alu 0xfffe
	v_add_co_u32 v4, vcc_lo, s0, v4
	v_cmp_gt_i64_e64 s0, s[36:37], 0
	v_mov_b32_e32 v7, v12
	s_wait_alu 0xfffd
	v_add_co_ci_u32_e64 v37, null, s1, v5, vcc_lo
	v_or_b32_e32 v38, 8, v4
	v_lshl_or_b32 v33, v17, 9, v15
	s_wait_alu 0xf1ff
	v_cndmask_b32_e64 v8, 0, 1, s0
	v_lshlrev_b64_e32 v[4:5], 4, v[6:7]
	v_mov_b32_e32 v3, v11
	v_or_b32_e32 v36, 8, v9
	s_and_b32 s25, s23, s25
	v_cmp_ne_u32_e64 s0, 1, v8
	s_lshl_b64 s[22:23], s[18:19], 4
	s_lshl_b64 s[18:19], s[12:13], 4
	s_mov_b32 s3, 0
	s_lshl_b64 s[4:5], s[50:51], 7
	s_lshl_b64 s[12:13], s[20:21], 4
	;; [unrolled: 1-line block ×3, first 2 shown]
	s_wait_alu 0xfffe
	s_lshl_b64 s[18:19], s[18:19], 4
	s_lshl_b64 s[20:21], s[22:23], 4
	s_branch .LBB276_3
.LBB276_2:                              ;   in Loop: Header=BB276_3 Depth=1
	s_add_co_i32 s2, s2, 0x10000
	flat_store_b64 v[10:11], v[8:9] offset:8
	s_cmp_lt_i32 s2, s24
	s_cbranch_scc0 .LBB276_11
.LBB276_3:                              ; =>This Loop Header: Depth=1
                                        ;     Child Loop BB276_5 Depth 2
	s_lshl_b64 s[22:23], s[2:3], 3
	s_and_b32 vcc_lo, exec_lo, s0
	s_wait_alu 0xfffe
	s_add_nc_u64 s[26:27], s[10:11], s[22:23]
	s_add_nc_u64 s[28:29], s[16:17], s[22:23]
	s_clause 0x1
	global_load_b64 v[6:7], v30, s[26:27]
	global_load_b64 v[8:9], v30, s[28:29]
	s_cbranch_vccnz .LBB276_6
; %bb.4:                                ;   in Loop: Header=BB276_3 Depth=1
	s_add_nc_u64 s[26:27], s[42:43], s[22:23]
	s_add_nc_u64 s[22:23], s[48:49], s[22:23]
	s_clause 0x1
	global_load_b64 v[10:11], v30, s[26:27]
	global_load_b64 v[12:13], v30, s[22:23]
	v_mov_b32_e32 v16, 0
	v_mov_b32_e32 v20, 0
	;; [unrolled: 1-line block ×3, first 2 shown]
	v_dual_mov_b32 v28, 0 :: v_dual_mov_b32 v17, 0
	v_dual_mov_b32 v14, 0 :: v_dual_mov_b32 v21, 0
	;; [unrolled: 1-line block ×5, first 2 shown]
	v_mov_b32_e32 v19, 0
	v_mov_b32_e32 v23, 0
	;; [unrolled: 1-line block ×3, first 2 shown]
	s_mov_b64 s[22:23], 0
	s_wait_loadcnt 0x1
	v_add_co_u32 v10, vcc_lo, v10, v36
	s_wait_alu 0xfffd
	v_add_co_ci_u32_e64 v11, null, v11, v35, vcc_lo
	s_wait_loadcnt 0x0
	v_add_co_u32 v12, vcc_lo, v12, v38
	s_wait_alu 0xfffd
	v_add_co_ci_u32_e64 v13, null, v13, v37, vcc_lo
.LBB276_5:                              ;   Parent Loop BB276_3 Depth=1
                                        ; =>  This Inner Loop Header: Depth=2
	flat_load_b128 v[39:42], v[10:11] offset:-8
	s_wait_alu 0xfffe
	s_add_nc_u64 s[22:23], s[22:23], 8
	v_add_co_u32 v10, vcc_lo, 0x80, v10
	s_wait_alu 0xfffe
	v_cmp_lt_i64_e64 s1, s[22:23], s[36:37]
	s_wait_alu 0xfffd
	v_add_co_ci_u32_e64 v11, null, 0, v11, vcc_lo
	s_and_b32 vcc_lo, exec_lo, s1
	s_wait_loadcnt_dscnt 0x0
	v_xor_b32_e32 v42, 0x80000000, v42
	ds_store_b128 v33, v[39:42]
	flat_load_b128 v[39:42], v[12:13] offset:-8
	v_add_co_u32 v12, s1, v12, s4
	s_wait_alu 0xf1ff
	v_add_co_ci_u32_e64 v13, null, s5, v13, s1
	s_wait_loadcnt_dscnt 0x0
	v_xor_b32_e32 v42, 0x80000000, v42
	ds_store_b128 v34, v[39:42]
	s_wait_dscnt 0x0
	s_barrier_signal -1
	s_barrier_wait -1
	global_inv scope:SCOPE_SE
	ds_load_b128 v[39:42], v32
	ds_load_b128 v[43:46], v31
	ds_load_b128 v[47:50], v31 offset:256
	ds_load_b128 v[51:54], v32 offset:2048
	;; [unrolled: 1-line block ×13, first 2 shown]
	s_wait_dscnt 0xd
	v_mul_f64_e32 v[99:100], v[41:42], v[45:46]
	v_mul_f64_e32 v[101:102], v[39:40], v[45:46]
	s_wait_dscnt 0xc
	v_mul_f64_e32 v[103:104], v[41:42], v[49:50]
	v_mul_f64_e32 v[105:106], v[39:40], v[49:50]
	;; [unrolled: 3-line block ×3, first 2 shown]
	v_mul_f64_e32 v[109:110], v[53:54], v[49:50]
	v_mul_f64_e32 v[49:50], v[51:52], v[49:50]
	s_wait_dscnt 0x9
	v_mul_f64_e32 v[111:112], v[57:58], v[61:62]
	v_mul_f64_e32 v[113:114], v[55:56], v[61:62]
	s_wait_dscnt 0x7
	v_mul_f64_e32 v[115:116], v[57:58], v[69:70]
	v_mul_f64_e32 v[117:118], v[55:56], v[69:70]
	;; [unrolled: 1-line block ×6, first 2 shown]
	s_wait_dscnt 0x3
	v_mul_f64_e32 v[125:126], v[71:72], v[85:86]
	s_wait_dscnt 0x1
	v_mul_f64_e32 v[127:128], v[93:94], v[81:82]
	v_mul_f64_e32 v[129:130], v[93:94], v[85:86]
	v_fma_f64 v[99:100], v[39:40], v[43:44], -v[99:100]
	v_fma_f64 v[101:102], v[41:42], v[43:44], v[101:102]
	v_fma_f64 v[103:104], v[39:40], v[47:48], -v[103:104]
	v_fma_f64 v[105:106], v[41:42], v[47:48], v[105:106]
	;; [unrolled: 2-line block ×4, first 2 shown]
	v_mul_f64_e32 v[49:50], v[73:74], v[81:82]
	v_mul_f64_e32 v[53:54], v[71:72], v[81:82]
	;; [unrolled: 1-line block ×5, first 2 shown]
	v_fma_f64 v[111:112], v[55:56], v[59:60], -v[111:112]
	v_fma_f64 v[113:114], v[57:58], v[59:60], v[113:114]
	v_fma_f64 v[55:56], v[55:56], v[67:68], -v[115:116]
	v_fma_f64 v[57:58], v[57:58], v[67:68], v[117:118]
	;; [unrolled: 2-line block ×4, first 2 shown]
	ds_load_b128 v[39:42], v31 offset:1792
	ds_load_b128 v[43:46], v32 offset:64
	v_mul_f64_e32 v[69:70], v[77:78], v[89:90]
	v_add_f64_e32 v[26:27], v[26:27], v[99:100]
	v_add_f64_e32 v[28:29], v[101:102], v[28:29]
	;; [unrolled: 1-line block ×8, first 2 shown]
	v_mul_f64_e32 v[99:100], v[75:76], v[89:90]
	s_wait_dscnt 0x1
	v_mul_f64_e32 v[101:102], v[77:78], v[41:42]
	v_mul_f64_e32 v[103:104], v[75:76], v[41:42]
	;; [unrolled: 1-line block ×6, first 2 shown]
	v_fma_f64 v[117:118], v[71:72], v[79:80], -v[49:50]
	v_fma_f64 v[119:120], v[73:74], v[79:80], v[53:54]
	v_fma_f64 v[71:72], v[71:72], v[83:84], -v[109:110]
	v_fma_f64 v[73:74], v[73:74], v[83:84], v[125:126]
	;; [unrolled: 2-line block ×4, first 2 shown]
	ds_load_b128 v[14:17], v31 offset:2048
	ds_load_b128 v[18:21], v31 offset:2304
	v_fma_f64 v[69:70], v[75:76], v[87:88], -v[69:70]
	v_add_f64_e32 v[85:86], v[26:27], v[111:112]
	v_add_f64_e32 v[91:92], v[113:114], v[28:29]
	;; [unrolled: 1-line block ×8, first 2 shown]
	ds_load_b128 v[22:25], v32 offset:2112
	ds_load_b128 v[26:29], v32 offset:80
	;; [unrolled: 1-line block ×4, first 2 shown]
	s_wait_dscnt 0x5
	v_mul_f64_e32 v[67:68], v[45:46], v[16:17]
	v_mul_f64_e32 v[93:94], v[43:44], v[16:17]
	s_wait_dscnt 0x4
	v_mul_f64_e32 v[111:112], v[45:46], v[20:21]
	v_mul_f64_e32 v[113:114], v[43:44], v[20:21]
	v_fma_f64 v[99:100], v[77:78], v[87:88], v[99:100]
	v_fma_f64 v[75:76], v[75:76], v[39:40], -v[101:102]
	v_fma_f64 v[77:78], v[77:78], v[39:40], v[103:104]
	v_fma_f64 v[101:102], v[95:96], v[87:88], -v[105:106]
	;; [unrolled: 2-line block ×3, first 2 shown]
	v_fma_f64 v[95:96], v[97:98], v[39:40], v[41:42]
	s_wait_dscnt 0x3
	v_mul_f64_e32 v[115:116], v[24:25], v[16:17]
	v_mul_f64_e32 v[16:17], v[22:23], v[16:17]
	;; [unrolled: 1-line block ×4, first 2 shown]
	s_wait_dscnt 0x1
	v_mul_f64_e32 v[103:104], v[28:29], v[49:50]
	v_mul_f64_e32 v[105:106], v[26:27], v[49:50]
	v_add_f64_e32 v[85:86], v[85:86], v[117:118]
	v_add_f64_e32 v[91:92], v[119:120], v[91:92]
	;; [unrolled: 1-line block ×8, first 2 shown]
	ds_load_b128 v[39:42], v31 offset:2816
	ds_load_b128 v[55:58], v32 offset:96
	;; [unrolled: 1-line block ×4, first 2 shown]
	s_wait_dscnt 0x4
	v_mul_f64_e32 v[117:118], v[53:54], v[49:50]
	v_mul_f64_e32 v[49:50], v[51:52], v[49:50]
	v_fma_f64 v[67:68], v[43:44], v[14:15], -v[67:68]
	v_fma_f64 v[93:94], v[45:46], v[14:15], v[93:94]
	v_fma_f64 v[111:112], v[43:44], v[18:19], -v[111:112]
	v_fma_f64 v[45:46], v[45:46], v[18:19], v[113:114]
	s_wait_dscnt 0x3
	v_mul_f64_e32 v[107:108], v[28:29], v[41:42]
	v_mul_f64_e32 v[109:110], v[26:27], v[41:42]
	v_mul_f64_e32 v[119:120], v[53:54], v[41:42]
	v_mul_f64_e32 v[123:124], v[51:52], v[41:42]
	v_fma_f64 v[113:114], v[22:23], v[14:15], -v[115:116]
	v_fma_f64 v[115:116], v[24:25], v[14:15], v[16:17]
	v_fma_f64 v[121:122], v[22:23], v[18:19], -v[121:122]
	v_fma_f64 v[125:126], v[24:25], v[18:19], v[20:21]
	ds_load_b128 v[14:17], v32 offset:2144
	ds_load_b128 v[18:21], v32 offset:112
	;; [unrolled: 1-line block ×4, first 2 shown]
	v_add_f64_e32 v[69:70], v[85:86], v[69:70]
	v_add_f64_e32 v[85:86], v[99:100], v[91:92]
	;; [unrolled: 1-line block ×8, first 2 shown]
	s_wait_dscnt 0x5
	v_mul_f64_e32 v[83:84], v[57:58], v[61:62]
	v_mul_f64_e32 v[87:88], v[55:56], v[61:62]
	s_wait_dscnt 0x4
	v_mul_f64_e32 v[89:90], v[57:58], v[65:66]
	v_mul_f64_e32 v[91:92], v[55:56], v[65:66]
	;; [unrolled: 3-line block ×3, first 2 shown]
	v_mul_f64_e32 v[97:98], v[16:17], v[65:66]
	v_mul_f64_e32 v[65:66], v[14:15], v[65:66]
	v_fma_f64 v[99:100], v[26:27], v[47:48], -v[103:104]
	v_fma_f64 v[101:102], v[28:29], v[47:48], v[105:106]
	v_fma_f64 v[103:104], v[26:27], v[39:40], -v[107:108]
	v_fma_f64 v[105:106], v[28:29], v[39:40], v[109:110]
	;; [unrolled: 2-line block ×4, first 2 shown]
	ds_load_b128 v[26:29], v31 offset:3840
	s_wait_loadcnt_dscnt 0x0
	s_barrier_signal -1
	s_barrier_wait -1
	global_inv scope:SCOPE_SE
	v_add_f64_e32 v[51:52], v[69:70], v[67:68]
	v_add_f64_e32 v[53:54], v[93:94], v[85:86]
	;; [unrolled: 1-line block ×8, first 2 shown]
	v_mul_f64_e32 v[77:78], v[20:21], v[24:25]
	v_mul_f64_e32 v[79:80], v[18:19], v[24:25]
	v_mul_f64_e32 v[93:94], v[43:44], v[24:25]
	v_mul_f64_e32 v[24:25], v[41:42], v[24:25]
	v_fma_f64 v[83:84], v[55:56], v[59:60], -v[83:84]
	v_mul_f64_e32 v[81:82], v[20:21], v[28:29]
	v_mul_f64_e32 v[85:86], v[18:19], v[28:29]
	;; [unrolled: 1-line block ×4, first 2 shown]
	v_fma_f64 v[87:88], v[57:58], v[59:60], v[87:88]
	v_fma_f64 v[55:56], v[55:56], v[63:64], -v[89:90]
	v_fma_f64 v[57:58], v[57:58], v[63:64], v[91:92]
	v_fma_f64 v[89:90], v[14:15], v[59:60], -v[95:96]
	;; [unrolled: 2-line block ×3, first 2 shown]
	v_fma_f64 v[16:17], v[16:17], v[63:64], v[65:66]
	v_add_f64_e32 v[51:52], v[51:52], v[99:100]
	v_add_f64_e32 v[53:54], v[101:102], v[53:54]
	;; [unrolled: 1-line block ×8, first 2 shown]
	v_fma_f64 v[65:66], v[18:19], v[22:23], -v[77:78]
	v_fma_f64 v[67:68], v[20:21], v[22:23], v[79:80]
	v_fma_f64 v[69:70], v[41:42], v[22:23], -v[93:94]
	v_fma_f64 v[71:72], v[43:44], v[22:23], v[24:25]
	;; [unrolled: 2-line block ×4, first 2 shown]
	v_add_f64_e32 v[22:23], v[51:52], v[83:84]
	v_add_f64_e32 v[24:25], v[87:88], v[53:54]
	;; [unrolled: 1-line block ×16, first 2 shown]
	s_wait_alu 0xfffe
	s_cbranch_vccnz .LBB276_5
	s_branch .LBB276_7
.LBB276_6:                              ;   in Loop: Header=BB276_3 Depth=1
	v_mov_b32_e32 v26, 0
	v_mov_b32_e32 v22, 0
	;; [unrolled: 1-line block ×3, first 2 shown]
	v_dual_mov_b32 v14, 0 :: v_dual_mov_b32 v27, 0
	v_dual_mov_b32 v28, 0 :: v_dual_mov_b32 v23, 0
	;; [unrolled: 1-line block ×5, first 2 shown]
	v_mov_b32_e32 v25, 0
	v_mov_b32_e32 v21, 0
	;; [unrolled: 1-line block ×3, first 2 shown]
.LBB276_7:                              ;   in Loop: Header=BB276_3 Depth=1
	s_wait_loadcnt 0x0
	v_add_co_u32 v12, vcc_lo, v8, s12
	s_wait_alu 0xfffd
	v_add_co_ci_u32_e64 v13, null, s13, v9, vcc_lo
	s_and_not1_b32 vcc_lo, exec_lo, s25
	s_mov_b32 s1, -1
                                        ; implicit-def: $vgpr8_vgpr9
                                        ; implicit-def: $vgpr10_vgpr11
	s_wait_alu 0xfffe
	s_cbranch_vccz .LBB276_9
; %bb.8:                                ;   in Loop: Header=BB276_3 Depth=1
	s_and_not1_b32 vcc_lo, exec_lo, s1
	s_wait_alu 0xfffe
	s_cbranch_vccnz .LBB276_2
	s_branch .LBB276_10
.LBB276_9:                              ;   in Loop: Header=BB276_3 Depth=1
	v_mul_f64_e32 v[8:9], s[40:41], v[28:29]
	v_mul_f64_e32 v[10:11], s[38:39], v[28:29]
	;; [unrolled: 1-line block ×8, first 2 shown]
	v_fma_f64 v[39:40], s[38:39], v[26:27], -v[8:9]
	v_fma_f64 v[41:42], s[40:41], v[26:27], v[10:11]
	v_fma_f64 v[8:9], s[40:41], v[14:15], v[53:54]
	v_fma_f64 v[43:44], s[38:39], v[22:23], -v[43:44]
	v_fma_f64 v[45:46], s[40:41], v[22:23], v[45:46]
	v_fma_f64 v[47:48], s[38:39], v[18:19], -v[47:48]
	;; [unrolled: 2-line block ×3, first 2 shown]
	v_lshlrev_b64_e32 v[10:11], 4, v[2:3]
	s_delay_alu instid0(VALU_DEP_1) | instskip(SKIP_1) | instid1(VALU_DEP_2)
	v_add_co_u32 v55, vcc_lo, v12, v10
	s_wait_alu 0xfffd
	v_add_co_ci_u32_e64 v56, null, v13, v11, vcc_lo
	v_lshlrev_b64_e32 v[10:11], 4, v[0:1]
	s_delay_alu instid0(VALU_DEP_3) | instskip(SKIP_1) | instid1(VALU_DEP_3)
	v_add_co_u32 v53, vcc_lo, v55, s20
	s_wait_alu 0xfffd
	v_add_co_ci_u32_e64 v54, null, s21, v56, vcc_lo
	s_delay_alu instid0(VALU_DEP_2) | instskip(SKIP_1) | instid1(VALU_DEP_2)
	v_add_co_u32 v53, vcc_lo, v53, v10
	s_wait_alu 0xfffd
	v_add_co_ci_u32_e64 v54, null, v54, v11, vcc_lo
	v_add_co_u32 v55, vcc_lo, v55, v10
	s_wait_alu 0xfffd
	v_add_co_ci_u32_e64 v56, null, v56, v11, vcc_lo
	;; [unrolled: 3-line block ×3, first 2 shown]
	s_clause 0x3
	flat_store_b128 v[55:56], v[39:42]
	flat_store_b128 v[55:56], v[43:46] offset:256
	flat_store_b128 v[53:54], v[47:50]
	flat_store_b64 v[53:54], v[51:52] offset:256
	s_cbranch_execnz .LBB276_2
.LBB276_10:                             ;   in Loop: Header=BB276_3 Depth=1
	v_add_co_u32 v6, vcc_lo, v6, s14
	s_wait_alu 0xfffd
	v_add_co_ci_u32_e64 v7, null, s15, v7, vcc_lo
	v_lshlrev_b64_e32 v[10:11], 4, v[0:1]
	s_delay_alu instid0(VALU_DEP_3) | instskip(SKIP_1) | instid1(VALU_DEP_3)
	v_add_co_u32 v45, vcc_lo, v6, v4
	s_wait_alu 0xfffd
	v_add_co_ci_u32_e64 v46, null, v7, v5, vcc_lo
	v_mul_f64_e32 v[41:42], s[40:41], v[28:29]
	s_delay_alu instid0(VALU_DEP_3) | instskip(SKIP_1) | instid1(VALU_DEP_3)
	v_add_co_u32 v39, vcc_lo, v45, v10
	s_wait_alu 0xfffd
	v_add_co_ci_u32_e64 v40, null, v46, v11, vcc_lo
	v_mul_f64_e32 v[28:29], s[38:39], v[28:29]
	flat_load_b128 v[6:9], v[39:40]
	v_fma_f64 v[41:42], s[38:39], v[26:27], -v[41:42]
	v_fma_f64 v[26:27], s[40:41], v[26:27], v[28:29]
	s_wait_loadcnt_dscnt 0x0
	v_mul_f64_e32 v[43:44], s[8:9], v[8:9]
	v_mul_f64_e32 v[8:9], s[6:7], v[8:9]
	s_delay_alu instid0(VALU_DEP_2) | instskip(NEXT) | instid1(VALU_DEP_2)
	v_fma_f64 v[28:29], s[6:7], v[6:7], -v[43:44]
	v_fma_f64 v[8:9], s[8:9], v[6:7], v[8:9]
	s_delay_alu instid0(VALU_DEP_2) | instskip(NEXT) | instid1(VALU_DEP_2)
	v_add_f64_e32 v[6:7], v[41:42], v[28:29]
	v_add_f64_e32 v[8:9], v[26:27], v[8:9]
	v_lshlrev_b64_e32 v[26:27], 4, v[2:3]
	s_delay_alu instid0(VALU_DEP_1) | instskip(SKIP_1) | instid1(VALU_DEP_2)
	v_add_co_u32 v41, vcc_lo, v12, v26
	s_wait_alu 0xfffd
	v_add_co_ci_u32_e64 v42, null, v13, v27, vcc_lo
	v_mul_f64_e32 v[26:27], s[40:41], v[24:25]
	s_delay_alu instid0(VALU_DEP_3) | instskip(SKIP_1) | instid1(VALU_DEP_3)
	v_add_co_u32 v12, vcc_lo, v41, v10
	s_wait_alu 0xfffd
	v_add_co_ci_u32_e64 v13, null, v42, v11, vcc_lo
	v_mul_f64_e32 v[24:25], s[38:39], v[24:25]
	flat_store_b128 v[12:13], v[6:9]
	flat_load_b128 v[6:9], v[39:40] offset:256
	v_fma_f64 v[26:27], s[38:39], v[22:23], -v[26:27]
	v_fma_f64 v[22:23], s[40:41], v[22:23], v[24:25]
	s_wait_loadcnt_dscnt 0x0
	v_mul_f64_e32 v[28:29], s[8:9], v[8:9]
	v_mul_f64_e32 v[8:9], s[6:7], v[8:9]
	s_delay_alu instid0(VALU_DEP_2) | instskip(NEXT) | instid1(VALU_DEP_2)
	v_fma_f64 v[24:25], s[6:7], v[6:7], -v[28:29]
	v_fma_f64 v[8:9], s[8:9], v[6:7], v[8:9]
	s_delay_alu instid0(VALU_DEP_2) | instskip(NEXT) | instid1(VALU_DEP_2)
	v_add_f64_e32 v[6:7], v[26:27], v[24:25]
	v_add_f64_e32 v[8:9], v[22:23], v[8:9]
	v_add_co_u32 v22, vcc_lo, v45, s18
	s_wait_alu 0xfffd
	v_add_co_ci_u32_e64 v23, null, s19, v46, vcc_lo
	s_delay_alu instid0(VALU_DEP_2) | instskip(SKIP_1) | instid1(VALU_DEP_2)
	v_add_co_u32 v22, vcc_lo, v22, v10
	s_wait_alu 0xfffd
	v_add_co_ci_u32_e64 v23, null, v23, v11, vcc_lo
	flat_store_b128 v[12:13], v[6:9] offset:256
	flat_load_b128 v[6:9], v[22:23]
	v_mul_f64_e32 v[12:13], s[40:41], v[20:21]
	v_mul_f64_e32 v[20:21], s[38:39], v[20:21]
	s_delay_alu instid0(VALU_DEP_2) | instskip(NEXT) | instid1(VALU_DEP_2)
	v_fma_f64 v[12:13], s[38:39], v[18:19], -v[12:13]
	v_fma_f64 v[18:19], s[40:41], v[18:19], v[20:21]
	s_wait_loadcnt_dscnt 0x0
	v_mul_f64_e32 v[24:25], s[8:9], v[8:9]
	v_mul_f64_e32 v[8:9], s[6:7], v[8:9]
	s_delay_alu instid0(VALU_DEP_2) | instskip(NEXT) | instid1(VALU_DEP_2)
	v_fma_f64 v[20:21], s[6:7], v[6:7], -v[24:25]
	v_fma_f64 v[8:9], s[8:9], v[6:7], v[8:9]
	s_delay_alu instid0(VALU_DEP_2) | instskip(NEXT) | instid1(VALU_DEP_2)
	v_add_f64_e32 v[6:7], v[12:13], v[20:21]
	v_add_f64_e32 v[8:9], v[18:19], v[8:9]
	v_add_co_u32 v12, vcc_lo, v41, s20
	s_wait_alu 0xfffd
	v_add_co_ci_u32_e64 v13, null, s21, v42, vcc_lo
	s_delay_alu instid0(VALU_DEP_2) | instskip(SKIP_1) | instid1(VALU_DEP_2)
	v_add_co_u32 v12, vcc_lo, v12, v10
	s_wait_alu 0xfffd
	v_add_co_ci_u32_e64 v13, null, v13, v11, vcc_lo
	v_mul_f64_e32 v[10:11], s[40:41], v[16:17]
	v_mul_f64_e32 v[16:17], s[38:39], v[16:17]
	flat_store_b128 v[12:13], v[6:9]
	flat_load_b128 v[6:9], v[22:23] offset:256
	v_fma_f64 v[10:11], s[38:39], v[14:15], -v[10:11]
	v_fma_f64 v[14:15], s[40:41], v[14:15], v[16:17]
	s_wait_loadcnt_dscnt 0x0
	v_mul_f64_e32 v[18:19], s[8:9], v[8:9]
	v_mul_f64_e32 v[8:9], s[6:7], v[8:9]
	s_delay_alu instid0(VALU_DEP_2) | instskip(NEXT) | instid1(VALU_DEP_2)
	v_fma_f64 v[16:17], s[6:7], v[6:7], -v[18:19]
	v_fma_f64 v[6:7], s[8:9], v[6:7], v[8:9]
	s_delay_alu instid0(VALU_DEP_2) | instskip(NEXT) | instid1(VALU_DEP_2)
	v_add_f64_e32 v[16:17], v[10:11], v[16:17]
	v_add_f64_e32 v[8:9], v[14:15], v[6:7]
	v_add_co_u32 v10, vcc_lo, 0x100, v12
	s_wait_alu 0xfffd
	v_add_co_ci_u32_e64 v11, null, 0, v13, vcc_lo
	flat_store_b64 v[12:13], v[16:17] offset:256
	s_branch .LBB276_2
.LBB276_11:
	s_nop 0
	s_sendmsg sendmsg(MSG_DEALLOC_VGPRS)
	s_endpgm
	.section	.rodata,"a",@progbits
	.p2align	6, 0x0
	.amdhsa_kernel _ZN12_GLOBAL__N_127rocblas_gemm_batched_kernelI19rocblas_complex_numIdELi16ELi16ELi32ELi32ELi8ELi32ELi8ELi8ELi32ELc67ELc67EKPKS2_S5_KPS2_EEvlllT_PT11_llSA_llS8_PT12_llPT13_lli
		.amdhsa_group_segment_fixed_size 8192
		.amdhsa_private_segment_fixed_size 0
		.amdhsa_kernarg_size 156
		.amdhsa_user_sgpr_count 2
		.amdhsa_user_sgpr_dispatch_ptr 0
		.amdhsa_user_sgpr_queue_ptr 0
		.amdhsa_user_sgpr_kernarg_segment_ptr 1
		.amdhsa_user_sgpr_dispatch_id 0
		.amdhsa_user_sgpr_private_segment_size 0
		.amdhsa_wavefront_size32 1
		.amdhsa_uses_dynamic_stack 0
		.amdhsa_enable_private_segment 0
		.amdhsa_system_sgpr_workgroup_id_x 1
		.amdhsa_system_sgpr_workgroup_id_y 1
		.amdhsa_system_sgpr_workgroup_id_z 1
		.amdhsa_system_sgpr_workgroup_info 0
		.amdhsa_system_vgpr_workitem_id 1
		.amdhsa_next_free_vgpr 131
		.amdhsa_next_free_sgpr 52
		.amdhsa_reserve_vcc 1
		.amdhsa_float_round_mode_32 0
		.amdhsa_float_round_mode_16_64 0
		.amdhsa_float_denorm_mode_32 3
		.amdhsa_float_denorm_mode_16_64 3
		.amdhsa_fp16_overflow 0
		.amdhsa_workgroup_processor_mode 1
		.amdhsa_memory_ordered 1
		.amdhsa_forward_progress 1
		.amdhsa_inst_pref_size 26
		.amdhsa_round_robin_scheduling 0
		.amdhsa_exception_fp_ieee_invalid_op 0
		.amdhsa_exception_fp_denorm_src 0
		.amdhsa_exception_fp_ieee_div_zero 0
		.amdhsa_exception_fp_ieee_overflow 0
		.amdhsa_exception_fp_ieee_underflow 0
		.amdhsa_exception_fp_ieee_inexact 0
		.amdhsa_exception_int_div_zero 0
	.end_amdhsa_kernel
	.section	.text._ZN12_GLOBAL__N_127rocblas_gemm_batched_kernelI19rocblas_complex_numIdELi16ELi16ELi32ELi32ELi8ELi32ELi8ELi8ELi32ELc67ELc67EKPKS2_S5_KPS2_EEvlllT_PT11_llSA_llS8_PT12_llPT13_lli,"axG",@progbits,_ZN12_GLOBAL__N_127rocblas_gemm_batched_kernelI19rocblas_complex_numIdELi16ELi16ELi32ELi32ELi8ELi32ELi8ELi8ELi32ELc67ELc67EKPKS2_S5_KPS2_EEvlllT_PT11_llSA_llS8_PT12_llPT13_lli,comdat
.Lfunc_end276:
	.size	_ZN12_GLOBAL__N_127rocblas_gemm_batched_kernelI19rocblas_complex_numIdELi16ELi16ELi32ELi32ELi8ELi32ELi8ELi8ELi32ELc67ELc67EKPKS2_S5_KPS2_EEvlllT_PT11_llSA_llS8_PT12_llPT13_lli, .Lfunc_end276-_ZN12_GLOBAL__N_127rocblas_gemm_batched_kernelI19rocblas_complex_numIdELi16ELi16ELi32ELi32ELi8ELi32ELi8ELi8ELi32ELc67ELc67EKPKS2_S5_KPS2_EEvlllT_PT11_llSA_llS8_PT12_llPT13_lli
                                        ; -- End function
	.set _ZN12_GLOBAL__N_127rocblas_gemm_batched_kernelI19rocblas_complex_numIdELi16ELi16ELi32ELi32ELi8ELi32ELi8ELi8ELi32ELc67ELc67EKPKS2_S5_KPS2_EEvlllT_PT11_llSA_llS8_PT12_llPT13_lli.num_vgpr, 131
	.set _ZN12_GLOBAL__N_127rocblas_gemm_batched_kernelI19rocblas_complex_numIdELi16ELi16ELi32ELi32ELi8ELi32ELi8ELi8ELi32ELc67ELc67EKPKS2_S5_KPS2_EEvlllT_PT11_llSA_llS8_PT12_llPT13_lli.num_agpr, 0
	.set _ZN12_GLOBAL__N_127rocblas_gemm_batched_kernelI19rocblas_complex_numIdELi16ELi16ELi32ELi32ELi8ELi32ELi8ELi8ELi32ELc67ELc67EKPKS2_S5_KPS2_EEvlllT_PT11_llSA_llS8_PT12_llPT13_lli.numbered_sgpr, 52
	.set _ZN12_GLOBAL__N_127rocblas_gemm_batched_kernelI19rocblas_complex_numIdELi16ELi16ELi32ELi32ELi8ELi32ELi8ELi8ELi32ELc67ELc67EKPKS2_S5_KPS2_EEvlllT_PT11_llSA_llS8_PT12_llPT13_lli.num_named_barrier, 0
	.set _ZN12_GLOBAL__N_127rocblas_gemm_batched_kernelI19rocblas_complex_numIdELi16ELi16ELi32ELi32ELi8ELi32ELi8ELi8ELi32ELc67ELc67EKPKS2_S5_KPS2_EEvlllT_PT11_llSA_llS8_PT12_llPT13_lli.private_seg_size, 0
	.set _ZN12_GLOBAL__N_127rocblas_gemm_batched_kernelI19rocblas_complex_numIdELi16ELi16ELi32ELi32ELi8ELi32ELi8ELi8ELi32ELc67ELc67EKPKS2_S5_KPS2_EEvlllT_PT11_llSA_llS8_PT12_llPT13_lli.uses_vcc, 1
	.set _ZN12_GLOBAL__N_127rocblas_gemm_batched_kernelI19rocblas_complex_numIdELi16ELi16ELi32ELi32ELi8ELi32ELi8ELi8ELi32ELc67ELc67EKPKS2_S5_KPS2_EEvlllT_PT11_llSA_llS8_PT12_llPT13_lli.uses_flat_scratch, 1
	.set _ZN12_GLOBAL__N_127rocblas_gemm_batched_kernelI19rocblas_complex_numIdELi16ELi16ELi32ELi32ELi8ELi32ELi8ELi8ELi32ELc67ELc67EKPKS2_S5_KPS2_EEvlllT_PT11_llSA_llS8_PT12_llPT13_lli.has_dyn_sized_stack, 0
	.set _ZN12_GLOBAL__N_127rocblas_gemm_batched_kernelI19rocblas_complex_numIdELi16ELi16ELi32ELi32ELi8ELi32ELi8ELi8ELi32ELc67ELc67EKPKS2_S5_KPS2_EEvlllT_PT11_llSA_llS8_PT12_llPT13_lli.has_recursion, 0
	.set _ZN12_GLOBAL__N_127rocblas_gemm_batched_kernelI19rocblas_complex_numIdELi16ELi16ELi32ELi32ELi8ELi32ELi8ELi8ELi32ELc67ELc67EKPKS2_S5_KPS2_EEvlllT_PT11_llSA_llS8_PT12_llPT13_lli.has_indirect_call, 0
	.section	.AMDGPU.csdata,"",@progbits
; Kernel info:
; codeLenInByte = 3292
; TotalNumSgprs: 54
; NumVgprs: 131
; ScratchSize: 0
; MemoryBound: 0
; FloatMode: 240
; IeeeMode: 1
; LDSByteSize: 8192 bytes/workgroup (compile time only)
; SGPRBlocks: 0
; VGPRBlocks: 16
; NumSGPRsForWavesPerEU: 54
; NumVGPRsForWavesPerEU: 131
; Occupancy: 10
; WaveLimiterHint : 1
; COMPUTE_PGM_RSRC2:SCRATCH_EN: 0
; COMPUTE_PGM_RSRC2:USER_SGPR: 2
; COMPUTE_PGM_RSRC2:TRAP_HANDLER: 0
; COMPUTE_PGM_RSRC2:TGID_X_EN: 1
; COMPUTE_PGM_RSRC2:TGID_Y_EN: 1
; COMPUTE_PGM_RSRC2:TGID_Z_EN: 1
; COMPUTE_PGM_RSRC2:TIDIG_COMP_CNT: 1
	.section	.text._ZN12_GLOBAL__N_127rocblas_gemm_batched_kernelI19rocblas_complex_numIdELi16ELi16ELi32ELi32ELi8ELi32ELi8ELi8ELi32ELc67ELc78EKPKS2_S5_KPS2_EEvlllT_PT11_llSA_llS8_PT12_llPT13_lli,"axG",@progbits,_ZN12_GLOBAL__N_127rocblas_gemm_batched_kernelI19rocblas_complex_numIdELi16ELi16ELi32ELi32ELi8ELi32ELi8ELi8ELi32ELc67ELc78EKPKS2_S5_KPS2_EEvlllT_PT11_llSA_llS8_PT12_llPT13_lli,comdat
	.globl	_ZN12_GLOBAL__N_127rocblas_gemm_batched_kernelI19rocblas_complex_numIdELi16ELi16ELi32ELi32ELi8ELi32ELi8ELi8ELi32ELc67ELc78EKPKS2_S5_KPS2_EEvlllT_PT11_llSA_llS8_PT12_llPT13_lli ; -- Begin function _ZN12_GLOBAL__N_127rocblas_gemm_batched_kernelI19rocblas_complex_numIdELi16ELi16ELi32ELi32ELi8ELi32ELi8ELi8ELi32ELc67ELc78EKPKS2_S5_KPS2_EEvlllT_PT11_llSA_llS8_PT12_llPT13_lli
	.p2align	8
	.type	_ZN12_GLOBAL__N_127rocblas_gemm_batched_kernelI19rocblas_complex_numIdELi16ELi16ELi32ELi32ELi8ELi32ELi8ELi8ELi32ELc67ELc78EKPKS2_S5_KPS2_EEvlllT_PT11_llSA_llS8_PT12_llPT13_lli,@function
_ZN12_GLOBAL__N_127rocblas_gemm_batched_kernelI19rocblas_complex_numIdELi16ELi16ELi32ELi32ELi8ELi32ELi8ELi8ELi32ELc67ELc78EKPKS2_S5_KPS2_EEvlllT_PT11_llSA_llS8_PT12_llPT13_lli: ; @_ZN12_GLOBAL__N_127rocblas_gemm_batched_kernelI19rocblas_complex_numIdELi16ELi16ELi32ELi32ELi8ELi32ELi8ELi8ELi32ELc67ELc78EKPKS2_S5_KPS2_EEvlllT_PT11_llSA_llS8_PT12_llPT13_lli
; %bb.0:
	s_load_b32 s22, s[0:1], 0x98
	s_lshr_b32 s2, ttmp7, 16
	s_wait_kmcnt 0x0
	s_cmp_ge_i32 s2, s22
	s_cbranch_scc1 .LBB277_11
; %bb.1:
	s_clause 0x2
	s_load_b512 s[4:19], s[0:1], 0x50
	s_load_b512 s[36:51], s[0:1], 0x10
	s_load_b64 s[20:21], s[0:1], 0x90
	v_and_b32_e32 v2, 0x3ff, v0
	v_bfe_u32 v1, v0, 10, 10
	v_lshlrev_b32_e32 v0, 4, v0
	s_lshl_b32 s3, ttmp7, 5
	s_mov_b32 s24, ttmp9
	s_and_b32 s3, s3, 0x1fffe0
	v_lshl_add_u32 v3, v1, 4, v2
	v_and_b32_e32 v14, 0x70, v0
	v_add_nc_u32_e32 v12, s3, v1
	s_ashr_i32 s25, ttmp9, 31
	v_lshl_add_u32 v32, v1, 7, 0x1000
	v_and_b32_e32 v0, 31, v3
	s_lshl_b64 s[0:1], s[24:25], 5
	v_lshrrev_b32_e32 v10, 3, v3
	v_lshrrev_b32_e32 v15, 5, v3
	v_dual_mov_b32 v30, 0 :: v_dual_lshlrev_b32 v31, 4, v2
	v_lshlrev_b32_e32 v11, 4, v0
	v_or_b32_e32 v3, s0, v0
	s_wait_kmcnt 0x0
	v_mad_co_u64_u32 v[0:1], null, v12, s18, 0
	v_add_nc_u32_e32 v13, s3, v10
	v_add_co_u32 v2, s0, s0, v2
	v_mul_lo_u32 v16, s45, v3
	v_mad_co_u64_u32 v[6:7], null, s44, v3, 0
	v_cmp_eq_f64_e64 s23, s[6:7], 0
	v_cmp_eq_f64_e64 s26, s[8:9], 0
	v_mad_co_u64_u32 v[4:5], null, v12, s12, 0
	v_mad_co_u64_u32 v[8:9], null, s50, v13, 0
	v_lshl_or_b32 v17, v10, 7, v14
	v_lshl_or_b32 v33, v15, 9, v11
	v_mad_co_u64_u32 v[10:11], null, v12, s19, v[1:2]
	s_wait_alu 0xf1ff
	v_add_co_ci_u32_e64 v3, null, s1, 0, s0
	s_mul_i32 s0, s44, s1
	v_mad_co_u64_u32 v[11:12], null, v12, s13, v[5:6]
	s_wait_alu 0xfffe
	v_add3_u32 v7, v7, s0, v16
	v_mad_co_u64_u32 v[12:13], null, s51, v13, v[9:10]
	s_lshl_b64 s[24:25], s[46:47], 4
	v_mov_b32_e32 v1, v10
	v_lshlrev_b64_e32 v[6:7], 4, v[6:7]
	v_dual_mov_b32 v5, v11 :: v_dual_lshlrev_b32 v10, 4, v15
	v_cmp_gt_i64_e64 s0, s[36:37], 0
	v_mov_b32_e32 v9, v12
	s_lshl_b64 s[4:5], s[4:5], 4
	v_add_co_u32 v6, vcc_lo, v6, s24
	s_delay_alu instid0(VALU_DEP_1) | instskip(SKIP_1) | instid1(VALU_DEP_3)
	v_add_co_ci_u32_e64 v11, null, s25, v7, vcc_lo
	v_lshlrev_b64_e32 v[4:5], 4, v[4:5]
	v_add_co_u32 v10, vcc_lo, v6, v10
	v_lshlrev_b64_e32 v[6:7], 4, v[8:9]
	s_wait_alu 0xfffd
	v_add_co_ci_u32_e64 v35, null, 0, v11, vcc_lo
	s_wait_alu 0xf1ff
	v_cndmask_b32_e64 v8, 0, 1, s0
	v_add_nc_u32_e32 v34, 0x1000, v17
	v_or_b32_e32 v36, 8, v10
	v_add_co_u32 v6, vcc_lo, v6, s4
	s_wait_alu 0xfffd
	v_add_co_ci_u32_e64 v7, null, s5, v7, vcc_lo
	v_cmp_ne_u32_e64 s0, 1, v8
	s_delay_alu instid0(VALU_DEP_3) | instskip(SKIP_1) | instid1(VALU_DEP_3)
	v_add_co_u32 v37, vcc_lo, v6, v14
	s_wait_alu 0xfffd
	v_add_co_ci_u32_e64 v38, null, 0, v7, vcc_lo
	s_lshl_b64 s[18:19], s[18:19], 4
	s_lshl_b64 s[24:25], s[12:13], 4
	s_and_b32 s1, s23, s26
	s_mov_b32 s3, 0
	s_lshl_b64 s[4:5], s[20:21], 4
	s_lshl_b64 s[12:13], s[14:15], 4
	s_wait_alu 0xfffe
	s_lshl_b64 s[14:15], s[24:25], 4
	s_lshl_b64 s[18:19], s[18:19], 4
	s_branch .LBB277_3
.LBB277_2:                              ;   in Loop: Header=BB277_3 Depth=1
	s_add_co_i32 s2, s2, 0x10000
	flat_store_b64 v[10:11], v[8:9] offset:8
	s_wait_alu 0xfffe
	s_cmp_lt_i32 s2, s22
	s_cbranch_scc0 .LBB277_11
.LBB277_3:                              ; =>This Loop Header: Depth=1
                                        ;     Child Loop BB277_5 Depth 2
	s_lshl_b64 s[20:21], s[2:3], 3
	s_and_b32 vcc_lo, exec_lo, s0
	s_wait_alu 0xfffe
	s_add_nc_u64 s[24:25], s[10:11], s[20:21]
	s_add_nc_u64 s[26:27], s[16:17], s[20:21]
	s_clause 0x1
	global_load_b64 v[6:7], v30, s[24:25]
	global_load_b64 v[8:9], v30, s[26:27]
	s_cbranch_vccnz .LBB277_6
; %bb.4:                                ;   in Loop: Header=BB277_3 Depth=1
	s_add_nc_u64 s[24:25], s[42:43], s[20:21]
	s_add_nc_u64 s[20:21], s[48:49], s[20:21]
	s_clause 0x1
	global_load_b64 v[10:11], v30, s[24:25]
	global_load_b64 v[12:13], v30, s[20:21]
	v_mov_b32_e32 v16, 0
	v_mov_b32_e32 v20, 0
	;; [unrolled: 1-line block ×3, first 2 shown]
	v_dual_mov_b32 v28, 0 :: v_dual_mov_b32 v17, 0
	v_dual_mov_b32 v14, 0 :: v_dual_mov_b32 v21, 0
	;; [unrolled: 1-line block ×5, first 2 shown]
	v_mov_b32_e32 v19, 0
	v_mov_b32_e32 v23, 0
	;; [unrolled: 1-line block ×3, first 2 shown]
	s_mov_b64 s[20:21], 0
	s_wait_loadcnt 0x1
	v_add_co_u32 v10, vcc_lo, v10, v36
	s_wait_alu 0xfffd
	v_add_co_ci_u32_e64 v11, null, v11, v35, vcc_lo
	s_wait_loadcnt 0x0
	v_add_co_u32 v12, vcc_lo, v12, v37
	s_wait_alu 0xfffd
	v_add_co_ci_u32_e64 v13, null, v13, v38, vcc_lo
.LBB277_5:                              ;   Parent Loop BB277_3 Depth=1
                                        ; =>  This Inner Loop Header: Depth=2
	flat_load_b128 v[39:42], v[10:11] offset:-8
	flat_load_b128 v[43:46], v[12:13]
	s_wait_alu 0xfffe
	s_add_nc_u64 s[20:21], s[20:21], 8
	v_add_co_u32 v10, vcc_lo, 0x80, v10
	s_wait_alu 0xfffe
	v_cmp_lt_i64_e64 s23, s[20:21], s[36:37]
	s_wait_alu 0xfffd
	v_add_co_ci_u32_e64 v11, null, 0, v11, vcc_lo
	v_add_co_u32 v12, vcc_lo, 0x80, v12
	s_wait_alu 0xfffd
	v_add_co_ci_u32_e64 v13, null, 0, v13, vcc_lo
	s_and_b32 vcc_lo, exec_lo, s23
	s_wait_loadcnt_dscnt 0x101
	v_xor_b32_e32 v42, 0x80000000, v42
	ds_store_b128 v33, v[39:42]
	s_wait_loadcnt_dscnt 0x1
	ds_store_2addr_b64 v34, v[43:44], v[45:46] offset1:1
	s_wait_dscnt 0x0
	s_barrier_signal -1
	s_barrier_wait -1
	global_inv scope:SCOPE_SE
	ds_load_b128 v[39:42], v32
	ds_load_b128 v[43:46], v31
	ds_load_b128 v[47:50], v31 offset:256
	ds_load_b128 v[51:54], v32 offset:2048
	;; [unrolled: 1-line block ×13, first 2 shown]
	s_wait_dscnt 0xd
	v_mul_f64_e32 v[99:100], v[41:42], v[45:46]
	v_mul_f64_e32 v[101:102], v[39:40], v[45:46]
	s_wait_dscnt 0xc
	v_mul_f64_e32 v[103:104], v[41:42], v[49:50]
	v_mul_f64_e32 v[105:106], v[39:40], v[49:50]
	;; [unrolled: 3-line block ×3, first 2 shown]
	v_mul_f64_e32 v[109:110], v[53:54], v[49:50]
	v_mul_f64_e32 v[49:50], v[51:52], v[49:50]
	s_wait_dscnt 0x9
	v_mul_f64_e32 v[111:112], v[57:58], v[61:62]
	v_mul_f64_e32 v[113:114], v[55:56], v[61:62]
	s_wait_dscnt 0x7
	v_mul_f64_e32 v[115:116], v[57:58], v[69:70]
	v_mul_f64_e32 v[117:118], v[55:56], v[69:70]
	;; [unrolled: 1-line block ×6, first 2 shown]
	s_wait_dscnt 0x3
	v_mul_f64_e32 v[125:126], v[71:72], v[85:86]
	s_wait_dscnt 0x1
	v_mul_f64_e32 v[127:128], v[93:94], v[81:82]
	v_mul_f64_e32 v[129:130], v[93:94], v[85:86]
	v_fma_f64 v[99:100], v[39:40], v[43:44], -v[99:100]
	v_fma_f64 v[101:102], v[41:42], v[43:44], v[101:102]
	v_fma_f64 v[103:104], v[39:40], v[47:48], -v[103:104]
	v_fma_f64 v[105:106], v[41:42], v[47:48], v[105:106]
	;; [unrolled: 2-line block ×4, first 2 shown]
	v_mul_f64_e32 v[49:50], v[73:74], v[81:82]
	v_mul_f64_e32 v[53:54], v[71:72], v[81:82]
	;; [unrolled: 1-line block ×5, first 2 shown]
	v_fma_f64 v[111:112], v[55:56], v[59:60], -v[111:112]
	v_fma_f64 v[113:114], v[57:58], v[59:60], v[113:114]
	v_fma_f64 v[55:56], v[55:56], v[67:68], -v[115:116]
	v_fma_f64 v[57:58], v[57:58], v[67:68], v[117:118]
	;; [unrolled: 2-line block ×4, first 2 shown]
	ds_load_b128 v[39:42], v31 offset:1792
	ds_load_b128 v[43:46], v32 offset:64
	v_mul_f64_e32 v[69:70], v[77:78], v[89:90]
	v_add_f64_e32 v[26:27], v[26:27], v[99:100]
	v_add_f64_e32 v[28:29], v[101:102], v[28:29]
	;; [unrolled: 1-line block ×8, first 2 shown]
	v_mul_f64_e32 v[99:100], v[75:76], v[89:90]
	s_wait_dscnt 0x1
	v_mul_f64_e32 v[101:102], v[77:78], v[41:42]
	v_mul_f64_e32 v[103:104], v[75:76], v[41:42]
	;; [unrolled: 1-line block ×6, first 2 shown]
	v_fma_f64 v[117:118], v[71:72], v[79:80], -v[49:50]
	v_fma_f64 v[119:120], v[73:74], v[79:80], v[53:54]
	v_fma_f64 v[71:72], v[71:72], v[83:84], -v[109:110]
	v_fma_f64 v[73:74], v[73:74], v[83:84], v[125:126]
	;; [unrolled: 2-line block ×4, first 2 shown]
	ds_load_b128 v[14:17], v31 offset:2048
	ds_load_b128 v[18:21], v31 offset:2304
	v_fma_f64 v[69:70], v[75:76], v[87:88], -v[69:70]
	v_add_f64_e32 v[85:86], v[26:27], v[111:112]
	v_add_f64_e32 v[91:92], v[113:114], v[28:29]
	;; [unrolled: 1-line block ×8, first 2 shown]
	ds_load_b128 v[22:25], v32 offset:2112
	ds_load_b128 v[26:29], v32 offset:80
	;; [unrolled: 1-line block ×4, first 2 shown]
	s_wait_dscnt 0x5
	v_mul_f64_e32 v[67:68], v[45:46], v[16:17]
	v_mul_f64_e32 v[93:94], v[43:44], v[16:17]
	s_wait_dscnt 0x4
	v_mul_f64_e32 v[111:112], v[45:46], v[20:21]
	v_mul_f64_e32 v[113:114], v[43:44], v[20:21]
	v_fma_f64 v[99:100], v[77:78], v[87:88], v[99:100]
	v_fma_f64 v[75:76], v[75:76], v[39:40], -v[101:102]
	v_fma_f64 v[77:78], v[77:78], v[39:40], v[103:104]
	v_fma_f64 v[101:102], v[95:96], v[87:88], -v[105:106]
	;; [unrolled: 2-line block ×3, first 2 shown]
	v_fma_f64 v[95:96], v[97:98], v[39:40], v[41:42]
	s_wait_dscnt 0x3
	v_mul_f64_e32 v[115:116], v[24:25], v[16:17]
	v_mul_f64_e32 v[16:17], v[22:23], v[16:17]
	;; [unrolled: 1-line block ×4, first 2 shown]
	s_wait_dscnt 0x1
	v_mul_f64_e32 v[103:104], v[28:29], v[49:50]
	v_mul_f64_e32 v[105:106], v[26:27], v[49:50]
	v_add_f64_e32 v[85:86], v[85:86], v[117:118]
	v_add_f64_e32 v[91:92], v[119:120], v[91:92]
	;; [unrolled: 1-line block ×8, first 2 shown]
	ds_load_b128 v[39:42], v31 offset:2816
	ds_load_b128 v[55:58], v32 offset:96
	ds_load_b128 v[59:62], v31 offset:3072
	ds_load_b128 v[63:66], v31 offset:3328
	s_wait_dscnt 0x4
	v_mul_f64_e32 v[117:118], v[53:54], v[49:50]
	v_mul_f64_e32 v[49:50], v[51:52], v[49:50]
	v_fma_f64 v[67:68], v[43:44], v[14:15], -v[67:68]
	v_fma_f64 v[93:94], v[45:46], v[14:15], v[93:94]
	v_fma_f64 v[111:112], v[43:44], v[18:19], -v[111:112]
	v_fma_f64 v[45:46], v[45:46], v[18:19], v[113:114]
	s_wait_dscnt 0x3
	v_mul_f64_e32 v[107:108], v[28:29], v[41:42]
	v_mul_f64_e32 v[109:110], v[26:27], v[41:42]
	;; [unrolled: 1-line block ×4, first 2 shown]
	v_fma_f64 v[113:114], v[22:23], v[14:15], -v[115:116]
	v_fma_f64 v[115:116], v[24:25], v[14:15], v[16:17]
	v_fma_f64 v[121:122], v[22:23], v[18:19], -v[121:122]
	v_fma_f64 v[125:126], v[24:25], v[18:19], v[20:21]
	ds_load_b128 v[14:17], v32 offset:2144
	ds_load_b128 v[18:21], v32 offset:112
	;; [unrolled: 1-line block ×4, first 2 shown]
	v_add_f64_e32 v[69:70], v[85:86], v[69:70]
	v_add_f64_e32 v[85:86], v[99:100], v[91:92]
	;; [unrolled: 1-line block ×8, first 2 shown]
	s_wait_dscnt 0x5
	v_mul_f64_e32 v[83:84], v[57:58], v[61:62]
	v_mul_f64_e32 v[87:88], v[55:56], v[61:62]
	s_wait_dscnt 0x4
	v_mul_f64_e32 v[89:90], v[57:58], v[65:66]
	v_mul_f64_e32 v[91:92], v[55:56], v[65:66]
	;; [unrolled: 3-line block ×3, first 2 shown]
	v_mul_f64_e32 v[97:98], v[16:17], v[65:66]
	v_mul_f64_e32 v[65:66], v[14:15], v[65:66]
	v_fma_f64 v[99:100], v[26:27], v[47:48], -v[103:104]
	v_fma_f64 v[101:102], v[28:29], v[47:48], v[105:106]
	v_fma_f64 v[103:104], v[26:27], v[39:40], -v[107:108]
	v_fma_f64 v[105:106], v[28:29], v[39:40], v[109:110]
	;; [unrolled: 2-line block ×4, first 2 shown]
	ds_load_b128 v[26:29], v31 offset:3840
	s_wait_loadcnt_dscnt 0x0
	s_barrier_signal -1
	s_barrier_wait -1
	global_inv scope:SCOPE_SE
	v_add_f64_e32 v[51:52], v[69:70], v[67:68]
	v_add_f64_e32 v[53:54], v[93:94], v[85:86]
	;; [unrolled: 1-line block ×8, first 2 shown]
	v_mul_f64_e32 v[77:78], v[20:21], v[24:25]
	v_mul_f64_e32 v[79:80], v[18:19], v[24:25]
	;; [unrolled: 1-line block ×4, first 2 shown]
	v_fma_f64 v[83:84], v[55:56], v[59:60], -v[83:84]
	v_mul_f64_e32 v[81:82], v[20:21], v[28:29]
	v_mul_f64_e32 v[85:86], v[18:19], v[28:29]
	;; [unrolled: 1-line block ×4, first 2 shown]
	v_fma_f64 v[87:88], v[57:58], v[59:60], v[87:88]
	v_fma_f64 v[55:56], v[55:56], v[63:64], -v[89:90]
	v_fma_f64 v[57:58], v[57:58], v[63:64], v[91:92]
	v_fma_f64 v[89:90], v[14:15], v[59:60], -v[95:96]
	;; [unrolled: 2-line block ×3, first 2 shown]
	v_fma_f64 v[16:17], v[16:17], v[63:64], v[65:66]
	v_add_f64_e32 v[51:52], v[51:52], v[99:100]
	v_add_f64_e32 v[53:54], v[101:102], v[53:54]
	;; [unrolled: 1-line block ×8, first 2 shown]
	v_fma_f64 v[65:66], v[18:19], v[22:23], -v[77:78]
	v_fma_f64 v[67:68], v[20:21], v[22:23], v[79:80]
	v_fma_f64 v[69:70], v[41:42], v[22:23], -v[93:94]
	v_fma_f64 v[71:72], v[43:44], v[22:23], v[24:25]
	;; [unrolled: 2-line block ×4, first 2 shown]
	v_add_f64_e32 v[22:23], v[51:52], v[83:84]
	v_add_f64_e32 v[24:25], v[87:88], v[53:54]
	;; [unrolled: 1-line block ×16, first 2 shown]
	s_wait_alu 0xfffe
	s_cbranch_vccnz .LBB277_5
	s_branch .LBB277_7
.LBB277_6:                              ;   in Loop: Header=BB277_3 Depth=1
	v_mov_b32_e32 v26, 0
	v_mov_b32_e32 v22, 0
	;; [unrolled: 1-line block ×3, first 2 shown]
	v_dual_mov_b32 v14, 0 :: v_dual_mov_b32 v27, 0
	v_dual_mov_b32 v28, 0 :: v_dual_mov_b32 v23, 0
	;; [unrolled: 1-line block ×5, first 2 shown]
	v_mov_b32_e32 v25, 0
	v_mov_b32_e32 v21, 0
	;; [unrolled: 1-line block ×3, first 2 shown]
.LBB277_7:                              ;   in Loop: Header=BB277_3 Depth=1
	s_wait_loadcnt 0x0
	v_add_co_u32 v12, vcc_lo, v8, s4
	s_wait_alu 0xfffd
	v_add_co_ci_u32_e64 v13, null, s5, v9, vcc_lo
	s_and_not1_b32 vcc_lo, exec_lo, s1
	s_mov_b32 s20, -1
                                        ; implicit-def: $vgpr8_vgpr9
                                        ; implicit-def: $vgpr10_vgpr11
	s_wait_alu 0xfffe
	s_cbranch_vccz .LBB277_9
; %bb.8:                                ;   in Loop: Header=BB277_3 Depth=1
	s_and_not1_b32 vcc_lo, exec_lo, s20
	s_wait_alu 0xfffe
	s_cbranch_vccnz .LBB277_2
	s_branch .LBB277_10
.LBB277_9:                              ;   in Loop: Header=BB277_3 Depth=1
	v_mul_f64_e32 v[8:9], s[40:41], v[28:29]
	v_mul_f64_e32 v[10:11], s[38:39], v[28:29]
	;; [unrolled: 1-line block ×8, first 2 shown]
	v_fma_f64 v[39:40], s[38:39], v[26:27], -v[8:9]
	v_fma_f64 v[41:42], s[40:41], v[26:27], v[10:11]
	v_fma_f64 v[8:9], s[40:41], v[14:15], v[53:54]
	v_fma_f64 v[43:44], s[38:39], v[22:23], -v[43:44]
	v_fma_f64 v[45:46], s[40:41], v[22:23], v[45:46]
	v_fma_f64 v[47:48], s[38:39], v[18:19], -v[47:48]
	;; [unrolled: 2-line block ×3, first 2 shown]
	v_lshlrev_b64_e32 v[10:11], 4, v[0:1]
	s_delay_alu instid0(VALU_DEP_1) | instskip(SKIP_1) | instid1(VALU_DEP_2)
	v_add_co_u32 v55, vcc_lo, v12, v10
	s_wait_alu 0xfffd
	v_add_co_ci_u32_e64 v56, null, v13, v11, vcc_lo
	v_lshlrev_b64_e32 v[10:11], 4, v[2:3]
	s_delay_alu instid0(VALU_DEP_3) | instskip(SKIP_1) | instid1(VALU_DEP_3)
	v_add_co_u32 v53, vcc_lo, v55, s18
	s_wait_alu 0xfffd
	v_add_co_ci_u32_e64 v54, null, s19, v56, vcc_lo
	s_delay_alu instid0(VALU_DEP_2) | instskip(SKIP_1) | instid1(VALU_DEP_2)
	v_add_co_u32 v53, vcc_lo, v53, v10
	s_wait_alu 0xfffd
	v_add_co_ci_u32_e64 v54, null, v54, v11, vcc_lo
	v_add_co_u32 v55, vcc_lo, v55, v10
	s_wait_alu 0xfffd
	v_add_co_ci_u32_e64 v56, null, v56, v11, vcc_lo
	;; [unrolled: 3-line block ×3, first 2 shown]
	s_clause 0x3
	flat_store_b128 v[55:56], v[39:42]
	flat_store_b128 v[55:56], v[43:46] offset:256
	flat_store_b128 v[53:54], v[47:50]
	flat_store_b64 v[53:54], v[51:52] offset:256
	s_cbranch_execnz .LBB277_2
.LBB277_10:                             ;   in Loop: Header=BB277_3 Depth=1
	v_add_co_u32 v6, vcc_lo, v6, s12
	s_wait_alu 0xfffd
	v_add_co_ci_u32_e64 v7, null, s13, v7, vcc_lo
	v_lshlrev_b64_e32 v[10:11], 4, v[2:3]
	s_delay_alu instid0(VALU_DEP_3) | instskip(SKIP_1) | instid1(VALU_DEP_3)
	v_add_co_u32 v45, vcc_lo, v6, v4
	s_wait_alu 0xfffd
	v_add_co_ci_u32_e64 v46, null, v7, v5, vcc_lo
	v_mul_f64_e32 v[41:42], s[40:41], v[28:29]
	s_delay_alu instid0(VALU_DEP_3) | instskip(SKIP_1) | instid1(VALU_DEP_3)
	v_add_co_u32 v39, vcc_lo, v45, v10
	s_wait_alu 0xfffd
	v_add_co_ci_u32_e64 v40, null, v46, v11, vcc_lo
	v_mul_f64_e32 v[28:29], s[38:39], v[28:29]
	flat_load_b128 v[6:9], v[39:40]
	v_fma_f64 v[41:42], s[38:39], v[26:27], -v[41:42]
	v_fma_f64 v[26:27], s[40:41], v[26:27], v[28:29]
	s_wait_loadcnt_dscnt 0x0
	v_mul_f64_e32 v[43:44], s[8:9], v[8:9]
	v_mul_f64_e32 v[8:9], s[6:7], v[8:9]
	s_delay_alu instid0(VALU_DEP_2) | instskip(NEXT) | instid1(VALU_DEP_2)
	v_fma_f64 v[28:29], s[6:7], v[6:7], -v[43:44]
	v_fma_f64 v[8:9], s[8:9], v[6:7], v[8:9]
	s_delay_alu instid0(VALU_DEP_2) | instskip(NEXT) | instid1(VALU_DEP_2)
	v_add_f64_e32 v[6:7], v[41:42], v[28:29]
	v_add_f64_e32 v[8:9], v[26:27], v[8:9]
	v_lshlrev_b64_e32 v[26:27], 4, v[0:1]
	s_delay_alu instid0(VALU_DEP_1) | instskip(SKIP_1) | instid1(VALU_DEP_2)
	v_add_co_u32 v41, vcc_lo, v12, v26
	s_wait_alu 0xfffd
	v_add_co_ci_u32_e64 v42, null, v13, v27, vcc_lo
	v_mul_f64_e32 v[26:27], s[40:41], v[24:25]
	s_delay_alu instid0(VALU_DEP_3) | instskip(SKIP_1) | instid1(VALU_DEP_3)
	v_add_co_u32 v12, vcc_lo, v41, v10
	s_wait_alu 0xfffd
	v_add_co_ci_u32_e64 v13, null, v42, v11, vcc_lo
	v_mul_f64_e32 v[24:25], s[38:39], v[24:25]
	flat_store_b128 v[12:13], v[6:9]
	flat_load_b128 v[6:9], v[39:40] offset:256
	v_fma_f64 v[26:27], s[38:39], v[22:23], -v[26:27]
	v_fma_f64 v[22:23], s[40:41], v[22:23], v[24:25]
	s_wait_loadcnt_dscnt 0x0
	v_mul_f64_e32 v[28:29], s[8:9], v[8:9]
	v_mul_f64_e32 v[8:9], s[6:7], v[8:9]
	s_delay_alu instid0(VALU_DEP_2) | instskip(NEXT) | instid1(VALU_DEP_2)
	v_fma_f64 v[24:25], s[6:7], v[6:7], -v[28:29]
	v_fma_f64 v[8:9], s[8:9], v[6:7], v[8:9]
	s_delay_alu instid0(VALU_DEP_2) | instskip(NEXT) | instid1(VALU_DEP_2)
	v_add_f64_e32 v[6:7], v[26:27], v[24:25]
	v_add_f64_e32 v[8:9], v[22:23], v[8:9]
	v_add_co_u32 v22, vcc_lo, v45, s14
	s_wait_alu 0xfffd
	v_add_co_ci_u32_e64 v23, null, s15, v46, vcc_lo
	s_delay_alu instid0(VALU_DEP_2) | instskip(SKIP_1) | instid1(VALU_DEP_2)
	v_add_co_u32 v22, vcc_lo, v22, v10
	s_wait_alu 0xfffd
	v_add_co_ci_u32_e64 v23, null, v23, v11, vcc_lo
	flat_store_b128 v[12:13], v[6:9] offset:256
	flat_load_b128 v[6:9], v[22:23]
	v_mul_f64_e32 v[12:13], s[40:41], v[20:21]
	v_mul_f64_e32 v[20:21], s[38:39], v[20:21]
	s_delay_alu instid0(VALU_DEP_2) | instskip(NEXT) | instid1(VALU_DEP_2)
	v_fma_f64 v[12:13], s[38:39], v[18:19], -v[12:13]
	v_fma_f64 v[18:19], s[40:41], v[18:19], v[20:21]
	s_wait_loadcnt_dscnt 0x0
	v_mul_f64_e32 v[24:25], s[8:9], v[8:9]
	v_mul_f64_e32 v[8:9], s[6:7], v[8:9]
	s_delay_alu instid0(VALU_DEP_2) | instskip(NEXT) | instid1(VALU_DEP_2)
	v_fma_f64 v[20:21], s[6:7], v[6:7], -v[24:25]
	v_fma_f64 v[8:9], s[8:9], v[6:7], v[8:9]
	s_delay_alu instid0(VALU_DEP_2) | instskip(NEXT) | instid1(VALU_DEP_2)
	v_add_f64_e32 v[6:7], v[12:13], v[20:21]
	v_add_f64_e32 v[8:9], v[18:19], v[8:9]
	v_add_co_u32 v12, vcc_lo, v41, s18
	s_wait_alu 0xfffd
	v_add_co_ci_u32_e64 v13, null, s19, v42, vcc_lo
	s_delay_alu instid0(VALU_DEP_2) | instskip(SKIP_1) | instid1(VALU_DEP_2)
	v_add_co_u32 v12, vcc_lo, v12, v10
	s_wait_alu 0xfffd
	v_add_co_ci_u32_e64 v13, null, v13, v11, vcc_lo
	v_mul_f64_e32 v[10:11], s[40:41], v[16:17]
	v_mul_f64_e32 v[16:17], s[38:39], v[16:17]
	flat_store_b128 v[12:13], v[6:9]
	flat_load_b128 v[6:9], v[22:23] offset:256
	v_fma_f64 v[10:11], s[38:39], v[14:15], -v[10:11]
	v_fma_f64 v[14:15], s[40:41], v[14:15], v[16:17]
	s_wait_loadcnt_dscnt 0x0
	v_mul_f64_e32 v[18:19], s[8:9], v[8:9]
	v_mul_f64_e32 v[8:9], s[6:7], v[8:9]
	s_delay_alu instid0(VALU_DEP_2) | instskip(NEXT) | instid1(VALU_DEP_2)
	v_fma_f64 v[16:17], s[6:7], v[6:7], -v[18:19]
	v_fma_f64 v[6:7], s[8:9], v[6:7], v[8:9]
	s_delay_alu instid0(VALU_DEP_2) | instskip(NEXT) | instid1(VALU_DEP_2)
	v_add_f64_e32 v[16:17], v[10:11], v[16:17]
	v_add_f64_e32 v[8:9], v[14:15], v[6:7]
	v_add_co_u32 v10, vcc_lo, 0x100, v12
	s_wait_alu 0xfffd
	v_add_co_ci_u32_e64 v11, null, 0, v13, vcc_lo
	flat_store_b64 v[12:13], v[16:17] offset:256
	s_branch .LBB277_2
.LBB277_11:
	s_nop 0
	s_sendmsg sendmsg(MSG_DEALLOC_VGPRS)
	s_endpgm
	.section	.rodata,"a",@progbits
	.p2align	6, 0x0
	.amdhsa_kernel _ZN12_GLOBAL__N_127rocblas_gemm_batched_kernelI19rocblas_complex_numIdELi16ELi16ELi32ELi32ELi8ELi32ELi8ELi8ELi32ELc67ELc78EKPKS2_S5_KPS2_EEvlllT_PT11_llSA_llS8_PT12_llPT13_lli
		.amdhsa_group_segment_fixed_size 8192
		.amdhsa_private_segment_fixed_size 0
		.amdhsa_kernarg_size 156
		.amdhsa_user_sgpr_count 2
		.amdhsa_user_sgpr_dispatch_ptr 0
		.amdhsa_user_sgpr_queue_ptr 0
		.amdhsa_user_sgpr_kernarg_segment_ptr 1
		.amdhsa_user_sgpr_dispatch_id 0
		.amdhsa_user_sgpr_private_segment_size 0
		.amdhsa_wavefront_size32 1
		.amdhsa_uses_dynamic_stack 0
		.amdhsa_enable_private_segment 0
		.amdhsa_system_sgpr_workgroup_id_x 1
		.amdhsa_system_sgpr_workgroup_id_y 1
		.amdhsa_system_sgpr_workgroup_id_z 1
		.amdhsa_system_sgpr_workgroup_info 0
		.amdhsa_system_vgpr_workitem_id 1
		.amdhsa_next_free_vgpr 131
		.amdhsa_next_free_sgpr 52
		.amdhsa_reserve_vcc 1
		.amdhsa_float_round_mode_32 0
		.amdhsa_float_round_mode_16_64 0
		.amdhsa_float_denorm_mode_32 3
		.amdhsa_float_denorm_mode_16_64 3
		.amdhsa_fp16_overflow 0
		.amdhsa_workgroup_processor_mode 1
		.amdhsa_memory_ordered 1
		.amdhsa_forward_progress 1
		.amdhsa_inst_pref_size 26
		.amdhsa_round_robin_scheduling 0
		.amdhsa_exception_fp_ieee_invalid_op 0
		.amdhsa_exception_fp_denorm_src 0
		.amdhsa_exception_fp_ieee_div_zero 0
		.amdhsa_exception_fp_ieee_overflow 0
		.amdhsa_exception_fp_ieee_underflow 0
		.amdhsa_exception_fp_ieee_inexact 0
		.amdhsa_exception_int_div_zero 0
	.end_amdhsa_kernel
	.section	.text._ZN12_GLOBAL__N_127rocblas_gemm_batched_kernelI19rocblas_complex_numIdELi16ELi16ELi32ELi32ELi8ELi32ELi8ELi8ELi32ELc67ELc78EKPKS2_S5_KPS2_EEvlllT_PT11_llSA_llS8_PT12_llPT13_lli,"axG",@progbits,_ZN12_GLOBAL__N_127rocblas_gemm_batched_kernelI19rocblas_complex_numIdELi16ELi16ELi32ELi32ELi8ELi32ELi8ELi8ELi32ELc67ELc78EKPKS2_S5_KPS2_EEvlllT_PT11_llSA_llS8_PT12_llPT13_lli,comdat
.Lfunc_end277:
	.size	_ZN12_GLOBAL__N_127rocblas_gemm_batched_kernelI19rocblas_complex_numIdELi16ELi16ELi32ELi32ELi8ELi32ELi8ELi8ELi32ELc67ELc78EKPKS2_S5_KPS2_EEvlllT_PT11_llSA_llS8_PT12_llPT13_lli, .Lfunc_end277-_ZN12_GLOBAL__N_127rocblas_gemm_batched_kernelI19rocblas_complex_numIdELi16ELi16ELi32ELi32ELi8ELi32ELi8ELi8ELi32ELc67ELc78EKPKS2_S5_KPS2_EEvlllT_PT11_llSA_llS8_PT12_llPT13_lli
                                        ; -- End function
	.set _ZN12_GLOBAL__N_127rocblas_gemm_batched_kernelI19rocblas_complex_numIdELi16ELi16ELi32ELi32ELi8ELi32ELi8ELi8ELi32ELc67ELc78EKPKS2_S5_KPS2_EEvlllT_PT11_llSA_llS8_PT12_llPT13_lli.num_vgpr, 131
	.set _ZN12_GLOBAL__N_127rocblas_gemm_batched_kernelI19rocblas_complex_numIdELi16ELi16ELi32ELi32ELi8ELi32ELi8ELi8ELi32ELc67ELc78EKPKS2_S5_KPS2_EEvlllT_PT11_llSA_llS8_PT12_llPT13_lli.num_agpr, 0
	.set _ZN12_GLOBAL__N_127rocblas_gemm_batched_kernelI19rocblas_complex_numIdELi16ELi16ELi32ELi32ELi8ELi32ELi8ELi8ELi32ELc67ELc78EKPKS2_S5_KPS2_EEvlllT_PT11_llSA_llS8_PT12_llPT13_lli.numbered_sgpr, 52
	.set _ZN12_GLOBAL__N_127rocblas_gemm_batched_kernelI19rocblas_complex_numIdELi16ELi16ELi32ELi32ELi8ELi32ELi8ELi8ELi32ELc67ELc78EKPKS2_S5_KPS2_EEvlllT_PT11_llSA_llS8_PT12_llPT13_lli.num_named_barrier, 0
	.set _ZN12_GLOBAL__N_127rocblas_gemm_batched_kernelI19rocblas_complex_numIdELi16ELi16ELi32ELi32ELi8ELi32ELi8ELi8ELi32ELc67ELc78EKPKS2_S5_KPS2_EEvlllT_PT11_llSA_llS8_PT12_llPT13_lli.private_seg_size, 0
	.set _ZN12_GLOBAL__N_127rocblas_gemm_batched_kernelI19rocblas_complex_numIdELi16ELi16ELi32ELi32ELi8ELi32ELi8ELi8ELi32ELc67ELc78EKPKS2_S5_KPS2_EEvlllT_PT11_llSA_llS8_PT12_llPT13_lli.uses_vcc, 1
	.set _ZN12_GLOBAL__N_127rocblas_gemm_batched_kernelI19rocblas_complex_numIdELi16ELi16ELi32ELi32ELi8ELi32ELi8ELi8ELi32ELc67ELc78EKPKS2_S5_KPS2_EEvlllT_PT11_llSA_llS8_PT12_llPT13_lli.uses_flat_scratch, 1
	.set _ZN12_GLOBAL__N_127rocblas_gemm_batched_kernelI19rocblas_complex_numIdELi16ELi16ELi32ELi32ELi8ELi32ELi8ELi8ELi32ELc67ELc78EKPKS2_S5_KPS2_EEvlllT_PT11_llSA_llS8_PT12_llPT13_lli.has_dyn_sized_stack, 0
	.set _ZN12_GLOBAL__N_127rocblas_gemm_batched_kernelI19rocblas_complex_numIdELi16ELi16ELi32ELi32ELi8ELi32ELi8ELi8ELi32ELc67ELc78EKPKS2_S5_KPS2_EEvlllT_PT11_llSA_llS8_PT12_llPT13_lli.has_recursion, 0
	.set _ZN12_GLOBAL__N_127rocblas_gemm_batched_kernelI19rocblas_complex_numIdELi16ELi16ELi32ELi32ELi8ELi32ELi8ELi8ELi32ELc67ELc78EKPKS2_S5_KPS2_EEvlllT_PT11_llSA_llS8_PT12_llPT13_lli.has_indirect_call, 0
	.section	.AMDGPU.csdata,"",@progbits
; Kernel info:
; codeLenInByte = 3288
; TotalNumSgprs: 54
; NumVgprs: 131
; ScratchSize: 0
; MemoryBound: 0
; FloatMode: 240
; IeeeMode: 1
; LDSByteSize: 8192 bytes/workgroup (compile time only)
; SGPRBlocks: 0
; VGPRBlocks: 16
; NumSGPRsForWavesPerEU: 54
; NumVGPRsForWavesPerEU: 131
; Occupancy: 10
; WaveLimiterHint : 1
; COMPUTE_PGM_RSRC2:SCRATCH_EN: 0
; COMPUTE_PGM_RSRC2:USER_SGPR: 2
; COMPUTE_PGM_RSRC2:TRAP_HANDLER: 0
; COMPUTE_PGM_RSRC2:TGID_X_EN: 1
; COMPUTE_PGM_RSRC2:TGID_Y_EN: 1
; COMPUTE_PGM_RSRC2:TGID_Z_EN: 1
; COMPUTE_PGM_RSRC2:TIDIG_COMP_CNT: 1
	.section	.text._ZN12_GLOBAL__N_127rocblas_gemm_batched_kernelI19rocblas_complex_numIdELi16ELi16ELi32ELi32ELi8ELi32ELi8ELi8ELi32ELc67ELc84EKPKS2_S5_KPS2_EEvlllT_PT11_llSA_llS8_PT12_llPT13_lli,"axG",@progbits,_ZN12_GLOBAL__N_127rocblas_gemm_batched_kernelI19rocblas_complex_numIdELi16ELi16ELi32ELi32ELi8ELi32ELi8ELi8ELi32ELc67ELc84EKPKS2_S5_KPS2_EEvlllT_PT11_llSA_llS8_PT12_llPT13_lli,comdat
	.globl	_ZN12_GLOBAL__N_127rocblas_gemm_batched_kernelI19rocblas_complex_numIdELi16ELi16ELi32ELi32ELi8ELi32ELi8ELi8ELi32ELc67ELc84EKPKS2_S5_KPS2_EEvlllT_PT11_llSA_llS8_PT12_llPT13_lli ; -- Begin function _ZN12_GLOBAL__N_127rocblas_gemm_batched_kernelI19rocblas_complex_numIdELi16ELi16ELi32ELi32ELi8ELi32ELi8ELi8ELi32ELc67ELc84EKPKS2_S5_KPS2_EEvlllT_PT11_llSA_llS8_PT12_llPT13_lli
	.p2align	8
	.type	_ZN12_GLOBAL__N_127rocblas_gemm_batched_kernelI19rocblas_complex_numIdELi16ELi16ELi32ELi32ELi8ELi32ELi8ELi8ELi32ELc67ELc84EKPKS2_S5_KPS2_EEvlllT_PT11_llSA_llS8_PT12_llPT13_lli,@function
_ZN12_GLOBAL__N_127rocblas_gemm_batched_kernelI19rocblas_complex_numIdELi16ELi16ELi32ELi32ELi8ELi32ELi8ELi8ELi32ELc67ELc84EKPKS2_S5_KPS2_EEvlllT_PT11_llSA_llS8_PT12_llPT13_lli: ; @_ZN12_GLOBAL__N_127rocblas_gemm_batched_kernelI19rocblas_complex_numIdELi16ELi16ELi32ELi32ELi8ELi32ELi8ELi8ELi32ELc67ELc84EKPKS2_S5_KPS2_EEvlllT_PT11_llSA_llS8_PT12_llPT13_lli
; %bb.0:
	s_load_b32 s24, s[0:1], 0x98
	s_lshr_b32 s2, ttmp7, 16
	s_wait_kmcnt 0x0
	s_cmp_ge_i32 s2, s24
	s_cbranch_scc1 .LBB278_11
; %bb.1:
	s_clause 0x2
	s_load_b512 s[4:19], s[0:1], 0x50
	s_load_b512 s[36:51], s[0:1], 0x10
	s_load_b64 s[20:21], s[0:1], 0x90
	v_dual_mov_b32 v30, 0 :: v_dual_and_b32 v1, 0x3ff, v0
	v_bfe_u32 v2, v0, 10, 10
	s_mov_b32 s22, ttmp9
	s_ashr_i32 s23, ttmp9, 31
	s_lshl_b32 s25, ttmp7, 5
	s_lshl_b64 s[0:1], s[22:23], 5
	s_and_b32 s22, s25, 0x1fffe0
	v_lshl_add_u32 v11, v2, 4, v1
	v_lshl_add_u32 v32, v2, 7, 0x1000
	v_add_nc_u32_e32 v13, s22, v2
	v_and_b32_e32 v10, 7, v0
	v_lshlrev_b32_e32 v31, 4, v1
	v_lshrrev_b32_e32 v14, 3, v11
	v_and_b32_e32 v15, 31, v11
	v_lshrrev_b32_e32 v17, 5, v11
	v_lshlrev_b32_e32 v12, 4, v10
	s_wait_kmcnt 0x0
	v_cmp_eq_f64_e64 s23, s[6:7], 0
	v_cmp_eq_f64_e64 s25, s[8:9], 0
	v_add_co_u32 v2, s22, v14, s22
	s_wait_alu 0xf1ff
	v_add_co_ci_u32_e64 v3, null, 0, 0, s22
	v_or_b32_e32 v8, s0, v15
	v_mad_co_u64_u32 v[6:7], null, v13, s12, 0
	s_delay_alu instid0(VALU_DEP_3) | instskip(NEXT) | instid1(VALU_DEP_3)
	v_mad_co_u64_u32 v[4:5], null, s50, v10, v[2:3]
	v_mul_lo_u32 v16, s45, v8
	v_mad_co_u64_u32 v[8:9], null, s44, v8, 0
	v_mad_co_u64_u32 v[2:3], null, v13, s18, 0
	v_add_co_u32 v0, s22, s0, v1
	v_mad_co_u64_u32 v[10:11], null, s51, v10, v[5:6]
	s_mul_i32 s0, s44, s1
	v_add_co_ci_u32_e64 v1, null, s1, 0, s22
	s_wait_alu 0xfffe
	v_add3_u32 v9, v9, s0, v16
	v_cmp_gt_i64_e64 s0, s[36:37], 0
	v_lshlrev_b32_e32 v15, 4, v15
	v_mov_b32_e32 v5, v10
	v_lshl_or_b32 v14, v14, 7, v12
	v_mad_co_u64_u32 v[11:12], null, v13, s19, v[3:4]
	v_mad_co_u64_u32 v[12:13], null, v13, s13, v[7:8]
	v_lshlrev_b64_e32 v[7:8], 4, v[8:9]
	v_lshlrev_b32_e32 v10, 4, v17
	v_lshlrev_b64_e32 v[4:5], 4, v[4:5]
	v_add_nc_u32_e32 v34, 0x1000, v14
	s_lshl_b64 s[4:5], s[4:5], 4
	v_lshl_or_b32 v33, v17, 9, v15
	v_mov_b32_e32 v3, v11
	s_and_b32 s1, s23, s25
	s_lshl_b64 s[22:23], s[18:19], 4
	s_lshl_b64 s[18:19], s[46:47], 4
	s_mov_b32 s3, 0
	s_wait_alu 0xfffe
	v_add_co_u32 v9, vcc_lo, v7, s18
	s_delay_alu instid0(VALU_DEP_1) | instskip(SKIP_1) | instid1(VALU_DEP_3)
	v_add_co_ci_u32_e64 v8, null, s19, v8, vcc_lo
	v_mov_b32_e32 v7, v12
	v_add_co_u32 v9, vcc_lo, v9, v10
	s_wait_alu 0xfffd
	s_delay_alu instid0(VALU_DEP_3)
	v_add_co_ci_u32_e64 v35, null, 0, v8, vcc_lo
	v_cndmask_b32_e64 v8, 0, 1, s0
	v_add_co_u32 v37, vcc_lo, s4, v4
	s_wait_alu 0xfffd
	v_add_co_ci_u32_e64 v38, null, s5, v5, vcc_lo
	v_lshlrev_b64_e32 v[4:5], 4, v[6:7]
	v_or_b32_e32 v36, 8, v9
	v_cmp_ne_u32_e64 s0, 1, v8
	s_lshl_b64 s[18:19], s[12:13], 4
	s_lshl_b64 s[4:5], s[50:51], 7
	;; [unrolled: 1-line block ×4, first 2 shown]
	s_wait_alu 0xfffe
	s_lshl_b64 s[18:19], s[18:19], 4
	s_lshl_b64 s[20:21], s[22:23], 4
	s_branch .LBB278_3
.LBB278_2:                              ;   in Loop: Header=BB278_3 Depth=1
	s_add_co_i32 s2, s2, 0x10000
	flat_store_b64 v[10:11], v[8:9] offset:8
	s_cmp_lt_i32 s2, s24
	s_cbranch_scc0 .LBB278_11
.LBB278_3:                              ; =>This Loop Header: Depth=1
                                        ;     Child Loop BB278_5 Depth 2
	s_lshl_b64 s[22:23], s[2:3], 3
	s_and_b32 vcc_lo, exec_lo, s0
	s_wait_alu 0xfffe
	s_add_nc_u64 s[26:27], s[10:11], s[22:23]
	s_add_nc_u64 s[28:29], s[16:17], s[22:23]
	s_clause 0x1
	global_load_b64 v[6:7], v30, s[26:27]
	global_load_b64 v[8:9], v30, s[28:29]
	s_cbranch_vccnz .LBB278_6
; %bb.4:                                ;   in Loop: Header=BB278_3 Depth=1
	s_add_nc_u64 s[26:27], s[42:43], s[22:23]
	s_add_nc_u64 s[22:23], s[48:49], s[22:23]
	s_clause 0x1
	global_load_b64 v[10:11], v30, s[26:27]
	global_load_b64 v[12:13], v30, s[22:23]
	v_mov_b32_e32 v16, 0
	v_mov_b32_e32 v20, 0
	;; [unrolled: 1-line block ×3, first 2 shown]
	v_dual_mov_b32 v28, 0 :: v_dual_mov_b32 v17, 0
	v_dual_mov_b32 v14, 0 :: v_dual_mov_b32 v21, 0
	;; [unrolled: 1-line block ×5, first 2 shown]
	v_mov_b32_e32 v19, 0
	v_mov_b32_e32 v23, 0
	;; [unrolled: 1-line block ×3, first 2 shown]
	s_mov_b64 s[22:23], 0
	s_wait_loadcnt 0x1
	v_add_co_u32 v10, vcc_lo, v10, v36
	s_wait_alu 0xfffd
	v_add_co_ci_u32_e64 v11, null, v11, v35, vcc_lo
	s_wait_loadcnt 0x0
	v_add_co_u32 v12, vcc_lo, v12, v37
	s_wait_alu 0xfffd
	v_add_co_ci_u32_e64 v13, null, v13, v38, vcc_lo
.LBB278_5:                              ;   Parent Loop BB278_3 Depth=1
                                        ; =>  This Inner Loop Header: Depth=2
	flat_load_b128 v[39:42], v[10:11] offset:-8
	flat_load_b128 v[43:46], v[12:13]
	s_wait_alu 0xfffe
	s_add_nc_u64 s[22:23], s[22:23], 8
	v_add_co_u32 v10, vcc_lo, 0x80, v10
	s_wait_alu 0xfffe
	v_cmp_lt_i64_e64 s25, s[22:23], s[36:37]
	s_wait_alu 0xfffd
	v_add_co_ci_u32_e64 v11, null, 0, v11, vcc_lo
	v_add_co_u32 v12, vcc_lo, v12, s4
	s_wait_alu 0xfffd
	v_add_co_ci_u32_e64 v13, null, s5, v13, vcc_lo
	s_and_b32 vcc_lo, exec_lo, s25
	s_wait_loadcnt_dscnt 0x101
	v_xor_b32_e32 v42, 0x80000000, v42
	ds_store_b128 v33, v[39:42]
	s_wait_loadcnt_dscnt 0x1
	ds_store_2addr_b64 v34, v[43:44], v[45:46] offset1:1
	s_wait_dscnt 0x0
	s_barrier_signal -1
	s_barrier_wait -1
	global_inv scope:SCOPE_SE
	ds_load_b128 v[39:42], v32
	ds_load_b128 v[43:46], v31
	ds_load_b128 v[47:50], v31 offset:256
	ds_load_b128 v[51:54], v32 offset:2048
	;; [unrolled: 1-line block ×13, first 2 shown]
	s_wait_dscnt 0xd
	v_mul_f64_e32 v[99:100], v[41:42], v[45:46]
	v_mul_f64_e32 v[101:102], v[39:40], v[45:46]
	s_wait_dscnt 0xc
	v_mul_f64_e32 v[103:104], v[41:42], v[49:50]
	v_mul_f64_e32 v[105:106], v[39:40], v[49:50]
	;; [unrolled: 3-line block ×3, first 2 shown]
	v_mul_f64_e32 v[109:110], v[53:54], v[49:50]
	v_mul_f64_e32 v[49:50], v[51:52], v[49:50]
	s_wait_dscnt 0x9
	v_mul_f64_e32 v[111:112], v[57:58], v[61:62]
	v_mul_f64_e32 v[113:114], v[55:56], v[61:62]
	s_wait_dscnt 0x7
	v_mul_f64_e32 v[115:116], v[57:58], v[69:70]
	v_mul_f64_e32 v[117:118], v[55:56], v[69:70]
	v_mul_f64_e32 v[119:120], v[65:66], v[61:62]
	v_mul_f64_e32 v[61:62], v[63:64], v[61:62]
	v_mul_f64_e32 v[121:122], v[65:66], v[69:70]
	v_mul_f64_e32 v[69:70], v[63:64], v[69:70]
	s_wait_dscnt 0x3
	v_mul_f64_e32 v[125:126], v[71:72], v[85:86]
	s_wait_dscnt 0x1
	v_mul_f64_e32 v[127:128], v[93:94], v[81:82]
	v_mul_f64_e32 v[129:130], v[93:94], v[85:86]
	v_fma_f64 v[99:100], v[39:40], v[43:44], -v[99:100]
	v_fma_f64 v[101:102], v[41:42], v[43:44], v[101:102]
	v_fma_f64 v[103:104], v[39:40], v[47:48], -v[103:104]
	v_fma_f64 v[105:106], v[41:42], v[47:48], v[105:106]
	;; [unrolled: 2-line block ×4, first 2 shown]
	v_mul_f64_e32 v[49:50], v[73:74], v[81:82]
	v_mul_f64_e32 v[53:54], v[71:72], v[81:82]
	;; [unrolled: 1-line block ×5, first 2 shown]
	v_fma_f64 v[111:112], v[55:56], v[59:60], -v[111:112]
	v_fma_f64 v[113:114], v[57:58], v[59:60], v[113:114]
	v_fma_f64 v[55:56], v[55:56], v[67:68], -v[115:116]
	v_fma_f64 v[57:58], v[57:58], v[67:68], v[117:118]
	;; [unrolled: 2-line block ×4, first 2 shown]
	ds_load_b128 v[39:42], v31 offset:1792
	ds_load_b128 v[43:46], v32 offset:64
	v_mul_f64_e32 v[69:70], v[77:78], v[89:90]
	v_add_f64_e32 v[26:27], v[26:27], v[99:100]
	v_add_f64_e32 v[28:29], v[101:102], v[28:29]
	;; [unrolled: 1-line block ×8, first 2 shown]
	v_mul_f64_e32 v[99:100], v[75:76], v[89:90]
	s_wait_dscnt 0x1
	v_mul_f64_e32 v[101:102], v[77:78], v[41:42]
	v_mul_f64_e32 v[103:104], v[75:76], v[41:42]
	;; [unrolled: 1-line block ×6, first 2 shown]
	v_fma_f64 v[117:118], v[71:72], v[79:80], -v[49:50]
	v_fma_f64 v[119:120], v[73:74], v[79:80], v[53:54]
	v_fma_f64 v[71:72], v[71:72], v[83:84], -v[109:110]
	v_fma_f64 v[73:74], v[73:74], v[83:84], v[125:126]
	;; [unrolled: 2-line block ×4, first 2 shown]
	ds_load_b128 v[14:17], v31 offset:2048
	ds_load_b128 v[18:21], v31 offset:2304
	v_fma_f64 v[69:70], v[75:76], v[87:88], -v[69:70]
	v_add_f64_e32 v[85:86], v[26:27], v[111:112]
	v_add_f64_e32 v[91:92], v[113:114], v[28:29]
	;; [unrolled: 1-line block ×8, first 2 shown]
	ds_load_b128 v[22:25], v32 offset:2112
	ds_load_b128 v[26:29], v32 offset:80
	;; [unrolled: 1-line block ×4, first 2 shown]
	s_wait_dscnt 0x5
	v_mul_f64_e32 v[67:68], v[45:46], v[16:17]
	v_mul_f64_e32 v[93:94], v[43:44], v[16:17]
	s_wait_dscnt 0x4
	v_mul_f64_e32 v[111:112], v[45:46], v[20:21]
	v_mul_f64_e32 v[113:114], v[43:44], v[20:21]
	v_fma_f64 v[99:100], v[77:78], v[87:88], v[99:100]
	v_fma_f64 v[75:76], v[75:76], v[39:40], -v[101:102]
	v_fma_f64 v[77:78], v[77:78], v[39:40], v[103:104]
	v_fma_f64 v[101:102], v[95:96], v[87:88], -v[105:106]
	;; [unrolled: 2-line block ×3, first 2 shown]
	v_fma_f64 v[95:96], v[97:98], v[39:40], v[41:42]
	s_wait_dscnt 0x3
	v_mul_f64_e32 v[115:116], v[24:25], v[16:17]
	v_mul_f64_e32 v[16:17], v[22:23], v[16:17]
	;; [unrolled: 1-line block ×4, first 2 shown]
	s_wait_dscnt 0x1
	v_mul_f64_e32 v[103:104], v[28:29], v[49:50]
	v_mul_f64_e32 v[105:106], v[26:27], v[49:50]
	v_add_f64_e32 v[85:86], v[85:86], v[117:118]
	v_add_f64_e32 v[91:92], v[119:120], v[91:92]
	;; [unrolled: 1-line block ×8, first 2 shown]
	ds_load_b128 v[39:42], v31 offset:2816
	ds_load_b128 v[55:58], v32 offset:96
	;; [unrolled: 1-line block ×4, first 2 shown]
	s_wait_dscnt 0x4
	v_mul_f64_e32 v[117:118], v[53:54], v[49:50]
	v_mul_f64_e32 v[49:50], v[51:52], v[49:50]
	v_fma_f64 v[67:68], v[43:44], v[14:15], -v[67:68]
	v_fma_f64 v[93:94], v[45:46], v[14:15], v[93:94]
	v_fma_f64 v[111:112], v[43:44], v[18:19], -v[111:112]
	v_fma_f64 v[45:46], v[45:46], v[18:19], v[113:114]
	s_wait_dscnt 0x3
	v_mul_f64_e32 v[107:108], v[28:29], v[41:42]
	v_mul_f64_e32 v[109:110], v[26:27], v[41:42]
	;; [unrolled: 1-line block ×4, first 2 shown]
	v_fma_f64 v[113:114], v[22:23], v[14:15], -v[115:116]
	v_fma_f64 v[115:116], v[24:25], v[14:15], v[16:17]
	v_fma_f64 v[121:122], v[22:23], v[18:19], -v[121:122]
	v_fma_f64 v[125:126], v[24:25], v[18:19], v[20:21]
	ds_load_b128 v[14:17], v32 offset:2144
	ds_load_b128 v[18:21], v32 offset:112
	;; [unrolled: 1-line block ×4, first 2 shown]
	v_add_f64_e32 v[69:70], v[85:86], v[69:70]
	v_add_f64_e32 v[85:86], v[99:100], v[91:92]
	;; [unrolled: 1-line block ×8, first 2 shown]
	s_wait_dscnt 0x5
	v_mul_f64_e32 v[83:84], v[57:58], v[61:62]
	v_mul_f64_e32 v[87:88], v[55:56], v[61:62]
	s_wait_dscnt 0x4
	v_mul_f64_e32 v[89:90], v[57:58], v[65:66]
	v_mul_f64_e32 v[91:92], v[55:56], v[65:66]
	;; [unrolled: 3-line block ×3, first 2 shown]
	v_mul_f64_e32 v[97:98], v[16:17], v[65:66]
	v_mul_f64_e32 v[65:66], v[14:15], v[65:66]
	v_fma_f64 v[99:100], v[26:27], v[47:48], -v[103:104]
	v_fma_f64 v[101:102], v[28:29], v[47:48], v[105:106]
	v_fma_f64 v[103:104], v[26:27], v[39:40], -v[107:108]
	v_fma_f64 v[105:106], v[28:29], v[39:40], v[109:110]
	;; [unrolled: 2-line block ×4, first 2 shown]
	ds_load_b128 v[26:29], v31 offset:3840
	s_wait_loadcnt_dscnt 0x0
	s_barrier_signal -1
	s_barrier_wait -1
	global_inv scope:SCOPE_SE
	v_add_f64_e32 v[51:52], v[69:70], v[67:68]
	v_add_f64_e32 v[53:54], v[93:94], v[85:86]
	;; [unrolled: 1-line block ×8, first 2 shown]
	v_mul_f64_e32 v[77:78], v[20:21], v[24:25]
	v_mul_f64_e32 v[79:80], v[18:19], v[24:25]
	;; [unrolled: 1-line block ×4, first 2 shown]
	v_fma_f64 v[83:84], v[55:56], v[59:60], -v[83:84]
	v_mul_f64_e32 v[81:82], v[20:21], v[28:29]
	v_mul_f64_e32 v[85:86], v[18:19], v[28:29]
	;; [unrolled: 1-line block ×4, first 2 shown]
	v_fma_f64 v[87:88], v[57:58], v[59:60], v[87:88]
	v_fma_f64 v[55:56], v[55:56], v[63:64], -v[89:90]
	v_fma_f64 v[57:58], v[57:58], v[63:64], v[91:92]
	v_fma_f64 v[89:90], v[14:15], v[59:60], -v[95:96]
	;; [unrolled: 2-line block ×3, first 2 shown]
	v_fma_f64 v[16:17], v[16:17], v[63:64], v[65:66]
	v_add_f64_e32 v[51:52], v[51:52], v[99:100]
	v_add_f64_e32 v[53:54], v[101:102], v[53:54]
	;; [unrolled: 1-line block ×8, first 2 shown]
	v_fma_f64 v[65:66], v[18:19], v[22:23], -v[77:78]
	v_fma_f64 v[67:68], v[20:21], v[22:23], v[79:80]
	v_fma_f64 v[69:70], v[41:42], v[22:23], -v[93:94]
	v_fma_f64 v[71:72], v[43:44], v[22:23], v[24:25]
	;; [unrolled: 2-line block ×4, first 2 shown]
	v_add_f64_e32 v[22:23], v[51:52], v[83:84]
	v_add_f64_e32 v[24:25], v[87:88], v[53:54]
	;; [unrolled: 1-line block ×16, first 2 shown]
	s_wait_alu 0xfffe
	s_cbranch_vccnz .LBB278_5
	s_branch .LBB278_7
.LBB278_6:                              ;   in Loop: Header=BB278_3 Depth=1
	v_mov_b32_e32 v26, 0
	v_mov_b32_e32 v22, 0
	;; [unrolled: 1-line block ×3, first 2 shown]
	v_dual_mov_b32 v14, 0 :: v_dual_mov_b32 v27, 0
	v_dual_mov_b32 v28, 0 :: v_dual_mov_b32 v23, 0
	;; [unrolled: 1-line block ×5, first 2 shown]
	v_mov_b32_e32 v25, 0
	v_mov_b32_e32 v21, 0
	;; [unrolled: 1-line block ×3, first 2 shown]
.LBB278_7:                              ;   in Loop: Header=BB278_3 Depth=1
	s_wait_loadcnt 0x0
	v_add_co_u32 v12, vcc_lo, v8, s12
	s_wait_alu 0xfffd
	v_add_co_ci_u32_e64 v13, null, s13, v9, vcc_lo
	s_and_not1_b32 vcc_lo, exec_lo, s1
	s_mov_b32 s22, -1
                                        ; implicit-def: $vgpr8_vgpr9
                                        ; implicit-def: $vgpr10_vgpr11
	s_wait_alu 0xfffe
	s_cbranch_vccz .LBB278_9
; %bb.8:                                ;   in Loop: Header=BB278_3 Depth=1
	s_and_not1_b32 vcc_lo, exec_lo, s22
	s_wait_alu 0xfffe
	s_cbranch_vccnz .LBB278_2
	s_branch .LBB278_10
.LBB278_9:                              ;   in Loop: Header=BB278_3 Depth=1
	v_mul_f64_e32 v[8:9], s[40:41], v[28:29]
	v_mul_f64_e32 v[10:11], s[38:39], v[28:29]
	;; [unrolled: 1-line block ×8, first 2 shown]
	v_fma_f64 v[39:40], s[38:39], v[26:27], -v[8:9]
	v_fma_f64 v[41:42], s[40:41], v[26:27], v[10:11]
	v_fma_f64 v[8:9], s[40:41], v[14:15], v[53:54]
	v_fma_f64 v[43:44], s[38:39], v[22:23], -v[43:44]
	v_fma_f64 v[45:46], s[40:41], v[22:23], v[45:46]
	v_fma_f64 v[47:48], s[38:39], v[18:19], -v[47:48]
	;; [unrolled: 2-line block ×3, first 2 shown]
	v_lshlrev_b64_e32 v[10:11], 4, v[2:3]
	s_delay_alu instid0(VALU_DEP_1) | instskip(SKIP_1) | instid1(VALU_DEP_2)
	v_add_co_u32 v55, vcc_lo, v12, v10
	s_wait_alu 0xfffd
	v_add_co_ci_u32_e64 v56, null, v13, v11, vcc_lo
	v_lshlrev_b64_e32 v[10:11], 4, v[0:1]
	s_delay_alu instid0(VALU_DEP_3) | instskip(SKIP_1) | instid1(VALU_DEP_3)
	v_add_co_u32 v53, vcc_lo, v55, s20
	s_wait_alu 0xfffd
	v_add_co_ci_u32_e64 v54, null, s21, v56, vcc_lo
	s_delay_alu instid0(VALU_DEP_2) | instskip(SKIP_1) | instid1(VALU_DEP_2)
	v_add_co_u32 v53, vcc_lo, v53, v10
	s_wait_alu 0xfffd
	v_add_co_ci_u32_e64 v54, null, v54, v11, vcc_lo
	v_add_co_u32 v55, vcc_lo, v55, v10
	s_wait_alu 0xfffd
	v_add_co_ci_u32_e64 v56, null, v56, v11, vcc_lo
	;; [unrolled: 3-line block ×3, first 2 shown]
	s_clause 0x3
	flat_store_b128 v[55:56], v[39:42]
	flat_store_b128 v[55:56], v[43:46] offset:256
	flat_store_b128 v[53:54], v[47:50]
	flat_store_b64 v[53:54], v[51:52] offset:256
	s_cbranch_execnz .LBB278_2
.LBB278_10:                             ;   in Loop: Header=BB278_3 Depth=1
	v_add_co_u32 v6, vcc_lo, v6, s14
	s_wait_alu 0xfffd
	v_add_co_ci_u32_e64 v7, null, s15, v7, vcc_lo
	v_lshlrev_b64_e32 v[10:11], 4, v[0:1]
	s_delay_alu instid0(VALU_DEP_3) | instskip(SKIP_1) | instid1(VALU_DEP_3)
	v_add_co_u32 v45, vcc_lo, v6, v4
	s_wait_alu 0xfffd
	v_add_co_ci_u32_e64 v46, null, v7, v5, vcc_lo
	v_mul_f64_e32 v[41:42], s[40:41], v[28:29]
	s_delay_alu instid0(VALU_DEP_3) | instskip(SKIP_1) | instid1(VALU_DEP_3)
	v_add_co_u32 v39, vcc_lo, v45, v10
	s_wait_alu 0xfffd
	v_add_co_ci_u32_e64 v40, null, v46, v11, vcc_lo
	v_mul_f64_e32 v[28:29], s[38:39], v[28:29]
	flat_load_b128 v[6:9], v[39:40]
	v_fma_f64 v[41:42], s[38:39], v[26:27], -v[41:42]
	v_fma_f64 v[26:27], s[40:41], v[26:27], v[28:29]
	s_wait_loadcnt_dscnt 0x0
	v_mul_f64_e32 v[43:44], s[8:9], v[8:9]
	v_mul_f64_e32 v[8:9], s[6:7], v[8:9]
	s_delay_alu instid0(VALU_DEP_2) | instskip(NEXT) | instid1(VALU_DEP_2)
	v_fma_f64 v[28:29], s[6:7], v[6:7], -v[43:44]
	v_fma_f64 v[8:9], s[8:9], v[6:7], v[8:9]
	s_delay_alu instid0(VALU_DEP_2) | instskip(NEXT) | instid1(VALU_DEP_2)
	v_add_f64_e32 v[6:7], v[41:42], v[28:29]
	v_add_f64_e32 v[8:9], v[26:27], v[8:9]
	v_lshlrev_b64_e32 v[26:27], 4, v[2:3]
	s_delay_alu instid0(VALU_DEP_1) | instskip(SKIP_1) | instid1(VALU_DEP_2)
	v_add_co_u32 v41, vcc_lo, v12, v26
	s_wait_alu 0xfffd
	v_add_co_ci_u32_e64 v42, null, v13, v27, vcc_lo
	v_mul_f64_e32 v[26:27], s[40:41], v[24:25]
	s_delay_alu instid0(VALU_DEP_3) | instskip(SKIP_1) | instid1(VALU_DEP_3)
	v_add_co_u32 v12, vcc_lo, v41, v10
	s_wait_alu 0xfffd
	v_add_co_ci_u32_e64 v13, null, v42, v11, vcc_lo
	v_mul_f64_e32 v[24:25], s[38:39], v[24:25]
	flat_store_b128 v[12:13], v[6:9]
	flat_load_b128 v[6:9], v[39:40] offset:256
	v_fma_f64 v[26:27], s[38:39], v[22:23], -v[26:27]
	v_fma_f64 v[22:23], s[40:41], v[22:23], v[24:25]
	s_wait_loadcnt_dscnt 0x0
	v_mul_f64_e32 v[28:29], s[8:9], v[8:9]
	v_mul_f64_e32 v[8:9], s[6:7], v[8:9]
	s_delay_alu instid0(VALU_DEP_2) | instskip(NEXT) | instid1(VALU_DEP_2)
	v_fma_f64 v[24:25], s[6:7], v[6:7], -v[28:29]
	v_fma_f64 v[8:9], s[8:9], v[6:7], v[8:9]
	s_delay_alu instid0(VALU_DEP_2) | instskip(NEXT) | instid1(VALU_DEP_2)
	v_add_f64_e32 v[6:7], v[26:27], v[24:25]
	v_add_f64_e32 v[8:9], v[22:23], v[8:9]
	v_add_co_u32 v22, vcc_lo, v45, s18
	s_wait_alu 0xfffd
	v_add_co_ci_u32_e64 v23, null, s19, v46, vcc_lo
	s_delay_alu instid0(VALU_DEP_2) | instskip(SKIP_1) | instid1(VALU_DEP_2)
	v_add_co_u32 v22, vcc_lo, v22, v10
	s_wait_alu 0xfffd
	v_add_co_ci_u32_e64 v23, null, v23, v11, vcc_lo
	flat_store_b128 v[12:13], v[6:9] offset:256
	flat_load_b128 v[6:9], v[22:23]
	v_mul_f64_e32 v[12:13], s[40:41], v[20:21]
	v_mul_f64_e32 v[20:21], s[38:39], v[20:21]
	s_delay_alu instid0(VALU_DEP_2) | instskip(NEXT) | instid1(VALU_DEP_2)
	v_fma_f64 v[12:13], s[38:39], v[18:19], -v[12:13]
	v_fma_f64 v[18:19], s[40:41], v[18:19], v[20:21]
	s_wait_loadcnt_dscnt 0x0
	v_mul_f64_e32 v[24:25], s[8:9], v[8:9]
	v_mul_f64_e32 v[8:9], s[6:7], v[8:9]
	s_delay_alu instid0(VALU_DEP_2) | instskip(NEXT) | instid1(VALU_DEP_2)
	v_fma_f64 v[20:21], s[6:7], v[6:7], -v[24:25]
	v_fma_f64 v[8:9], s[8:9], v[6:7], v[8:9]
	s_delay_alu instid0(VALU_DEP_2) | instskip(NEXT) | instid1(VALU_DEP_2)
	v_add_f64_e32 v[6:7], v[12:13], v[20:21]
	v_add_f64_e32 v[8:9], v[18:19], v[8:9]
	v_add_co_u32 v12, vcc_lo, v41, s20
	s_wait_alu 0xfffd
	v_add_co_ci_u32_e64 v13, null, s21, v42, vcc_lo
	s_delay_alu instid0(VALU_DEP_2) | instskip(SKIP_1) | instid1(VALU_DEP_2)
	v_add_co_u32 v12, vcc_lo, v12, v10
	s_wait_alu 0xfffd
	v_add_co_ci_u32_e64 v13, null, v13, v11, vcc_lo
	v_mul_f64_e32 v[10:11], s[40:41], v[16:17]
	v_mul_f64_e32 v[16:17], s[38:39], v[16:17]
	flat_store_b128 v[12:13], v[6:9]
	flat_load_b128 v[6:9], v[22:23] offset:256
	v_fma_f64 v[10:11], s[38:39], v[14:15], -v[10:11]
	v_fma_f64 v[14:15], s[40:41], v[14:15], v[16:17]
	s_wait_loadcnt_dscnt 0x0
	v_mul_f64_e32 v[18:19], s[8:9], v[8:9]
	v_mul_f64_e32 v[8:9], s[6:7], v[8:9]
	s_delay_alu instid0(VALU_DEP_2) | instskip(NEXT) | instid1(VALU_DEP_2)
	v_fma_f64 v[16:17], s[6:7], v[6:7], -v[18:19]
	v_fma_f64 v[6:7], s[8:9], v[6:7], v[8:9]
	s_delay_alu instid0(VALU_DEP_2) | instskip(NEXT) | instid1(VALU_DEP_2)
	v_add_f64_e32 v[16:17], v[10:11], v[16:17]
	v_add_f64_e32 v[8:9], v[14:15], v[6:7]
	v_add_co_u32 v10, vcc_lo, 0x100, v12
	s_wait_alu 0xfffd
	v_add_co_ci_u32_e64 v11, null, 0, v13, vcc_lo
	flat_store_b64 v[12:13], v[16:17] offset:256
	s_branch .LBB278_2
.LBB278_11:
	s_nop 0
	s_sendmsg sendmsg(MSG_DEALLOC_VGPRS)
	s_endpgm
	.section	.rodata,"a",@progbits
	.p2align	6, 0x0
	.amdhsa_kernel _ZN12_GLOBAL__N_127rocblas_gemm_batched_kernelI19rocblas_complex_numIdELi16ELi16ELi32ELi32ELi8ELi32ELi8ELi8ELi32ELc67ELc84EKPKS2_S5_KPS2_EEvlllT_PT11_llSA_llS8_PT12_llPT13_lli
		.amdhsa_group_segment_fixed_size 8192
		.amdhsa_private_segment_fixed_size 0
		.amdhsa_kernarg_size 156
		.amdhsa_user_sgpr_count 2
		.amdhsa_user_sgpr_dispatch_ptr 0
		.amdhsa_user_sgpr_queue_ptr 0
		.amdhsa_user_sgpr_kernarg_segment_ptr 1
		.amdhsa_user_sgpr_dispatch_id 0
		.amdhsa_user_sgpr_private_segment_size 0
		.amdhsa_wavefront_size32 1
		.amdhsa_uses_dynamic_stack 0
		.amdhsa_enable_private_segment 0
		.amdhsa_system_sgpr_workgroup_id_x 1
		.amdhsa_system_sgpr_workgroup_id_y 1
		.amdhsa_system_sgpr_workgroup_id_z 1
		.amdhsa_system_sgpr_workgroup_info 0
		.amdhsa_system_vgpr_workitem_id 1
		.amdhsa_next_free_vgpr 131
		.amdhsa_next_free_sgpr 52
		.amdhsa_reserve_vcc 1
		.amdhsa_float_round_mode_32 0
		.amdhsa_float_round_mode_16_64 0
		.amdhsa_float_denorm_mode_32 3
		.amdhsa_float_denorm_mode_16_64 3
		.amdhsa_fp16_overflow 0
		.amdhsa_workgroup_processor_mode 1
		.amdhsa_memory_ordered 1
		.amdhsa_forward_progress 1
		.amdhsa_inst_pref_size 26
		.amdhsa_round_robin_scheduling 0
		.amdhsa_exception_fp_ieee_invalid_op 0
		.amdhsa_exception_fp_denorm_src 0
		.amdhsa_exception_fp_ieee_div_zero 0
		.amdhsa_exception_fp_ieee_overflow 0
		.amdhsa_exception_fp_ieee_underflow 0
		.amdhsa_exception_fp_ieee_inexact 0
		.amdhsa_exception_int_div_zero 0
	.end_amdhsa_kernel
	.section	.text._ZN12_GLOBAL__N_127rocblas_gemm_batched_kernelI19rocblas_complex_numIdELi16ELi16ELi32ELi32ELi8ELi32ELi8ELi8ELi32ELc67ELc84EKPKS2_S5_KPS2_EEvlllT_PT11_llSA_llS8_PT12_llPT13_lli,"axG",@progbits,_ZN12_GLOBAL__N_127rocblas_gemm_batched_kernelI19rocblas_complex_numIdELi16ELi16ELi32ELi32ELi8ELi32ELi8ELi8ELi32ELc67ELc84EKPKS2_S5_KPS2_EEvlllT_PT11_llSA_llS8_PT12_llPT13_lli,comdat
.Lfunc_end278:
	.size	_ZN12_GLOBAL__N_127rocblas_gemm_batched_kernelI19rocblas_complex_numIdELi16ELi16ELi32ELi32ELi8ELi32ELi8ELi8ELi32ELc67ELc84EKPKS2_S5_KPS2_EEvlllT_PT11_llSA_llS8_PT12_llPT13_lli, .Lfunc_end278-_ZN12_GLOBAL__N_127rocblas_gemm_batched_kernelI19rocblas_complex_numIdELi16ELi16ELi32ELi32ELi8ELi32ELi8ELi8ELi32ELc67ELc84EKPKS2_S5_KPS2_EEvlllT_PT11_llSA_llS8_PT12_llPT13_lli
                                        ; -- End function
	.set _ZN12_GLOBAL__N_127rocblas_gemm_batched_kernelI19rocblas_complex_numIdELi16ELi16ELi32ELi32ELi8ELi32ELi8ELi8ELi32ELc67ELc84EKPKS2_S5_KPS2_EEvlllT_PT11_llSA_llS8_PT12_llPT13_lli.num_vgpr, 131
	.set _ZN12_GLOBAL__N_127rocblas_gemm_batched_kernelI19rocblas_complex_numIdELi16ELi16ELi32ELi32ELi8ELi32ELi8ELi8ELi32ELc67ELc84EKPKS2_S5_KPS2_EEvlllT_PT11_llSA_llS8_PT12_llPT13_lli.num_agpr, 0
	.set _ZN12_GLOBAL__N_127rocblas_gemm_batched_kernelI19rocblas_complex_numIdELi16ELi16ELi32ELi32ELi8ELi32ELi8ELi8ELi32ELc67ELc84EKPKS2_S5_KPS2_EEvlllT_PT11_llSA_llS8_PT12_llPT13_lli.numbered_sgpr, 52
	.set _ZN12_GLOBAL__N_127rocblas_gemm_batched_kernelI19rocblas_complex_numIdELi16ELi16ELi32ELi32ELi8ELi32ELi8ELi8ELi32ELc67ELc84EKPKS2_S5_KPS2_EEvlllT_PT11_llSA_llS8_PT12_llPT13_lli.num_named_barrier, 0
	.set _ZN12_GLOBAL__N_127rocblas_gemm_batched_kernelI19rocblas_complex_numIdELi16ELi16ELi32ELi32ELi8ELi32ELi8ELi8ELi32ELc67ELc84EKPKS2_S5_KPS2_EEvlllT_PT11_llSA_llS8_PT12_llPT13_lli.private_seg_size, 0
	.set _ZN12_GLOBAL__N_127rocblas_gemm_batched_kernelI19rocblas_complex_numIdELi16ELi16ELi32ELi32ELi8ELi32ELi8ELi8ELi32ELc67ELc84EKPKS2_S5_KPS2_EEvlllT_PT11_llSA_llS8_PT12_llPT13_lli.uses_vcc, 1
	.set _ZN12_GLOBAL__N_127rocblas_gemm_batched_kernelI19rocblas_complex_numIdELi16ELi16ELi32ELi32ELi8ELi32ELi8ELi8ELi32ELc67ELc84EKPKS2_S5_KPS2_EEvlllT_PT11_llSA_llS8_PT12_llPT13_lli.uses_flat_scratch, 1
	.set _ZN12_GLOBAL__N_127rocblas_gemm_batched_kernelI19rocblas_complex_numIdELi16ELi16ELi32ELi32ELi8ELi32ELi8ELi8ELi32ELc67ELc84EKPKS2_S5_KPS2_EEvlllT_PT11_llSA_llS8_PT12_llPT13_lli.has_dyn_sized_stack, 0
	.set _ZN12_GLOBAL__N_127rocblas_gemm_batched_kernelI19rocblas_complex_numIdELi16ELi16ELi32ELi32ELi8ELi32ELi8ELi8ELi32ELc67ELc84EKPKS2_S5_KPS2_EEvlllT_PT11_llSA_llS8_PT12_llPT13_lli.has_recursion, 0
	.set _ZN12_GLOBAL__N_127rocblas_gemm_batched_kernelI19rocblas_complex_numIdELi16ELi16ELi32ELi32ELi8ELi32ELi8ELi8ELi32ELc67ELc84EKPKS2_S5_KPS2_EEvlllT_PT11_llSA_llS8_PT12_llPT13_lli.has_indirect_call, 0
	.section	.AMDGPU.csdata,"",@progbits
; Kernel info:
; codeLenInByte = 3276
; TotalNumSgprs: 54
; NumVgprs: 131
; ScratchSize: 0
; MemoryBound: 0
; FloatMode: 240
; IeeeMode: 1
; LDSByteSize: 8192 bytes/workgroup (compile time only)
; SGPRBlocks: 0
; VGPRBlocks: 16
; NumSGPRsForWavesPerEU: 54
; NumVGPRsForWavesPerEU: 131
; Occupancy: 10
; WaveLimiterHint : 1
; COMPUTE_PGM_RSRC2:SCRATCH_EN: 0
; COMPUTE_PGM_RSRC2:USER_SGPR: 2
; COMPUTE_PGM_RSRC2:TRAP_HANDLER: 0
; COMPUTE_PGM_RSRC2:TGID_X_EN: 1
; COMPUTE_PGM_RSRC2:TGID_Y_EN: 1
; COMPUTE_PGM_RSRC2:TGID_Z_EN: 1
; COMPUTE_PGM_RSRC2:TIDIG_COMP_CNT: 1
	.section	.text._ZN12_GLOBAL__N_127rocblas_gemm_batched_kernelI19rocblas_complex_numIdELi16ELi16ELi32ELi32ELi8ELi32ELi8ELi8ELi32ELc78ELc67EKPKS2_S5_KPS2_EEvlllT_PT11_llSA_llS8_PT12_llPT13_lli,"axG",@progbits,_ZN12_GLOBAL__N_127rocblas_gemm_batched_kernelI19rocblas_complex_numIdELi16ELi16ELi32ELi32ELi8ELi32ELi8ELi8ELi32ELc78ELc67EKPKS2_S5_KPS2_EEvlllT_PT11_llSA_llS8_PT12_llPT13_lli,comdat
	.globl	_ZN12_GLOBAL__N_127rocblas_gemm_batched_kernelI19rocblas_complex_numIdELi16ELi16ELi32ELi32ELi8ELi32ELi8ELi8ELi32ELc78ELc67EKPKS2_S5_KPS2_EEvlllT_PT11_llSA_llS8_PT12_llPT13_lli ; -- Begin function _ZN12_GLOBAL__N_127rocblas_gemm_batched_kernelI19rocblas_complex_numIdELi16ELi16ELi32ELi32ELi8ELi32ELi8ELi8ELi32ELc78ELc67EKPKS2_S5_KPS2_EEvlllT_PT11_llSA_llS8_PT12_llPT13_lli
	.p2align	8
	.type	_ZN12_GLOBAL__N_127rocblas_gemm_batched_kernelI19rocblas_complex_numIdELi16ELi16ELi32ELi32ELi8ELi32ELi8ELi8ELi32ELc78ELc67EKPKS2_S5_KPS2_EEvlllT_PT11_llSA_llS8_PT12_llPT13_lli,@function
_ZN12_GLOBAL__N_127rocblas_gemm_batched_kernelI19rocblas_complex_numIdELi16ELi16ELi32ELi32ELi8ELi32ELi8ELi8ELi32ELc78ELc67EKPKS2_S5_KPS2_EEvlllT_PT11_llSA_llS8_PT12_llPT13_lli: ; @_ZN12_GLOBAL__N_127rocblas_gemm_batched_kernelI19rocblas_complex_numIdELi16ELi16ELi32ELi32ELi8ELi32ELi8ELi8ELi32ELc78ELc67EKPKS2_S5_KPS2_EEvlllT_PT11_llSA_llS8_PT12_llPT13_lli
; %bb.0:
	s_load_b32 s26, s[0:1], 0x98
	s_lshr_b32 s2, ttmp7, 16
	s_wait_kmcnt 0x0
	s_cmp_ge_i32 s2, s26
	s_cbranch_scc1 .LBB279_11
; %bb.1:
	v_dual_mov_b32 v30, 0 :: v_dual_and_b32 v13, 0x3ff, v0
	v_bfe_u32 v2, v0, 10, 10
	s_clause 0x2
	s_load_b512 s[4:19], s[0:1], 0x50
	s_load_b512 s[36:51], s[0:1], 0x10
	s_load_b64 s[20:21], s[0:1], 0x90
	s_mov_b32 s22, ttmp9
	s_ashr_i32 s23, ttmp9, 31
	s_lshl_b32 s24, ttmp7, 5
	v_lshl_add_u32 v3, v2, 4, v13
	v_and_b32_e32 v8, 7, v0
	s_lshl_b64 s[0:1], s[22:23], 5
	s_and_b32 s22, s24, 0x1fffe0
	v_lshl_add_u32 v32, v2, 7, 0x1000
	v_lshrrev_b32_e32 v7, 3, v3
	v_lshlrev_b32_e32 v6, 4, v8
	v_add_nc_u32_e32 v12, s22, v2
	v_lshrrev_b32_e32 v10, 5, v3
	v_and_b32_e32 v14, 31, v3
	v_add_co_u32 v0, s25, v7, s22
	s_delay_alu instid0(VALU_DEP_1) | instskip(SKIP_3) | instid1(VALU_DEP_3)
	v_add_co_ci_u32_e64 v1, null, 0, 0, s25
	v_lshl_or_b32 v11, v7, 7, v6
	s_wait_kmcnt 0x0
	v_mad_co_u64_u32 v[6:7], null, v12, s12, 0
	v_mad_co_u64_u32 v[4:5], null, s50, v8, v[0:1]
	;; [unrolled: 1-line block ×4, first 2 shown]
	v_lshlrev_b32_e32 v9, 4, v14
	v_cmp_eq_f64_e64 s23, s[6:7], 0
	v_cmp_eq_f64_e64 s24, s[8:9], 0
	v_add_nc_u32_e32 v34, 0x1000, v11
	v_lshlrev_b32_e32 v31, 4, v13
	v_lshl_or_b32 v33, v10, 9, v9
	v_mad_co_u64_u32 v[8:9], null, s51, v8, v[5:6]
	v_mad_co_u64_u32 v[9:10], null, s45, v10, v[3:4]
	;; [unrolled: 1-line block ×3, first 2 shown]
	v_mov_b32_e32 v5, v7
	s_mov_b32 s3, 0
	s_lshl_b64 s[14:15], s[14:15], 4
	s_delay_alu instid0(VALU_DEP_1) | instskip(NEXT) | instid1(VALU_DEP_3)
	v_mad_co_u64_u32 v[11:12], null, v12, s13, v[5:6]
	v_mov_b32_e32 v1, v10
	v_add_co_u32 v7, vcc_lo, v2, v14
	v_mov_b32_e32 v5, v8
	v_add_co_ci_u32_e64 v8, null, 0, v9, vcc_lo
	v_add_co_u32 v2, s0, s0, v13
	s_wait_alu 0xf1ff
	v_add_co_ci_u32_e64 v3, null, s1, 0, s0
	s_delay_alu instid0(VALU_DEP_3) | instskip(SKIP_4) | instid1(VALU_DEP_3)
	v_lshlrev_b64_e32 v[8:9], 4, v[7:8]
	s_lshl_b64 s[0:1], s[46:47], 4
	v_lshlrev_b64_e32 v[4:5], 4, v[4:5]
	v_mov_b32_e32 v7, v11
	s_wait_alu 0xfffe
	v_add_co_u32 v35, vcc_lo, s0, v8
	s_wait_alu 0xfffd
	v_add_co_ci_u32_e64 v36, null, s1, v9, vcc_lo
	s_lshl_b64 s[0:1], s[4:5], 4
	s_and_b32 s27, s23, s24
	s_wait_alu 0xfffe
	v_add_co_u32 v4, vcc_lo, s0, v4
	v_cmp_gt_i64_e64 s0, s[36:37], 0
	s_wait_alu 0xfffd
	v_add_co_ci_u32_e64 v37, null, s1, v5, vcc_lo
	s_delay_alu instid0(VALU_DEP_3)
	v_or_b32_e32 v38, 8, v4
	v_lshlrev_b64_e32 v[4:5], 4, v[6:7]
	s_lshl_b64 s[22:23], s[18:19], 4
	v_cndmask_b32_e64 v8, 0, 1, s0
	s_lshl_b64 s[24:25], s[12:13], 4
	s_lshl_b64 s[12:13], s[44:45], 7
	;; [unrolled: 1-line block ×4, first 2 shown]
	v_cmp_ne_u32_e64 s0, 1, v8
	s_wait_alu 0xfffe
	s_lshl_b64 s[20:21], s[24:25], 4
	s_lshl_b64 s[22:23], s[22:23], 4
	s_branch .LBB279_3
.LBB279_2:                              ;   in Loop: Header=BB279_3 Depth=1
	s_add_co_i32 s2, s2, 0x10000
	flat_store_b64 v[10:11], v[8:9] offset:8
	s_cmp_lt_i32 s2, s26
	s_cbranch_scc0 .LBB279_11
.LBB279_3:                              ; =>This Loop Header: Depth=1
                                        ;     Child Loop BB279_5 Depth 2
	s_lshl_b64 s[24:25], s[2:3], 3
	s_and_b32 vcc_lo, exec_lo, s0
	s_wait_alu 0xfffe
	s_add_nc_u64 s[28:29], s[10:11], s[24:25]
	s_add_nc_u64 s[30:31], s[16:17], s[24:25]
	s_clause 0x1
	global_load_b64 v[6:7], v30, s[28:29]
	global_load_b64 v[8:9], v30, s[30:31]
	s_cbranch_vccnz .LBB279_6
; %bb.4:                                ;   in Loop: Header=BB279_3 Depth=1
	s_add_nc_u64 s[28:29], s[42:43], s[24:25]
	s_add_nc_u64 s[24:25], s[48:49], s[24:25]
	s_clause 0x1
	global_load_b64 v[10:11], v30, s[28:29]
	global_load_b64 v[12:13], v30, s[24:25]
	v_mov_b32_e32 v16, 0
	v_mov_b32_e32 v20, 0
	;; [unrolled: 1-line block ×3, first 2 shown]
	v_dual_mov_b32 v28, 0 :: v_dual_mov_b32 v17, 0
	v_dual_mov_b32 v14, 0 :: v_dual_mov_b32 v21, 0
	;; [unrolled: 1-line block ×5, first 2 shown]
	v_mov_b32_e32 v19, 0
	v_mov_b32_e32 v23, 0
	v_mov_b32_e32 v27, 0
	s_mov_b64 s[24:25], 0
	s_wait_loadcnt 0x1
	v_add_co_u32 v10, vcc_lo, v10, v35
	s_wait_alu 0xfffd
	v_add_co_ci_u32_e64 v11, null, v11, v36, vcc_lo
	s_wait_loadcnt 0x0
	v_add_co_u32 v12, vcc_lo, v12, v38
	s_wait_alu 0xfffd
	v_add_co_ci_u32_e64 v13, null, v13, v37, vcc_lo
.LBB279_5:                              ;   Parent Loop BB279_3 Depth=1
                                        ; =>  This Inner Loop Header: Depth=2
	flat_load_b128 v[39:42], v[10:11]
	s_wait_alu 0xfffe
	s_add_nc_u64 s[24:25], s[24:25], 8
	v_add_co_u32 v10, vcc_lo, v10, s12
	s_wait_alu 0xfffe
	v_cmp_lt_i64_e64 s1, s[24:25], s[36:37]
	s_wait_alu 0xfffd
	v_add_co_ci_u32_e64 v11, null, s13, v11, vcc_lo
	s_and_b32 vcc_lo, exec_lo, s1
	s_wait_loadcnt_dscnt 0x0
	ds_store_2addr_b64 v33, v[39:40], v[41:42] offset1:1
	flat_load_b128 v[39:42], v[12:13] offset:-8
	v_add_co_u32 v12, s1, v12, s4
	s_wait_alu 0xf1ff
	v_add_co_ci_u32_e64 v13, null, s5, v13, s1
	s_wait_loadcnt_dscnt 0x0
	v_xor_b32_e32 v42, 0x80000000, v42
	ds_store_b128 v34, v[39:42]
	s_wait_dscnt 0x0
	s_barrier_signal -1
	s_barrier_wait -1
	global_inv scope:SCOPE_SE
	ds_load_b128 v[39:42], v32
	ds_load_b128 v[43:46], v31
	ds_load_b128 v[47:50], v31 offset:256
	ds_load_b128 v[51:54], v32 offset:2048
	;; [unrolled: 1-line block ×13, first 2 shown]
	s_wait_dscnt 0xd
	v_mul_f64_e32 v[99:100], v[41:42], v[45:46]
	v_mul_f64_e32 v[101:102], v[39:40], v[45:46]
	s_wait_dscnt 0xc
	v_mul_f64_e32 v[103:104], v[41:42], v[49:50]
	v_mul_f64_e32 v[105:106], v[39:40], v[49:50]
	;; [unrolled: 3-line block ×3, first 2 shown]
	v_mul_f64_e32 v[109:110], v[53:54], v[49:50]
	v_mul_f64_e32 v[49:50], v[51:52], v[49:50]
	s_wait_dscnt 0x9
	v_mul_f64_e32 v[111:112], v[57:58], v[61:62]
	v_mul_f64_e32 v[113:114], v[55:56], v[61:62]
	s_wait_dscnt 0x7
	v_mul_f64_e32 v[115:116], v[57:58], v[69:70]
	v_mul_f64_e32 v[117:118], v[55:56], v[69:70]
	;; [unrolled: 1-line block ×6, first 2 shown]
	s_wait_dscnt 0x3
	v_mul_f64_e32 v[125:126], v[71:72], v[85:86]
	s_wait_dscnt 0x1
	v_mul_f64_e32 v[127:128], v[93:94], v[81:82]
	v_mul_f64_e32 v[129:130], v[93:94], v[85:86]
	v_fma_f64 v[99:100], v[39:40], v[43:44], -v[99:100]
	v_fma_f64 v[101:102], v[41:42], v[43:44], v[101:102]
	v_fma_f64 v[103:104], v[39:40], v[47:48], -v[103:104]
	v_fma_f64 v[105:106], v[41:42], v[47:48], v[105:106]
	;; [unrolled: 2-line block ×4, first 2 shown]
	v_mul_f64_e32 v[49:50], v[73:74], v[81:82]
	v_mul_f64_e32 v[53:54], v[71:72], v[81:82]
	;; [unrolled: 1-line block ×5, first 2 shown]
	v_fma_f64 v[111:112], v[55:56], v[59:60], -v[111:112]
	v_fma_f64 v[113:114], v[57:58], v[59:60], v[113:114]
	v_fma_f64 v[55:56], v[55:56], v[67:68], -v[115:116]
	v_fma_f64 v[57:58], v[57:58], v[67:68], v[117:118]
	;; [unrolled: 2-line block ×4, first 2 shown]
	ds_load_b128 v[39:42], v31 offset:1792
	ds_load_b128 v[43:46], v32 offset:64
	v_mul_f64_e32 v[69:70], v[77:78], v[89:90]
	v_add_f64_e32 v[26:27], v[26:27], v[99:100]
	v_add_f64_e32 v[28:29], v[101:102], v[28:29]
	;; [unrolled: 1-line block ×8, first 2 shown]
	v_mul_f64_e32 v[99:100], v[75:76], v[89:90]
	s_wait_dscnt 0x1
	v_mul_f64_e32 v[101:102], v[77:78], v[41:42]
	v_mul_f64_e32 v[103:104], v[75:76], v[41:42]
	;; [unrolled: 1-line block ×6, first 2 shown]
	v_fma_f64 v[117:118], v[71:72], v[79:80], -v[49:50]
	v_fma_f64 v[119:120], v[73:74], v[79:80], v[53:54]
	v_fma_f64 v[71:72], v[71:72], v[83:84], -v[109:110]
	v_fma_f64 v[73:74], v[73:74], v[83:84], v[125:126]
	;; [unrolled: 2-line block ×4, first 2 shown]
	ds_load_b128 v[14:17], v31 offset:2048
	ds_load_b128 v[18:21], v31 offset:2304
	v_fma_f64 v[69:70], v[75:76], v[87:88], -v[69:70]
	v_add_f64_e32 v[85:86], v[26:27], v[111:112]
	v_add_f64_e32 v[91:92], v[113:114], v[28:29]
	;; [unrolled: 1-line block ×8, first 2 shown]
	ds_load_b128 v[22:25], v32 offset:2112
	ds_load_b128 v[26:29], v32 offset:80
	ds_load_b128 v[47:50], v31 offset:2560
	ds_load_b128 v[51:54], v32 offset:2128
	s_wait_dscnt 0x5
	v_mul_f64_e32 v[67:68], v[45:46], v[16:17]
	v_mul_f64_e32 v[93:94], v[43:44], v[16:17]
	s_wait_dscnt 0x4
	v_mul_f64_e32 v[111:112], v[45:46], v[20:21]
	v_mul_f64_e32 v[113:114], v[43:44], v[20:21]
	v_fma_f64 v[99:100], v[77:78], v[87:88], v[99:100]
	v_fma_f64 v[75:76], v[75:76], v[39:40], -v[101:102]
	v_fma_f64 v[77:78], v[77:78], v[39:40], v[103:104]
	v_fma_f64 v[101:102], v[95:96], v[87:88], -v[105:106]
	;; [unrolled: 2-line block ×3, first 2 shown]
	v_fma_f64 v[95:96], v[97:98], v[39:40], v[41:42]
	s_wait_dscnt 0x3
	v_mul_f64_e32 v[115:116], v[24:25], v[16:17]
	v_mul_f64_e32 v[16:17], v[22:23], v[16:17]
	v_mul_f64_e32 v[121:122], v[24:25], v[20:21]
	v_mul_f64_e32 v[20:21], v[22:23], v[20:21]
	s_wait_dscnt 0x1
	v_mul_f64_e32 v[103:104], v[28:29], v[49:50]
	v_mul_f64_e32 v[105:106], v[26:27], v[49:50]
	v_add_f64_e32 v[85:86], v[85:86], v[117:118]
	v_add_f64_e32 v[91:92], v[119:120], v[91:92]
	;; [unrolled: 1-line block ×8, first 2 shown]
	ds_load_b128 v[39:42], v31 offset:2816
	ds_load_b128 v[55:58], v32 offset:96
	;; [unrolled: 1-line block ×4, first 2 shown]
	s_wait_dscnt 0x4
	v_mul_f64_e32 v[117:118], v[53:54], v[49:50]
	v_mul_f64_e32 v[49:50], v[51:52], v[49:50]
	v_fma_f64 v[67:68], v[43:44], v[14:15], -v[67:68]
	v_fma_f64 v[93:94], v[45:46], v[14:15], v[93:94]
	v_fma_f64 v[111:112], v[43:44], v[18:19], -v[111:112]
	v_fma_f64 v[45:46], v[45:46], v[18:19], v[113:114]
	s_wait_dscnt 0x3
	v_mul_f64_e32 v[107:108], v[28:29], v[41:42]
	v_mul_f64_e32 v[109:110], v[26:27], v[41:42]
	;; [unrolled: 1-line block ×4, first 2 shown]
	v_fma_f64 v[113:114], v[22:23], v[14:15], -v[115:116]
	v_fma_f64 v[115:116], v[24:25], v[14:15], v[16:17]
	v_fma_f64 v[121:122], v[22:23], v[18:19], -v[121:122]
	v_fma_f64 v[125:126], v[24:25], v[18:19], v[20:21]
	ds_load_b128 v[14:17], v32 offset:2144
	ds_load_b128 v[18:21], v32 offset:112
	;; [unrolled: 1-line block ×4, first 2 shown]
	v_add_f64_e32 v[69:70], v[85:86], v[69:70]
	v_add_f64_e32 v[85:86], v[99:100], v[91:92]
	;; [unrolled: 1-line block ×8, first 2 shown]
	s_wait_dscnt 0x5
	v_mul_f64_e32 v[83:84], v[57:58], v[61:62]
	v_mul_f64_e32 v[87:88], v[55:56], v[61:62]
	s_wait_dscnt 0x4
	v_mul_f64_e32 v[89:90], v[57:58], v[65:66]
	v_mul_f64_e32 v[91:92], v[55:56], v[65:66]
	;; [unrolled: 3-line block ×3, first 2 shown]
	v_mul_f64_e32 v[97:98], v[16:17], v[65:66]
	v_mul_f64_e32 v[65:66], v[14:15], v[65:66]
	v_fma_f64 v[99:100], v[26:27], v[47:48], -v[103:104]
	v_fma_f64 v[101:102], v[28:29], v[47:48], v[105:106]
	v_fma_f64 v[103:104], v[26:27], v[39:40], -v[107:108]
	v_fma_f64 v[105:106], v[28:29], v[39:40], v[109:110]
	;; [unrolled: 2-line block ×4, first 2 shown]
	ds_load_b128 v[26:29], v31 offset:3840
	s_wait_loadcnt_dscnt 0x0
	s_barrier_signal -1
	s_barrier_wait -1
	global_inv scope:SCOPE_SE
	v_add_f64_e32 v[51:52], v[69:70], v[67:68]
	v_add_f64_e32 v[53:54], v[93:94], v[85:86]
	;; [unrolled: 1-line block ×8, first 2 shown]
	v_mul_f64_e32 v[77:78], v[20:21], v[24:25]
	v_mul_f64_e32 v[79:80], v[18:19], v[24:25]
	;; [unrolled: 1-line block ×4, first 2 shown]
	v_fma_f64 v[83:84], v[55:56], v[59:60], -v[83:84]
	v_mul_f64_e32 v[81:82], v[20:21], v[28:29]
	v_mul_f64_e32 v[85:86], v[18:19], v[28:29]
	v_mul_f64_e32 v[109:110], v[43:44], v[28:29]
	v_mul_f64_e32 v[28:29], v[41:42], v[28:29]
	v_fma_f64 v[87:88], v[57:58], v[59:60], v[87:88]
	v_fma_f64 v[55:56], v[55:56], v[63:64], -v[89:90]
	v_fma_f64 v[57:58], v[57:58], v[63:64], v[91:92]
	v_fma_f64 v[89:90], v[14:15], v[59:60], -v[95:96]
	;; [unrolled: 2-line block ×3, first 2 shown]
	v_fma_f64 v[16:17], v[16:17], v[63:64], v[65:66]
	v_add_f64_e32 v[51:52], v[51:52], v[99:100]
	v_add_f64_e32 v[53:54], v[101:102], v[53:54]
	;; [unrolled: 1-line block ×8, first 2 shown]
	v_fma_f64 v[65:66], v[18:19], v[22:23], -v[77:78]
	v_fma_f64 v[67:68], v[20:21], v[22:23], v[79:80]
	v_fma_f64 v[69:70], v[41:42], v[22:23], -v[93:94]
	v_fma_f64 v[71:72], v[43:44], v[22:23], v[24:25]
	;; [unrolled: 2-line block ×4, first 2 shown]
	v_add_f64_e32 v[22:23], v[51:52], v[83:84]
	v_add_f64_e32 v[24:25], v[87:88], v[53:54]
	;; [unrolled: 1-line block ×16, first 2 shown]
	s_wait_alu 0xfffe
	s_cbranch_vccnz .LBB279_5
	s_branch .LBB279_7
.LBB279_6:                              ;   in Loop: Header=BB279_3 Depth=1
	v_mov_b32_e32 v26, 0
	v_mov_b32_e32 v22, 0
	;; [unrolled: 1-line block ×3, first 2 shown]
	v_dual_mov_b32 v14, 0 :: v_dual_mov_b32 v27, 0
	v_dual_mov_b32 v28, 0 :: v_dual_mov_b32 v23, 0
	;; [unrolled: 1-line block ×5, first 2 shown]
	v_mov_b32_e32 v25, 0
	v_mov_b32_e32 v21, 0
	;; [unrolled: 1-line block ×3, first 2 shown]
.LBB279_7:                              ;   in Loop: Header=BB279_3 Depth=1
	s_wait_loadcnt 0x0
	v_add_co_u32 v12, vcc_lo, v8, s18
	s_wait_alu 0xfffd
	v_add_co_ci_u32_e64 v13, null, s19, v9, vcc_lo
	s_and_not1_b32 vcc_lo, exec_lo, s27
	s_mov_b32 s1, -1
                                        ; implicit-def: $vgpr8_vgpr9
                                        ; implicit-def: $vgpr10_vgpr11
	s_wait_alu 0xfffe
	s_cbranch_vccz .LBB279_9
; %bb.8:                                ;   in Loop: Header=BB279_3 Depth=1
	s_and_not1_b32 vcc_lo, exec_lo, s1
	s_wait_alu 0xfffe
	s_cbranch_vccnz .LBB279_2
	s_branch .LBB279_10
.LBB279_9:                              ;   in Loop: Header=BB279_3 Depth=1
	v_mul_f64_e32 v[8:9], s[40:41], v[28:29]
	v_mul_f64_e32 v[10:11], s[38:39], v[28:29]
	v_mul_f64_e32 v[53:54], s[38:39], v[16:17]
	v_mul_f64_e32 v[43:44], s[40:41], v[24:25]
	v_mul_f64_e32 v[45:46], s[38:39], v[24:25]
	v_mul_f64_e32 v[47:48], s[40:41], v[20:21]
	v_mul_f64_e32 v[49:50], s[38:39], v[20:21]
	v_mul_f64_e32 v[51:52], s[40:41], v[16:17]
	v_fma_f64 v[39:40], s[38:39], v[26:27], -v[8:9]
	v_fma_f64 v[41:42], s[40:41], v[26:27], v[10:11]
	v_fma_f64 v[8:9], s[40:41], v[14:15], v[53:54]
	v_fma_f64 v[43:44], s[38:39], v[22:23], -v[43:44]
	v_fma_f64 v[45:46], s[40:41], v[22:23], v[45:46]
	v_fma_f64 v[47:48], s[38:39], v[18:19], -v[47:48]
	;; [unrolled: 2-line block ×3, first 2 shown]
	v_lshlrev_b64_e32 v[10:11], 4, v[0:1]
	s_delay_alu instid0(VALU_DEP_1) | instskip(SKIP_1) | instid1(VALU_DEP_2)
	v_add_co_u32 v55, vcc_lo, v12, v10
	s_wait_alu 0xfffd
	v_add_co_ci_u32_e64 v56, null, v13, v11, vcc_lo
	v_lshlrev_b64_e32 v[10:11], 4, v[2:3]
	s_delay_alu instid0(VALU_DEP_3) | instskip(SKIP_1) | instid1(VALU_DEP_3)
	v_add_co_u32 v53, vcc_lo, v55, s22
	s_wait_alu 0xfffd
	v_add_co_ci_u32_e64 v54, null, s23, v56, vcc_lo
	s_delay_alu instid0(VALU_DEP_2) | instskip(SKIP_1) | instid1(VALU_DEP_2)
	v_add_co_u32 v53, vcc_lo, v53, v10
	s_wait_alu 0xfffd
	v_add_co_ci_u32_e64 v54, null, v54, v11, vcc_lo
	v_add_co_u32 v55, vcc_lo, v55, v10
	s_wait_alu 0xfffd
	v_add_co_ci_u32_e64 v56, null, v56, v11, vcc_lo
	;; [unrolled: 3-line block ×3, first 2 shown]
	s_clause 0x3
	flat_store_b128 v[55:56], v[39:42]
	flat_store_b128 v[55:56], v[43:46] offset:256
	flat_store_b128 v[53:54], v[47:50]
	flat_store_b64 v[53:54], v[51:52] offset:256
	s_cbranch_execnz .LBB279_2
.LBB279_10:                             ;   in Loop: Header=BB279_3 Depth=1
	v_add_co_u32 v6, vcc_lo, v6, s14
	s_wait_alu 0xfffd
	v_add_co_ci_u32_e64 v7, null, s15, v7, vcc_lo
	v_lshlrev_b64_e32 v[10:11], 4, v[2:3]
	s_delay_alu instid0(VALU_DEP_3) | instskip(SKIP_1) | instid1(VALU_DEP_3)
	v_add_co_u32 v45, vcc_lo, v6, v4
	s_wait_alu 0xfffd
	v_add_co_ci_u32_e64 v46, null, v7, v5, vcc_lo
	v_mul_f64_e32 v[41:42], s[40:41], v[28:29]
	s_delay_alu instid0(VALU_DEP_3) | instskip(SKIP_1) | instid1(VALU_DEP_3)
	v_add_co_u32 v39, vcc_lo, v45, v10
	s_wait_alu 0xfffd
	v_add_co_ci_u32_e64 v40, null, v46, v11, vcc_lo
	v_mul_f64_e32 v[28:29], s[38:39], v[28:29]
	flat_load_b128 v[6:9], v[39:40]
	v_fma_f64 v[41:42], s[38:39], v[26:27], -v[41:42]
	v_fma_f64 v[26:27], s[40:41], v[26:27], v[28:29]
	s_wait_loadcnt_dscnt 0x0
	v_mul_f64_e32 v[43:44], s[8:9], v[8:9]
	v_mul_f64_e32 v[8:9], s[6:7], v[8:9]
	s_delay_alu instid0(VALU_DEP_2) | instskip(NEXT) | instid1(VALU_DEP_2)
	v_fma_f64 v[28:29], s[6:7], v[6:7], -v[43:44]
	v_fma_f64 v[8:9], s[8:9], v[6:7], v[8:9]
	s_delay_alu instid0(VALU_DEP_2) | instskip(NEXT) | instid1(VALU_DEP_2)
	v_add_f64_e32 v[6:7], v[41:42], v[28:29]
	v_add_f64_e32 v[8:9], v[26:27], v[8:9]
	v_lshlrev_b64_e32 v[26:27], 4, v[0:1]
	s_delay_alu instid0(VALU_DEP_1) | instskip(SKIP_1) | instid1(VALU_DEP_2)
	v_add_co_u32 v41, vcc_lo, v12, v26
	s_wait_alu 0xfffd
	v_add_co_ci_u32_e64 v42, null, v13, v27, vcc_lo
	v_mul_f64_e32 v[26:27], s[40:41], v[24:25]
	s_delay_alu instid0(VALU_DEP_3) | instskip(SKIP_1) | instid1(VALU_DEP_3)
	v_add_co_u32 v12, vcc_lo, v41, v10
	s_wait_alu 0xfffd
	v_add_co_ci_u32_e64 v13, null, v42, v11, vcc_lo
	v_mul_f64_e32 v[24:25], s[38:39], v[24:25]
	flat_store_b128 v[12:13], v[6:9]
	flat_load_b128 v[6:9], v[39:40] offset:256
	v_fma_f64 v[26:27], s[38:39], v[22:23], -v[26:27]
	v_fma_f64 v[22:23], s[40:41], v[22:23], v[24:25]
	s_wait_loadcnt_dscnt 0x0
	v_mul_f64_e32 v[28:29], s[8:9], v[8:9]
	v_mul_f64_e32 v[8:9], s[6:7], v[8:9]
	s_delay_alu instid0(VALU_DEP_2) | instskip(NEXT) | instid1(VALU_DEP_2)
	v_fma_f64 v[24:25], s[6:7], v[6:7], -v[28:29]
	v_fma_f64 v[8:9], s[8:9], v[6:7], v[8:9]
	s_delay_alu instid0(VALU_DEP_2) | instskip(NEXT) | instid1(VALU_DEP_2)
	v_add_f64_e32 v[6:7], v[26:27], v[24:25]
	v_add_f64_e32 v[8:9], v[22:23], v[8:9]
	v_add_co_u32 v22, vcc_lo, v45, s20
	s_wait_alu 0xfffd
	v_add_co_ci_u32_e64 v23, null, s21, v46, vcc_lo
	s_delay_alu instid0(VALU_DEP_2) | instskip(SKIP_1) | instid1(VALU_DEP_2)
	v_add_co_u32 v22, vcc_lo, v22, v10
	s_wait_alu 0xfffd
	v_add_co_ci_u32_e64 v23, null, v23, v11, vcc_lo
	flat_store_b128 v[12:13], v[6:9] offset:256
	flat_load_b128 v[6:9], v[22:23]
	v_mul_f64_e32 v[12:13], s[40:41], v[20:21]
	v_mul_f64_e32 v[20:21], s[38:39], v[20:21]
	s_delay_alu instid0(VALU_DEP_2) | instskip(NEXT) | instid1(VALU_DEP_2)
	v_fma_f64 v[12:13], s[38:39], v[18:19], -v[12:13]
	v_fma_f64 v[18:19], s[40:41], v[18:19], v[20:21]
	s_wait_loadcnt_dscnt 0x0
	v_mul_f64_e32 v[24:25], s[8:9], v[8:9]
	v_mul_f64_e32 v[8:9], s[6:7], v[8:9]
	s_delay_alu instid0(VALU_DEP_2) | instskip(NEXT) | instid1(VALU_DEP_2)
	v_fma_f64 v[20:21], s[6:7], v[6:7], -v[24:25]
	v_fma_f64 v[8:9], s[8:9], v[6:7], v[8:9]
	s_delay_alu instid0(VALU_DEP_2) | instskip(NEXT) | instid1(VALU_DEP_2)
	v_add_f64_e32 v[6:7], v[12:13], v[20:21]
	v_add_f64_e32 v[8:9], v[18:19], v[8:9]
	v_add_co_u32 v12, vcc_lo, v41, s22
	s_wait_alu 0xfffd
	v_add_co_ci_u32_e64 v13, null, s23, v42, vcc_lo
	s_delay_alu instid0(VALU_DEP_2) | instskip(SKIP_1) | instid1(VALU_DEP_2)
	v_add_co_u32 v12, vcc_lo, v12, v10
	s_wait_alu 0xfffd
	v_add_co_ci_u32_e64 v13, null, v13, v11, vcc_lo
	v_mul_f64_e32 v[10:11], s[40:41], v[16:17]
	v_mul_f64_e32 v[16:17], s[38:39], v[16:17]
	flat_store_b128 v[12:13], v[6:9]
	flat_load_b128 v[6:9], v[22:23] offset:256
	v_fma_f64 v[10:11], s[38:39], v[14:15], -v[10:11]
	v_fma_f64 v[14:15], s[40:41], v[14:15], v[16:17]
	s_wait_loadcnt_dscnt 0x0
	v_mul_f64_e32 v[18:19], s[8:9], v[8:9]
	v_mul_f64_e32 v[8:9], s[6:7], v[8:9]
	s_delay_alu instid0(VALU_DEP_2) | instskip(NEXT) | instid1(VALU_DEP_2)
	v_fma_f64 v[16:17], s[6:7], v[6:7], -v[18:19]
	v_fma_f64 v[6:7], s[8:9], v[6:7], v[8:9]
	s_delay_alu instid0(VALU_DEP_2) | instskip(NEXT) | instid1(VALU_DEP_2)
	v_add_f64_e32 v[16:17], v[10:11], v[16:17]
	v_add_f64_e32 v[8:9], v[14:15], v[6:7]
	v_add_co_u32 v10, vcc_lo, 0x100, v12
	s_wait_alu 0xfffd
	v_add_co_ci_u32_e64 v11, null, 0, v13, vcc_lo
	flat_store_b64 v[12:13], v[16:17] offset:256
	s_branch .LBB279_2
.LBB279_11:
	s_nop 0
	s_sendmsg sendmsg(MSG_DEALLOC_VGPRS)
	s_endpgm
	.section	.rodata,"a",@progbits
	.p2align	6, 0x0
	.amdhsa_kernel _ZN12_GLOBAL__N_127rocblas_gemm_batched_kernelI19rocblas_complex_numIdELi16ELi16ELi32ELi32ELi8ELi32ELi8ELi8ELi32ELc78ELc67EKPKS2_S5_KPS2_EEvlllT_PT11_llSA_llS8_PT12_llPT13_lli
		.amdhsa_group_segment_fixed_size 8192
		.amdhsa_private_segment_fixed_size 0
		.amdhsa_kernarg_size 156
		.amdhsa_user_sgpr_count 2
		.amdhsa_user_sgpr_dispatch_ptr 0
		.amdhsa_user_sgpr_queue_ptr 0
		.amdhsa_user_sgpr_kernarg_segment_ptr 1
		.amdhsa_user_sgpr_dispatch_id 0
		.amdhsa_user_sgpr_private_segment_size 0
		.amdhsa_wavefront_size32 1
		.amdhsa_uses_dynamic_stack 0
		.amdhsa_enable_private_segment 0
		.amdhsa_system_sgpr_workgroup_id_x 1
		.amdhsa_system_sgpr_workgroup_id_y 1
		.amdhsa_system_sgpr_workgroup_id_z 1
		.amdhsa_system_sgpr_workgroup_info 0
		.amdhsa_system_vgpr_workitem_id 1
		.amdhsa_next_free_vgpr 131
		.amdhsa_next_free_sgpr 52
		.amdhsa_reserve_vcc 1
		.amdhsa_float_round_mode_32 0
		.amdhsa_float_round_mode_16_64 0
		.amdhsa_float_denorm_mode_32 3
		.amdhsa_float_denorm_mode_16_64 3
		.amdhsa_fp16_overflow 0
		.amdhsa_workgroup_processor_mode 1
		.amdhsa_memory_ordered 1
		.amdhsa_forward_progress 1
		.amdhsa_inst_pref_size 26
		.amdhsa_round_robin_scheduling 0
		.amdhsa_exception_fp_ieee_invalid_op 0
		.amdhsa_exception_fp_denorm_src 0
		.amdhsa_exception_fp_ieee_div_zero 0
		.amdhsa_exception_fp_ieee_overflow 0
		.amdhsa_exception_fp_ieee_underflow 0
		.amdhsa_exception_fp_ieee_inexact 0
		.amdhsa_exception_int_div_zero 0
	.end_amdhsa_kernel
	.section	.text._ZN12_GLOBAL__N_127rocblas_gemm_batched_kernelI19rocblas_complex_numIdELi16ELi16ELi32ELi32ELi8ELi32ELi8ELi8ELi32ELc78ELc67EKPKS2_S5_KPS2_EEvlllT_PT11_llSA_llS8_PT12_llPT13_lli,"axG",@progbits,_ZN12_GLOBAL__N_127rocblas_gemm_batched_kernelI19rocblas_complex_numIdELi16ELi16ELi32ELi32ELi8ELi32ELi8ELi8ELi32ELc78ELc67EKPKS2_S5_KPS2_EEvlllT_PT11_llSA_llS8_PT12_llPT13_lli,comdat
.Lfunc_end279:
	.size	_ZN12_GLOBAL__N_127rocblas_gemm_batched_kernelI19rocblas_complex_numIdELi16ELi16ELi32ELi32ELi8ELi32ELi8ELi8ELi32ELc78ELc67EKPKS2_S5_KPS2_EEvlllT_PT11_llSA_llS8_PT12_llPT13_lli, .Lfunc_end279-_ZN12_GLOBAL__N_127rocblas_gemm_batched_kernelI19rocblas_complex_numIdELi16ELi16ELi32ELi32ELi8ELi32ELi8ELi8ELi32ELc78ELc67EKPKS2_S5_KPS2_EEvlllT_PT11_llSA_llS8_PT12_llPT13_lli
                                        ; -- End function
	.set _ZN12_GLOBAL__N_127rocblas_gemm_batched_kernelI19rocblas_complex_numIdELi16ELi16ELi32ELi32ELi8ELi32ELi8ELi8ELi32ELc78ELc67EKPKS2_S5_KPS2_EEvlllT_PT11_llSA_llS8_PT12_llPT13_lli.num_vgpr, 131
	.set _ZN12_GLOBAL__N_127rocblas_gemm_batched_kernelI19rocblas_complex_numIdELi16ELi16ELi32ELi32ELi8ELi32ELi8ELi8ELi32ELc78ELc67EKPKS2_S5_KPS2_EEvlllT_PT11_llSA_llS8_PT12_llPT13_lli.num_agpr, 0
	.set _ZN12_GLOBAL__N_127rocblas_gemm_batched_kernelI19rocblas_complex_numIdELi16ELi16ELi32ELi32ELi8ELi32ELi8ELi8ELi32ELc78ELc67EKPKS2_S5_KPS2_EEvlllT_PT11_llSA_llS8_PT12_llPT13_lli.numbered_sgpr, 52
	.set _ZN12_GLOBAL__N_127rocblas_gemm_batched_kernelI19rocblas_complex_numIdELi16ELi16ELi32ELi32ELi8ELi32ELi8ELi8ELi32ELc78ELc67EKPKS2_S5_KPS2_EEvlllT_PT11_llSA_llS8_PT12_llPT13_lli.num_named_barrier, 0
	.set _ZN12_GLOBAL__N_127rocblas_gemm_batched_kernelI19rocblas_complex_numIdELi16ELi16ELi32ELi32ELi8ELi32ELi8ELi8ELi32ELc78ELc67EKPKS2_S5_KPS2_EEvlllT_PT11_llSA_llS8_PT12_llPT13_lli.private_seg_size, 0
	.set _ZN12_GLOBAL__N_127rocblas_gemm_batched_kernelI19rocblas_complex_numIdELi16ELi16ELi32ELi32ELi8ELi32ELi8ELi8ELi32ELc78ELc67EKPKS2_S5_KPS2_EEvlllT_PT11_llSA_llS8_PT12_llPT13_lli.uses_vcc, 1
	.set _ZN12_GLOBAL__N_127rocblas_gemm_batched_kernelI19rocblas_complex_numIdELi16ELi16ELi32ELi32ELi8ELi32ELi8ELi8ELi32ELc78ELc67EKPKS2_S5_KPS2_EEvlllT_PT11_llSA_llS8_PT12_llPT13_lli.uses_flat_scratch, 1
	.set _ZN12_GLOBAL__N_127rocblas_gemm_batched_kernelI19rocblas_complex_numIdELi16ELi16ELi32ELi32ELi8ELi32ELi8ELi8ELi32ELc78ELc67EKPKS2_S5_KPS2_EEvlllT_PT11_llSA_llS8_PT12_llPT13_lli.has_dyn_sized_stack, 0
	.set _ZN12_GLOBAL__N_127rocblas_gemm_batched_kernelI19rocblas_complex_numIdELi16ELi16ELi32ELi32ELi8ELi32ELi8ELi8ELi32ELc78ELc67EKPKS2_S5_KPS2_EEvlllT_PT11_llSA_llS8_PT12_llPT13_lli.has_recursion, 0
	.set _ZN12_GLOBAL__N_127rocblas_gemm_batched_kernelI19rocblas_complex_numIdELi16ELi16ELi32ELi32ELi8ELi32ELi8ELi8ELi32ELc78ELc67EKPKS2_S5_KPS2_EEvlllT_PT11_llSA_llS8_PT12_llPT13_lli.has_indirect_call, 0
	.section	.AMDGPU.csdata,"",@progbits
; Kernel info:
; codeLenInByte = 3264
; TotalNumSgprs: 54
; NumVgprs: 131
; ScratchSize: 0
; MemoryBound: 0
; FloatMode: 240
; IeeeMode: 1
; LDSByteSize: 8192 bytes/workgroup (compile time only)
; SGPRBlocks: 0
; VGPRBlocks: 16
; NumSGPRsForWavesPerEU: 54
; NumVGPRsForWavesPerEU: 131
; Occupancy: 10
; WaveLimiterHint : 1
; COMPUTE_PGM_RSRC2:SCRATCH_EN: 0
; COMPUTE_PGM_RSRC2:USER_SGPR: 2
; COMPUTE_PGM_RSRC2:TRAP_HANDLER: 0
; COMPUTE_PGM_RSRC2:TGID_X_EN: 1
; COMPUTE_PGM_RSRC2:TGID_Y_EN: 1
; COMPUTE_PGM_RSRC2:TGID_Z_EN: 1
; COMPUTE_PGM_RSRC2:TIDIG_COMP_CNT: 1
	.section	.text._ZN12_GLOBAL__N_127rocblas_gemm_batched_kernelI19rocblas_complex_numIdELi16ELi16ELi32ELi32ELi8ELi32ELi8ELi8ELi32ELc84ELc67EKPKS2_S5_KPS2_EEvlllT_PT11_llSA_llS8_PT12_llPT13_lli,"axG",@progbits,_ZN12_GLOBAL__N_127rocblas_gemm_batched_kernelI19rocblas_complex_numIdELi16ELi16ELi32ELi32ELi8ELi32ELi8ELi8ELi32ELc84ELc67EKPKS2_S5_KPS2_EEvlllT_PT11_llSA_llS8_PT12_llPT13_lli,comdat
	.globl	_ZN12_GLOBAL__N_127rocblas_gemm_batched_kernelI19rocblas_complex_numIdELi16ELi16ELi32ELi32ELi8ELi32ELi8ELi8ELi32ELc84ELc67EKPKS2_S5_KPS2_EEvlllT_PT11_llSA_llS8_PT12_llPT13_lli ; -- Begin function _ZN12_GLOBAL__N_127rocblas_gemm_batched_kernelI19rocblas_complex_numIdELi16ELi16ELi32ELi32ELi8ELi32ELi8ELi8ELi32ELc84ELc67EKPKS2_S5_KPS2_EEvlllT_PT11_llSA_llS8_PT12_llPT13_lli
	.p2align	8
	.type	_ZN12_GLOBAL__N_127rocblas_gemm_batched_kernelI19rocblas_complex_numIdELi16ELi16ELi32ELi32ELi8ELi32ELi8ELi8ELi32ELc84ELc67EKPKS2_S5_KPS2_EEvlllT_PT11_llSA_llS8_PT12_llPT13_lli,@function
_ZN12_GLOBAL__N_127rocblas_gemm_batched_kernelI19rocblas_complex_numIdELi16ELi16ELi32ELi32ELi8ELi32ELi8ELi8ELi32ELc84ELc67EKPKS2_S5_KPS2_EEvlllT_PT11_llSA_llS8_PT12_llPT13_lli: ; @_ZN12_GLOBAL__N_127rocblas_gemm_batched_kernelI19rocblas_complex_numIdELi16ELi16ELi32ELi32ELi8ELi32ELi8ELi8ELi32ELc84ELc67EKPKS2_S5_KPS2_EEvlllT_PT11_llSA_llS8_PT12_llPT13_lli
; %bb.0:
	s_load_b32 s24, s[0:1], 0x98
	s_lshr_b32 s2, ttmp7, 16
	s_wait_kmcnt 0x0
	s_cmp_ge_i32 s2, s24
	s_cbranch_scc1 .LBB280_11
; %bb.1:
	v_dual_mov_b32 v30, 0 :: v_dual_and_b32 v1, 0x3ff, v0
	v_bfe_u32 v2, v0, 10, 10
	s_clause 0x2
	s_load_b512 s[4:19], s[0:1], 0x50
	s_load_b512 s[36:51], s[0:1], 0x10
	s_load_b64 s[20:21], s[0:1], 0x90
	s_mov_b32 s22, ttmp9
	s_ashr_i32 s23, ttmp9, 31
	s_lshl_b32 s25, ttmp7, 5
	v_lshl_add_u32 v4, v2, 4, v1
	s_lshl_b64 s[0:1], s[22:23], 5
	s_and_b32 s22, s25, 0x1fffe0
	v_lshl_add_u32 v32, v2, 7, 0x1000
	v_add_nc_u32_e32 v13, s22, v2
	v_lshrrev_b32_e32 v9, 3, v4
	v_and_b32_e32 v10, 7, v0
	v_and_b32_e32 v11, 31, v4
	v_lshrrev_b32_e32 v14, 5, v4
	v_lshlrev_b32_e32 v31, 4, v1
	v_add_co_u32 v2, s22, v9, s22
	s_wait_alu 0xf1ff
	v_add_co_ci_u32_e64 v3, null, 0, 0, s22
	s_wait_kmcnt 0x0
	v_mad_co_u64_u32 v[6:7], null, v13, s12, 0
	v_lshlrev_b32_e32 v8, 4, v10
	s_delay_alu instid0(VALU_DEP_3)
	v_mad_co_u64_u32 v[4:5], null, s50, v10, v[2:3]
	v_or_b32_e32 v12, s0, v11
	v_lshlrev_b32_e32 v15, 4, v11
	v_cmp_eq_f64_e64 s23, s[6:7], 0
	v_cmp_eq_f64_e64 s25, s[8:9], 0
	v_mad_co_u64_u32 v[2:3], null, v13, s18, 0
	v_mad_co_u64_u32 v[10:11], null, s51, v10, v[5:6]
	v_mul_lo_u32 v17, s45, v12
	v_add_co_u32 v0, s22, s0, v1
	s_mul_i32 s0, s44, s1
	v_add_co_ci_u32_e64 v1, null, s1, 0, s22
	v_mov_b32_e32 v5, v10
	v_lshl_or_b32 v16, v9, 7, v8
	v_mad_co_u64_u32 v[8:9], null, s44, v12, 0
	v_mad_co_u64_u32 v[11:12], null, v13, s19, v[3:4]
	v_lshlrev_b32_e32 v10, 4, v14
	v_lshlrev_b64_e32 v[4:5], 4, v[4:5]
	v_lshl_or_b32 v33, v14, 9, v15
	s_mov_b32 s3, 0
	s_wait_alu 0xfffe
	v_add3_u32 v9, v9, s0, v17
	v_mad_co_u64_u32 v[12:13], null, v13, s13, v[7:8]
	s_lshl_b64 s[0:1], s[46:47], 4
	v_add_nc_u32_e32 v34, 0x1000, v16
	v_lshlrev_b64_e32 v[8:9], 4, v[8:9]
	v_mov_b32_e32 v3, v11
	s_lshl_b64 s[14:15], s[14:15], 4
	v_mov_b32_e32 v7, v12
	s_wait_alu 0xfffe
	s_delay_alu instid0(VALU_DEP_3) | instskip(NEXT) | instid1(VALU_DEP_1)
	v_add_co_u32 v8, vcc_lo, v8, s0
	v_add_co_ci_u32_e64 v9, null, s1, v9, vcc_lo
	s_lshl_b64 s[0:1], s[4:5], 4
	v_add_co_u32 v35, vcc_lo, v8, v10
	s_wait_alu 0xfffd
	v_add_co_ci_u32_e64 v36, null, 0, v9, vcc_lo
	s_wait_alu 0xfffe
	v_add_co_u32 v4, vcc_lo, s0, v4
	v_cmp_gt_i64_e64 s0, s[36:37], 0
	s_wait_alu 0xfffd
	v_add_co_ci_u32_e64 v37, null, s1, v5, vcc_lo
	s_delay_alu instid0(VALU_DEP_3)
	v_or_b32_e32 v38, 8, v4
	v_lshlrev_b64_e32 v[4:5], 4, v[6:7]
	s_and_b32 s25, s23, s25
	v_cndmask_b32_e64 v8, 0, 1, s0
	s_lshl_b64 s[22:23], s[18:19], 4
	s_lshl_b64 s[18:19], s[12:13], 4
	;; [unrolled: 1-line block ×4, first 2 shown]
	v_cmp_ne_u32_e64 s0, 1, v8
	s_wait_alu 0xfffe
	s_lshl_b64 s[18:19], s[18:19], 4
	s_lshl_b64 s[20:21], s[22:23], 4
	s_branch .LBB280_3
.LBB280_2:                              ;   in Loop: Header=BB280_3 Depth=1
	s_add_co_i32 s2, s2, 0x10000
	flat_store_b64 v[10:11], v[8:9] offset:8
	s_cmp_lt_i32 s2, s24
	s_cbranch_scc0 .LBB280_11
.LBB280_3:                              ; =>This Loop Header: Depth=1
                                        ;     Child Loop BB280_5 Depth 2
	s_lshl_b64 s[22:23], s[2:3], 3
	s_and_b32 vcc_lo, exec_lo, s0
	s_wait_alu 0xfffe
	s_add_nc_u64 s[26:27], s[10:11], s[22:23]
	s_add_nc_u64 s[28:29], s[16:17], s[22:23]
	s_clause 0x1
	global_load_b64 v[6:7], v30, s[26:27]
	global_load_b64 v[8:9], v30, s[28:29]
	s_cbranch_vccnz .LBB280_6
; %bb.4:                                ;   in Loop: Header=BB280_3 Depth=1
	s_add_nc_u64 s[26:27], s[42:43], s[22:23]
	s_add_nc_u64 s[22:23], s[48:49], s[22:23]
	s_clause 0x1
	global_load_b64 v[10:11], v30, s[26:27]
	global_load_b64 v[12:13], v30, s[22:23]
	v_mov_b32_e32 v16, 0
	v_mov_b32_e32 v20, 0
	;; [unrolled: 1-line block ×3, first 2 shown]
	v_dual_mov_b32 v28, 0 :: v_dual_mov_b32 v17, 0
	v_dual_mov_b32 v14, 0 :: v_dual_mov_b32 v21, 0
	;; [unrolled: 1-line block ×5, first 2 shown]
	v_mov_b32_e32 v19, 0
	v_mov_b32_e32 v23, 0
	;; [unrolled: 1-line block ×3, first 2 shown]
	s_mov_b64 s[22:23], 0
	s_wait_loadcnt 0x1
	v_add_co_u32 v10, vcc_lo, v10, v35
	s_wait_alu 0xfffd
	v_add_co_ci_u32_e64 v11, null, v11, v36, vcc_lo
	s_wait_loadcnt 0x0
	v_add_co_u32 v12, vcc_lo, v12, v38
	s_wait_alu 0xfffd
	v_add_co_ci_u32_e64 v13, null, v13, v37, vcc_lo
.LBB280_5:                              ;   Parent Loop BB280_3 Depth=1
                                        ; =>  This Inner Loop Header: Depth=2
	flat_load_b128 v[39:42], v[10:11]
	s_wait_alu 0xfffe
	s_add_nc_u64 s[22:23], s[22:23], 8
	v_add_co_u32 v10, vcc_lo, 0x80, v10
	s_wait_alu 0xfffe
	v_cmp_lt_i64_e64 s1, s[22:23], s[36:37]
	s_wait_alu 0xfffd
	v_add_co_ci_u32_e64 v11, null, 0, v11, vcc_lo
	s_and_b32 vcc_lo, exec_lo, s1
	s_wait_loadcnt_dscnt 0x0
	ds_store_2addr_b64 v33, v[39:40], v[41:42] offset1:1
	flat_load_b128 v[39:42], v[12:13] offset:-8
	v_add_co_u32 v12, s1, v12, s4
	s_wait_alu 0xf1ff
	v_add_co_ci_u32_e64 v13, null, s5, v13, s1
	s_wait_loadcnt_dscnt 0x0
	v_xor_b32_e32 v42, 0x80000000, v42
	ds_store_b128 v34, v[39:42]
	s_wait_dscnt 0x0
	s_barrier_signal -1
	s_barrier_wait -1
	global_inv scope:SCOPE_SE
	ds_load_b128 v[39:42], v32
	ds_load_b128 v[43:46], v31
	ds_load_b128 v[47:50], v31 offset:256
	ds_load_b128 v[51:54], v32 offset:2048
	ds_load_b128 v[55:58], v32 offset:16
	ds_load_b128 v[59:62], v31 offset:512
	ds_load_b128 v[63:66], v32 offset:2064
	ds_load_b128 v[67:70], v31 offset:768
	ds_load_b128 v[71:74], v32 offset:32
	ds_load_b128 v[75:78], v32 offset:48
	ds_load_b128 v[79:82], v31 offset:1024
	ds_load_b128 v[83:86], v31 offset:1280
	ds_load_b128 v[87:90], v31 offset:1536
	ds_load_b128 v[91:94], v32 offset:2080
	ds_load_b128 v[95:98], v32 offset:2096
	s_wait_dscnt 0xd
	v_mul_f64_e32 v[99:100], v[41:42], v[45:46]
	v_mul_f64_e32 v[101:102], v[39:40], v[45:46]
	s_wait_dscnt 0xc
	v_mul_f64_e32 v[103:104], v[41:42], v[49:50]
	v_mul_f64_e32 v[105:106], v[39:40], v[49:50]
	;; [unrolled: 3-line block ×3, first 2 shown]
	v_mul_f64_e32 v[109:110], v[53:54], v[49:50]
	v_mul_f64_e32 v[49:50], v[51:52], v[49:50]
	s_wait_dscnt 0x9
	v_mul_f64_e32 v[111:112], v[57:58], v[61:62]
	v_mul_f64_e32 v[113:114], v[55:56], v[61:62]
	s_wait_dscnt 0x7
	v_mul_f64_e32 v[115:116], v[57:58], v[69:70]
	v_mul_f64_e32 v[117:118], v[55:56], v[69:70]
	;; [unrolled: 1-line block ×6, first 2 shown]
	s_wait_dscnt 0x3
	v_mul_f64_e32 v[125:126], v[71:72], v[85:86]
	s_wait_dscnt 0x1
	v_mul_f64_e32 v[127:128], v[93:94], v[81:82]
	v_mul_f64_e32 v[129:130], v[93:94], v[85:86]
	v_fma_f64 v[99:100], v[39:40], v[43:44], -v[99:100]
	v_fma_f64 v[101:102], v[41:42], v[43:44], v[101:102]
	v_fma_f64 v[103:104], v[39:40], v[47:48], -v[103:104]
	v_fma_f64 v[105:106], v[41:42], v[47:48], v[105:106]
	v_fma_f64 v[107:108], v[51:52], v[43:44], -v[107:108]
	v_fma_f64 v[123:124], v[53:54], v[43:44], v[45:46]
	v_fma_f64 v[51:52], v[51:52], v[47:48], -v[109:110]
	v_fma_f64 v[47:48], v[53:54], v[47:48], v[49:50]
	v_mul_f64_e32 v[49:50], v[73:74], v[81:82]
	v_mul_f64_e32 v[53:54], v[71:72], v[81:82]
	;; [unrolled: 1-line block ×5, first 2 shown]
	v_fma_f64 v[111:112], v[55:56], v[59:60], -v[111:112]
	v_fma_f64 v[113:114], v[57:58], v[59:60], v[113:114]
	v_fma_f64 v[55:56], v[55:56], v[67:68], -v[115:116]
	v_fma_f64 v[57:58], v[57:58], v[67:68], v[117:118]
	;; [unrolled: 2-line block ×4, first 2 shown]
	ds_load_b128 v[39:42], v31 offset:1792
	ds_load_b128 v[43:46], v32 offset:64
	v_mul_f64_e32 v[69:70], v[77:78], v[89:90]
	v_add_f64_e32 v[26:27], v[26:27], v[99:100]
	v_add_f64_e32 v[28:29], v[101:102], v[28:29]
	;; [unrolled: 1-line block ×8, first 2 shown]
	v_mul_f64_e32 v[99:100], v[75:76], v[89:90]
	s_wait_dscnt 0x1
	v_mul_f64_e32 v[101:102], v[77:78], v[41:42]
	v_mul_f64_e32 v[103:104], v[75:76], v[41:42]
	v_mul_f64_e32 v[105:106], v[97:98], v[89:90]
	v_mul_f64_e32 v[89:90], v[95:96], v[89:90]
	v_mul_f64_e32 v[107:108], v[97:98], v[41:42]
	v_mul_f64_e32 v[41:42], v[95:96], v[41:42]
	v_fma_f64 v[117:118], v[71:72], v[79:80], -v[49:50]
	v_fma_f64 v[119:120], v[73:74], v[79:80], v[53:54]
	v_fma_f64 v[71:72], v[71:72], v[83:84], -v[109:110]
	v_fma_f64 v[73:74], v[73:74], v[83:84], v[125:126]
	;; [unrolled: 2-line block ×4, first 2 shown]
	ds_load_b128 v[14:17], v31 offset:2048
	ds_load_b128 v[18:21], v31 offset:2304
	v_fma_f64 v[69:70], v[75:76], v[87:88], -v[69:70]
	v_add_f64_e32 v[85:86], v[26:27], v[111:112]
	v_add_f64_e32 v[91:92], v[113:114], v[28:29]
	;; [unrolled: 1-line block ×8, first 2 shown]
	ds_load_b128 v[22:25], v32 offset:2112
	ds_load_b128 v[26:29], v32 offset:80
	;; [unrolled: 1-line block ×4, first 2 shown]
	s_wait_dscnt 0x5
	v_mul_f64_e32 v[67:68], v[45:46], v[16:17]
	v_mul_f64_e32 v[93:94], v[43:44], v[16:17]
	s_wait_dscnt 0x4
	v_mul_f64_e32 v[111:112], v[45:46], v[20:21]
	v_mul_f64_e32 v[113:114], v[43:44], v[20:21]
	v_fma_f64 v[99:100], v[77:78], v[87:88], v[99:100]
	v_fma_f64 v[75:76], v[75:76], v[39:40], -v[101:102]
	v_fma_f64 v[77:78], v[77:78], v[39:40], v[103:104]
	v_fma_f64 v[101:102], v[95:96], v[87:88], -v[105:106]
	;; [unrolled: 2-line block ×3, first 2 shown]
	v_fma_f64 v[95:96], v[97:98], v[39:40], v[41:42]
	s_wait_dscnt 0x3
	v_mul_f64_e32 v[115:116], v[24:25], v[16:17]
	v_mul_f64_e32 v[16:17], v[22:23], v[16:17]
	v_mul_f64_e32 v[121:122], v[24:25], v[20:21]
	v_mul_f64_e32 v[20:21], v[22:23], v[20:21]
	s_wait_dscnt 0x1
	v_mul_f64_e32 v[103:104], v[28:29], v[49:50]
	v_mul_f64_e32 v[105:106], v[26:27], v[49:50]
	v_add_f64_e32 v[85:86], v[85:86], v[117:118]
	v_add_f64_e32 v[91:92], v[119:120], v[91:92]
	;; [unrolled: 1-line block ×8, first 2 shown]
	ds_load_b128 v[39:42], v31 offset:2816
	ds_load_b128 v[55:58], v32 offset:96
	;; [unrolled: 1-line block ×4, first 2 shown]
	s_wait_dscnt 0x4
	v_mul_f64_e32 v[117:118], v[53:54], v[49:50]
	v_mul_f64_e32 v[49:50], v[51:52], v[49:50]
	v_fma_f64 v[67:68], v[43:44], v[14:15], -v[67:68]
	v_fma_f64 v[93:94], v[45:46], v[14:15], v[93:94]
	v_fma_f64 v[111:112], v[43:44], v[18:19], -v[111:112]
	v_fma_f64 v[45:46], v[45:46], v[18:19], v[113:114]
	s_wait_dscnt 0x3
	v_mul_f64_e32 v[107:108], v[28:29], v[41:42]
	v_mul_f64_e32 v[109:110], v[26:27], v[41:42]
	;; [unrolled: 1-line block ×4, first 2 shown]
	v_fma_f64 v[113:114], v[22:23], v[14:15], -v[115:116]
	v_fma_f64 v[115:116], v[24:25], v[14:15], v[16:17]
	v_fma_f64 v[121:122], v[22:23], v[18:19], -v[121:122]
	v_fma_f64 v[125:126], v[24:25], v[18:19], v[20:21]
	ds_load_b128 v[14:17], v32 offset:2144
	ds_load_b128 v[18:21], v32 offset:112
	;; [unrolled: 1-line block ×4, first 2 shown]
	v_add_f64_e32 v[69:70], v[85:86], v[69:70]
	v_add_f64_e32 v[85:86], v[99:100], v[91:92]
	;; [unrolled: 1-line block ×8, first 2 shown]
	s_wait_dscnt 0x5
	v_mul_f64_e32 v[83:84], v[57:58], v[61:62]
	v_mul_f64_e32 v[87:88], v[55:56], v[61:62]
	s_wait_dscnt 0x4
	v_mul_f64_e32 v[89:90], v[57:58], v[65:66]
	v_mul_f64_e32 v[91:92], v[55:56], v[65:66]
	;; [unrolled: 3-line block ×3, first 2 shown]
	v_mul_f64_e32 v[97:98], v[16:17], v[65:66]
	v_mul_f64_e32 v[65:66], v[14:15], v[65:66]
	v_fma_f64 v[99:100], v[26:27], v[47:48], -v[103:104]
	v_fma_f64 v[101:102], v[28:29], v[47:48], v[105:106]
	v_fma_f64 v[103:104], v[26:27], v[39:40], -v[107:108]
	v_fma_f64 v[105:106], v[28:29], v[39:40], v[109:110]
	;; [unrolled: 2-line block ×4, first 2 shown]
	ds_load_b128 v[26:29], v31 offset:3840
	s_wait_loadcnt_dscnt 0x0
	s_barrier_signal -1
	s_barrier_wait -1
	global_inv scope:SCOPE_SE
	v_add_f64_e32 v[51:52], v[69:70], v[67:68]
	v_add_f64_e32 v[53:54], v[93:94], v[85:86]
	v_add_f64_e32 v[67:68], v[71:72], v[111:112]
	v_add_f64_e32 v[45:46], v[45:46], v[73:74]
	v_add_f64_e32 v[69:70], v[75:76], v[113:114]
	v_add_f64_e32 v[71:72], v[115:116], v[77:78]
	v_add_f64_e32 v[73:74], v[79:80], v[121:122]
	v_add_f64_e32 v[75:76], v[125:126], v[81:82]
	v_mul_f64_e32 v[77:78], v[20:21], v[24:25]
	v_mul_f64_e32 v[79:80], v[18:19], v[24:25]
	;; [unrolled: 1-line block ×4, first 2 shown]
	v_fma_f64 v[83:84], v[55:56], v[59:60], -v[83:84]
	v_mul_f64_e32 v[81:82], v[20:21], v[28:29]
	v_mul_f64_e32 v[85:86], v[18:19], v[28:29]
	;; [unrolled: 1-line block ×4, first 2 shown]
	v_fma_f64 v[87:88], v[57:58], v[59:60], v[87:88]
	v_fma_f64 v[55:56], v[55:56], v[63:64], -v[89:90]
	v_fma_f64 v[57:58], v[57:58], v[63:64], v[91:92]
	v_fma_f64 v[89:90], v[14:15], v[59:60], -v[95:96]
	;; [unrolled: 2-line block ×3, first 2 shown]
	v_fma_f64 v[16:17], v[16:17], v[63:64], v[65:66]
	v_add_f64_e32 v[51:52], v[51:52], v[99:100]
	v_add_f64_e32 v[53:54], v[101:102], v[53:54]
	;; [unrolled: 1-line block ×8, first 2 shown]
	v_fma_f64 v[65:66], v[18:19], v[22:23], -v[77:78]
	v_fma_f64 v[67:68], v[20:21], v[22:23], v[79:80]
	v_fma_f64 v[69:70], v[41:42], v[22:23], -v[93:94]
	v_fma_f64 v[71:72], v[43:44], v[22:23], v[24:25]
	;; [unrolled: 2-line block ×4, first 2 shown]
	v_add_f64_e32 v[22:23], v[51:52], v[83:84]
	v_add_f64_e32 v[24:25], v[87:88], v[53:54]
	;; [unrolled: 1-line block ×16, first 2 shown]
	s_wait_alu 0xfffe
	s_cbranch_vccnz .LBB280_5
	s_branch .LBB280_7
.LBB280_6:                              ;   in Loop: Header=BB280_3 Depth=1
	v_mov_b32_e32 v26, 0
	v_mov_b32_e32 v22, 0
	;; [unrolled: 1-line block ×3, first 2 shown]
	v_dual_mov_b32 v14, 0 :: v_dual_mov_b32 v27, 0
	v_dual_mov_b32 v28, 0 :: v_dual_mov_b32 v23, 0
	v_dual_mov_b32 v24, 0 :: v_dual_mov_b32 v19, 0
	v_dual_mov_b32 v20, 0 :: v_dual_mov_b32 v15, 0
	v_dual_mov_b32 v16, 0 :: v_dual_mov_b32 v29, 0
	v_mov_b32_e32 v25, 0
	v_mov_b32_e32 v21, 0
	;; [unrolled: 1-line block ×3, first 2 shown]
.LBB280_7:                              ;   in Loop: Header=BB280_3 Depth=1
	s_wait_loadcnt 0x0
	v_add_co_u32 v12, vcc_lo, v8, s12
	s_wait_alu 0xfffd
	v_add_co_ci_u32_e64 v13, null, s13, v9, vcc_lo
	s_and_not1_b32 vcc_lo, exec_lo, s25
	s_mov_b32 s1, -1
                                        ; implicit-def: $vgpr8_vgpr9
                                        ; implicit-def: $vgpr10_vgpr11
	s_wait_alu 0xfffe
	s_cbranch_vccz .LBB280_9
; %bb.8:                                ;   in Loop: Header=BB280_3 Depth=1
	s_and_not1_b32 vcc_lo, exec_lo, s1
	s_wait_alu 0xfffe
	s_cbranch_vccnz .LBB280_2
	s_branch .LBB280_10
.LBB280_9:                              ;   in Loop: Header=BB280_3 Depth=1
	v_mul_f64_e32 v[8:9], s[40:41], v[28:29]
	v_mul_f64_e32 v[10:11], s[38:39], v[28:29]
	v_mul_f64_e32 v[53:54], s[38:39], v[16:17]
	v_mul_f64_e32 v[43:44], s[40:41], v[24:25]
	v_mul_f64_e32 v[45:46], s[38:39], v[24:25]
	v_mul_f64_e32 v[47:48], s[40:41], v[20:21]
	v_mul_f64_e32 v[49:50], s[38:39], v[20:21]
	v_mul_f64_e32 v[51:52], s[40:41], v[16:17]
	v_fma_f64 v[39:40], s[38:39], v[26:27], -v[8:9]
	v_fma_f64 v[41:42], s[40:41], v[26:27], v[10:11]
	v_fma_f64 v[8:9], s[40:41], v[14:15], v[53:54]
	v_fma_f64 v[43:44], s[38:39], v[22:23], -v[43:44]
	v_fma_f64 v[45:46], s[40:41], v[22:23], v[45:46]
	v_fma_f64 v[47:48], s[38:39], v[18:19], -v[47:48]
	v_fma_f64 v[49:50], s[40:41], v[18:19], v[49:50]
	v_fma_f64 v[51:52], s[38:39], v[14:15], -v[51:52]
	v_lshlrev_b64_e32 v[10:11], 4, v[2:3]
	s_delay_alu instid0(VALU_DEP_1) | instskip(SKIP_1) | instid1(VALU_DEP_2)
	v_add_co_u32 v55, vcc_lo, v12, v10
	s_wait_alu 0xfffd
	v_add_co_ci_u32_e64 v56, null, v13, v11, vcc_lo
	v_lshlrev_b64_e32 v[10:11], 4, v[0:1]
	s_delay_alu instid0(VALU_DEP_3) | instskip(SKIP_1) | instid1(VALU_DEP_3)
	v_add_co_u32 v53, vcc_lo, v55, s20
	s_wait_alu 0xfffd
	v_add_co_ci_u32_e64 v54, null, s21, v56, vcc_lo
	s_delay_alu instid0(VALU_DEP_2) | instskip(SKIP_1) | instid1(VALU_DEP_2)
	v_add_co_u32 v53, vcc_lo, v53, v10
	s_wait_alu 0xfffd
	v_add_co_ci_u32_e64 v54, null, v54, v11, vcc_lo
	v_add_co_u32 v55, vcc_lo, v55, v10
	s_wait_alu 0xfffd
	v_add_co_ci_u32_e64 v56, null, v56, v11, vcc_lo
	;; [unrolled: 3-line block ×3, first 2 shown]
	s_clause 0x3
	flat_store_b128 v[55:56], v[39:42]
	flat_store_b128 v[55:56], v[43:46] offset:256
	flat_store_b128 v[53:54], v[47:50]
	flat_store_b64 v[53:54], v[51:52] offset:256
	s_cbranch_execnz .LBB280_2
.LBB280_10:                             ;   in Loop: Header=BB280_3 Depth=1
	v_add_co_u32 v6, vcc_lo, v6, s14
	s_wait_alu 0xfffd
	v_add_co_ci_u32_e64 v7, null, s15, v7, vcc_lo
	v_lshlrev_b64_e32 v[10:11], 4, v[0:1]
	s_delay_alu instid0(VALU_DEP_3) | instskip(SKIP_1) | instid1(VALU_DEP_3)
	v_add_co_u32 v45, vcc_lo, v6, v4
	s_wait_alu 0xfffd
	v_add_co_ci_u32_e64 v46, null, v7, v5, vcc_lo
	v_mul_f64_e32 v[41:42], s[40:41], v[28:29]
	s_delay_alu instid0(VALU_DEP_3) | instskip(SKIP_1) | instid1(VALU_DEP_3)
	v_add_co_u32 v39, vcc_lo, v45, v10
	s_wait_alu 0xfffd
	v_add_co_ci_u32_e64 v40, null, v46, v11, vcc_lo
	v_mul_f64_e32 v[28:29], s[38:39], v[28:29]
	flat_load_b128 v[6:9], v[39:40]
	v_fma_f64 v[41:42], s[38:39], v[26:27], -v[41:42]
	v_fma_f64 v[26:27], s[40:41], v[26:27], v[28:29]
	s_wait_loadcnt_dscnt 0x0
	v_mul_f64_e32 v[43:44], s[8:9], v[8:9]
	v_mul_f64_e32 v[8:9], s[6:7], v[8:9]
	s_delay_alu instid0(VALU_DEP_2) | instskip(NEXT) | instid1(VALU_DEP_2)
	v_fma_f64 v[28:29], s[6:7], v[6:7], -v[43:44]
	v_fma_f64 v[8:9], s[8:9], v[6:7], v[8:9]
	s_delay_alu instid0(VALU_DEP_2) | instskip(NEXT) | instid1(VALU_DEP_2)
	v_add_f64_e32 v[6:7], v[41:42], v[28:29]
	v_add_f64_e32 v[8:9], v[26:27], v[8:9]
	v_lshlrev_b64_e32 v[26:27], 4, v[2:3]
	s_delay_alu instid0(VALU_DEP_1) | instskip(SKIP_1) | instid1(VALU_DEP_2)
	v_add_co_u32 v41, vcc_lo, v12, v26
	s_wait_alu 0xfffd
	v_add_co_ci_u32_e64 v42, null, v13, v27, vcc_lo
	v_mul_f64_e32 v[26:27], s[40:41], v[24:25]
	s_delay_alu instid0(VALU_DEP_3) | instskip(SKIP_1) | instid1(VALU_DEP_3)
	v_add_co_u32 v12, vcc_lo, v41, v10
	s_wait_alu 0xfffd
	v_add_co_ci_u32_e64 v13, null, v42, v11, vcc_lo
	v_mul_f64_e32 v[24:25], s[38:39], v[24:25]
	flat_store_b128 v[12:13], v[6:9]
	flat_load_b128 v[6:9], v[39:40] offset:256
	v_fma_f64 v[26:27], s[38:39], v[22:23], -v[26:27]
	v_fma_f64 v[22:23], s[40:41], v[22:23], v[24:25]
	s_wait_loadcnt_dscnt 0x0
	v_mul_f64_e32 v[28:29], s[8:9], v[8:9]
	v_mul_f64_e32 v[8:9], s[6:7], v[8:9]
	s_delay_alu instid0(VALU_DEP_2) | instskip(NEXT) | instid1(VALU_DEP_2)
	v_fma_f64 v[24:25], s[6:7], v[6:7], -v[28:29]
	v_fma_f64 v[8:9], s[8:9], v[6:7], v[8:9]
	s_delay_alu instid0(VALU_DEP_2) | instskip(NEXT) | instid1(VALU_DEP_2)
	v_add_f64_e32 v[6:7], v[26:27], v[24:25]
	v_add_f64_e32 v[8:9], v[22:23], v[8:9]
	v_add_co_u32 v22, vcc_lo, v45, s18
	s_wait_alu 0xfffd
	v_add_co_ci_u32_e64 v23, null, s19, v46, vcc_lo
	s_delay_alu instid0(VALU_DEP_2) | instskip(SKIP_1) | instid1(VALU_DEP_2)
	v_add_co_u32 v22, vcc_lo, v22, v10
	s_wait_alu 0xfffd
	v_add_co_ci_u32_e64 v23, null, v23, v11, vcc_lo
	flat_store_b128 v[12:13], v[6:9] offset:256
	flat_load_b128 v[6:9], v[22:23]
	v_mul_f64_e32 v[12:13], s[40:41], v[20:21]
	v_mul_f64_e32 v[20:21], s[38:39], v[20:21]
	s_delay_alu instid0(VALU_DEP_2) | instskip(NEXT) | instid1(VALU_DEP_2)
	v_fma_f64 v[12:13], s[38:39], v[18:19], -v[12:13]
	v_fma_f64 v[18:19], s[40:41], v[18:19], v[20:21]
	s_wait_loadcnt_dscnt 0x0
	v_mul_f64_e32 v[24:25], s[8:9], v[8:9]
	v_mul_f64_e32 v[8:9], s[6:7], v[8:9]
	s_delay_alu instid0(VALU_DEP_2) | instskip(NEXT) | instid1(VALU_DEP_2)
	v_fma_f64 v[20:21], s[6:7], v[6:7], -v[24:25]
	v_fma_f64 v[8:9], s[8:9], v[6:7], v[8:9]
	s_delay_alu instid0(VALU_DEP_2) | instskip(NEXT) | instid1(VALU_DEP_2)
	v_add_f64_e32 v[6:7], v[12:13], v[20:21]
	v_add_f64_e32 v[8:9], v[18:19], v[8:9]
	v_add_co_u32 v12, vcc_lo, v41, s20
	s_wait_alu 0xfffd
	v_add_co_ci_u32_e64 v13, null, s21, v42, vcc_lo
	s_delay_alu instid0(VALU_DEP_2) | instskip(SKIP_1) | instid1(VALU_DEP_2)
	v_add_co_u32 v12, vcc_lo, v12, v10
	s_wait_alu 0xfffd
	v_add_co_ci_u32_e64 v13, null, v13, v11, vcc_lo
	v_mul_f64_e32 v[10:11], s[40:41], v[16:17]
	v_mul_f64_e32 v[16:17], s[38:39], v[16:17]
	flat_store_b128 v[12:13], v[6:9]
	flat_load_b128 v[6:9], v[22:23] offset:256
	v_fma_f64 v[10:11], s[38:39], v[14:15], -v[10:11]
	v_fma_f64 v[14:15], s[40:41], v[14:15], v[16:17]
	s_wait_loadcnt_dscnt 0x0
	v_mul_f64_e32 v[18:19], s[8:9], v[8:9]
	v_mul_f64_e32 v[8:9], s[6:7], v[8:9]
	s_delay_alu instid0(VALU_DEP_2) | instskip(NEXT) | instid1(VALU_DEP_2)
	v_fma_f64 v[16:17], s[6:7], v[6:7], -v[18:19]
	v_fma_f64 v[6:7], s[8:9], v[6:7], v[8:9]
	s_delay_alu instid0(VALU_DEP_2) | instskip(NEXT) | instid1(VALU_DEP_2)
	v_add_f64_e32 v[16:17], v[10:11], v[16:17]
	v_add_f64_e32 v[8:9], v[14:15], v[6:7]
	v_add_co_u32 v10, vcc_lo, 0x100, v12
	s_wait_alu 0xfffd
	v_add_co_ci_u32_e64 v11, null, 0, v13, vcc_lo
	flat_store_b64 v[12:13], v[16:17] offset:256
	s_branch .LBB280_2
.LBB280_11:
	s_nop 0
	s_sendmsg sendmsg(MSG_DEALLOC_VGPRS)
	s_endpgm
	.section	.rodata,"a",@progbits
	.p2align	6, 0x0
	.amdhsa_kernel _ZN12_GLOBAL__N_127rocblas_gemm_batched_kernelI19rocblas_complex_numIdELi16ELi16ELi32ELi32ELi8ELi32ELi8ELi8ELi32ELc84ELc67EKPKS2_S5_KPS2_EEvlllT_PT11_llSA_llS8_PT12_llPT13_lli
		.amdhsa_group_segment_fixed_size 8192
		.amdhsa_private_segment_fixed_size 0
		.amdhsa_kernarg_size 156
		.amdhsa_user_sgpr_count 2
		.amdhsa_user_sgpr_dispatch_ptr 0
		.amdhsa_user_sgpr_queue_ptr 0
		.amdhsa_user_sgpr_kernarg_segment_ptr 1
		.amdhsa_user_sgpr_dispatch_id 0
		.amdhsa_user_sgpr_private_segment_size 0
		.amdhsa_wavefront_size32 1
		.amdhsa_uses_dynamic_stack 0
		.amdhsa_enable_private_segment 0
		.amdhsa_system_sgpr_workgroup_id_x 1
		.amdhsa_system_sgpr_workgroup_id_y 1
		.amdhsa_system_sgpr_workgroup_id_z 1
		.amdhsa_system_sgpr_workgroup_info 0
		.amdhsa_system_vgpr_workitem_id 1
		.amdhsa_next_free_vgpr 131
		.amdhsa_next_free_sgpr 52
		.amdhsa_reserve_vcc 1
		.amdhsa_float_round_mode_32 0
		.amdhsa_float_round_mode_16_64 0
		.amdhsa_float_denorm_mode_32 3
		.amdhsa_float_denorm_mode_16_64 3
		.amdhsa_fp16_overflow 0
		.amdhsa_workgroup_processor_mode 1
		.amdhsa_memory_ordered 1
		.amdhsa_forward_progress 1
		.amdhsa_inst_pref_size 26
		.amdhsa_round_robin_scheduling 0
		.amdhsa_exception_fp_ieee_invalid_op 0
		.amdhsa_exception_fp_denorm_src 0
		.amdhsa_exception_fp_ieee_div_zero 0
		.amdhsa_exception_fp_ieee_overflow 0
		.amdhsa_exception_fp_ieee_underflow 0
		.amdhsa_exception_fp_ieee_inexact 0
		.amdhsa_exception_int_div_zero 0
	.end_amdhsa_kernel
	.section	.text._ZN12_GLOBAL__N_127rocblas_gemm_batched_kernelI19rocblas_complex_numIdELi16ELi16ELi32ELi32ELi8ELi32ELi8ELi8ELi32ELc84ELc67EKPKS2_S5_KPS2_EEvlllT_PT11_llSA_llS8_PT12_llPT13_lli,"axG",@progbits,_ZN12_GLOBAL__N_127rocblas_gemm_batched_kernelI19rocblas_complex_numIdELi16ELi16ELi32ELi32ELi8ELi32ELi8ELi8ELi32ELc84ELc67EKPKS2_S5_KPS2_EEvlllT_PT11_llSA_llS8_PT12_llPT13_lli,comdat
.Lfunc_end280:
	.size	_ZN12_GLOBAL__N_127rocblas_gemm_batched_kernelI19rocblas_complex_numIdELi16ELi16ELi32ELi32ELi8ELi32ELi8ELi8ELi32ELc84ELc67EKPKS2_S5_KPS2_EEvlllT_PT11_llSA_llS8_PT12_llPT13_lli, .Lfunc_end280-_ZN12_GLOBAL__N_127rocblas_gemm_batched_kernelI19rocblas_complex_numIdELi16ELi16ELi32ELi32ELi8ELi32ELi8ELi8ELi32ELc84ELc67EKPKS2_S5_KPS2_EEvlllT_PT11_llSA_llS8_PT12_llPT13_lli
                                        ; -- End function
	.set _ZN12_GLOBAL__N_127rocblas_gemm_batched_kernelI19rocblas_complex_numIdELi16ELi16ELi32ELi32ELi8ELi32ELi8ELi8ELi32ELc84ELc67EKPKS2_S5_KPS2_EEvlllT_PT11_llSA_llS8_PT12_llPT13_lli.num_vgpr, 131
	.set _ZN12_GLOBAL__N_127rocblas_gemm_batched_kernelI19rocblas_complex_numIdELi16ELi16ELi32ELi32ELi8ELi32ELi8ELi8ELi32ELc84ELc67EKPKS2_S5_KPS2_EEvlllT_PT11_llSA_llS8_PT12_llPT13_lli.num_agpr, 0
	.set _ZN12_GLOBAL__N_127rocblas_gemm_batched_kernelI19rocblas_complex_numIdELi16ELi16ELi32ELi32ELi8ELi32ELi8ELi8ELi32ELc84ELc67EKPKS2_S5_KPS2_EEvlllT_PT11_llSA_llS8_PT12_llPT13_lli.numbered_sgpr, 52
	.set _ZN12_GLOBAL__N_127rocblas_gemm_batched_kernelI19rocblas_complex_numIdELi16ELi16ELi32ELi32ELi8ELi32ELi8ELi8ELi32ELc84ELc67EKPKS2_S5_KPS2_EEvlllT_PT11_llSA_llS8_PT12_llPT13_lli.num_named_barrier, 0
	.set _ZN12_GLOBAL__N_127rocblas_gemm_batched_kernelI19rocblas_complex_numIdELi16ELi16ELi32ELi32ELi8ELi32ELi8ELi8ELi32ELc84ELc67EKPKS2_S5_KPS2_EEvlllT_PT11_llSA_llS8_PT12_llPT13_lli.private_seg_size, 0
	.set _ZN12_GLOBAL__N_127rocblas_gemm_batched_kernelI19rocblas_complex_numIdELi16ELi16ELi32ELi32ELi8ELi32ELi8ELi8ELi32ELc84ELc67EKPKS2_S5_KPS2_EEvlllT_PT11_llSA_llS8_PT12_llPT13_lli.uses_vcc, 1
	.set _ZN12_GLOBAL__N_127rocblas_gemm_batched_kernelI19rocblas_complex_numIdELi16ELi16ELi32ELi32ELi8ELi32ELi8ELi8ELi32ELc84ELc67EKPKS2_S5_KPS2_EEvlllT_PT11_llSA_llS8_PT12_llPT13_lli.uses_flat_scratch, 1
	.set _ZN12_GLOBAL__N_127rocblas_gemm_batched_kernelI19rocblas_complex_numIdELi16ELi16ELi32ELi32ELi8ELi32ELi8ELi8ELi32ELc84ELc67EKPKS2_S5_KPS2_EEvlllT_PT11_llSA_llS8_PT12_llPT13_lli.has_dyn_sized_stack, 0
	.set _ZN12_GLOBAL__N_127rocblas_gemm_batched_kernelI19rocblas_complex_numIdELi16ELi16ELi32ELi32ELi8ELi32ELi8ELi8ELi32ELc84ELc67EKPKS2_S5_KPS2_EEvlllT_PT11_llSA_llS8_PT12_llPT13_lli.has_recursion, 0
	.set _ZN12_GLOBAL__N_127rocblas_gemm_batched_kernelI19rocblas_complex_numIdELi16ELi16ELi32ELi32ELi8ELi32ELi8ELi8ELi32ELc84ELc67EKPKS2_S5_KPS2_EEvlllT_PT11_llSA_llS8_PT12_llPT13_lli.has_indirect_call, 0
	.section	.AMDGPU.csdata,"",@progbits
; Kernel info:
; codeLenInByte = 3280
; TotalNumSgprs: 54
; NumVgprs: 131
; ScratchSize: 0
; MemoryBound: 0
; FloatMode: 240
; IeeeMode: 1
; LDSByteSize: 8192 bytes/workgroup (compile time only)
; SGPRBlocks: 0
; VGPRBlocks: 16
; NumSGPRsForWavesPerEU: 54
; NumVGPRsForWavesPerEU: 131
; Occupancy: 10
; WaveLimiterHint : 1
; COMPUTE_PGM_RSRC2:SCRATCH_EN: 0
; COMPUTE_PGM_RSRC2:USER_SGPR: 2
; COMPUTE_PGM_RSRC2:TRAP_HANDLER: 0
; COMPUTE_PGM_RSRC2:TGID_X_EN: 1
; COMPUTE_PGM_RSRC2:TGID_Y_EN: 1
; COMPUTE_PGM_RSRC2:TGID_Z_EN: 1
; COMPUTE_PGM_RSRC2:TIDIG_COMP_CNT: 1
	.section	.text._ZN12_GLOBAL__N_135rocblas_gemm_batched_general_kernelI19rocblas_complex_numIdELi16ELi16ELi32ELi32ELi8ELi32ELi8ELi8ELi32ELc78ELc78EKPKS2_S5_KPS2_EEvlllT_PT11_llSA_llS8_PT12_llPT13_lli,"axG",@progbits,_ZN12_GLOBAL__N_135rocblas_gemm_batched_general_kernelI19rocblas_complex_numIdELi16ELi16ELi32ELi32ELi8ELi32ELi8ELi8ELi32ELc78ELc78EKPKS2_S5_KPS2_EEvlllT_PT11_llSA_llS8_PT12_llPT13_lli,comdat
	.globl	_ZN12_GLOBAL__N_135rocblas_gemm_batched_general_kernelI19rocblas_complex_numIdELi16ELi16ELi32ELi32ELi8ELi32ELi8ELi8ELi32ELc78ELc78EKPKS2_S5_KPS2_EEvlllT_PT11_llSA_llS8_PT12_llPT13_lli ; -- Begin function _ZN12_GLOBAL__N_135rocblas_gemm_batched_general_kernelI19rocblas_complex_numIdELi16ELi16ELi32ELi32ELi8ELi32ELi8ELi8ELi32ELc78ELc78EKPKS2_S5_KPS2_EEvlllT_PT11_llSA_llS8_PT12_llPT13_lli
	.p2align	8
	.type	_ZN12_GLOBAL__N_135rocblas_gemm_batched_general_kernelI19rocblas_complex_numIdELi16ELi16ELi32ELi32ELi8ELi32ELi8ELi8ELi32ELc78ELc78EKPKS2_S5_KPS2_EEvlllT_PT11_llSA_llS8_PT12_llPT13_lli,@function
_ZN12_GLOBAL__N_135rocblas_gemm_batched_general_kernelI19rocblas_complex_numIdELi16ELi16ELi32ELi32ELi8ELi32ELi8ELi8ELi32ELc78ELc78EKPKS2_S5_KPS2_EEvlllT_PT11_llSA_llS8_PT12_llPT13_lli: ; @_ZN12_GLOBAL__N_135rocblas_gemm_batched_general_kernelI19rocblas_complex_numIdELi16ELi16ELi32ELi32ELi8ELi32ELi8ELi8ELi32ELc78ELc78EKPKS2_S5_KPS2_EEvlllT_PT11_llSA_llS8_PT12_llPT13_lli
; %bb.0:
	s_load_b32 s33, s[0:1], 0x98
	s_lshr_b32 s6, ttmp7, 16
	s_wait_kmcnt 0x0
	s_cmp_ge_i32 s6, s33
	s_cbranch_scc1 .LBB281_39
; %bb.1:
	s_clause 0x3
	s_load_b512 s[8:23], s[0:1], 0x40
	s_load_b512 s[36:51], s[0:1], 0x0
	s_load_b64 s[30:31], s[0:1], 0x90
	s_load_b128 s[24:27], s[0:1], 0x80
	v_bfe_u32 v2, v0, 10, 10
	v_dual_mov_b32 v1, 0 :: v_dual_and_b32 v4, 0x3ff, v0
	s_mov_b32 s28, ttmp9
	s_ashr_i32 s29, ttmp9, 31
	s_and_b32 s2, ttmp7, 0xffff
	s_lshl_b64 s[0:1], s[28:29], 5
	s_delay_alu instid0(SALU_CYCLE_1)
	v_dual_mov_b32 v3, s1 :: v_dual_and_b32 v0, 7, v0
	v_lshl_add_u32 v7, v2, 4, v4
	s_lshl_b32 s2, s2, 5
	v_lshlrev_b32_e32 v35, 4, v4
	v_add_co_u32 v9, s4, s2, v2
	v_lshlrev_b32_e32 v24, 4, v0
	v_add_co_ci_u32_e64 v10, null, 0, 0, s4
	v_add_co_u32 v5, s4, s0, v4
	v_and_b32_e32 v4, 31, v7
	v_lshrrev_b32_e32 v37, 5, v7
	v_lshrrev_b32_e32 v7, 3, v7
	s_wait_kmcnt 0x0
	v_cmp_eq_f64_e64 s3, s[14:15], 0
	v_cmp_eq_f64_e64 s5, s[16:17], 0
	v_lshl_add_u32 v36, v2, 7, 0x1000
	v_or_b32_e32 v2, s0, v4
	v_add_co_u32 v13, s0, v7, s2
	v_mad_co_u64_u32 v[16:17], null, s48, v37, 0
	v_lshlrev_b32_e32 v25, 4, v4
	v_lshl_or_b32 v4, v7, 7, v24
	v_mad_co_u64_u32 v[7:8], null, v9, s26, 0
	s_wait_alu 0xf1ff
	v_add_co_ci_u32_e64 v14, null, 0, 0, s0
	v_add_co_ci_u32_e64 v6, null, s1, 0, s4
	v_add_co_u32 v11, vcc_lo, v5, 16
	s_delay_alu instid0(VALU_DEP_3)
	v_cmp_gt_i64_e64 s4, s[38:39], v[13:14]
	v_mad_co_u64_u32 v[14:15], null, v9, s20, 0
	v_dual_mov_b32 v4, v8 :: v_dual_add_nc_u32 v39, 0x1000, v4
	v_add_co_ci_u32_e64 v12, null, 0, v6, vcc_lo
	v_cmp_gt_i64_e32 vcc_lo, s[36:37], v[2:3]
	v_mad_co_u64_u32 v[2:3], null, s10, v13, 0
	s_delay_alu instid0(VALU_DEP_4) | instskip(SKIP_4) | instid1(VALU_DEP_4)
	v_mad_co_u64_u32 v[18:19], null, v9, s27, v[4:5]
	v_mov_b32_e32 v4, v17
	v_mov_b32_e32 v8, v15
	v_add_co_u32 v19, s1, v9, 16
	v_cmp_gt_i64_e64 s0, s[38:39], v[9:10]
	v_mad_co_u64_u32 v[21:22], null, s11, v13, v[3:4]
	v_mad_co_u64_u32 v[22:23], null, s49, v37, v[4:5]
	s_wait_alu 0xf1ff
	v_add_co_ci_u32_e64 v20, null, 0, v10, s1
	v_mad_co_u64_u32 v[9:10], null, v9, s21, v[8:9]
	s_delay_alu instid0(VALU_DEP_4) | instskip(NEXT) | instid1(VALU_DEP_4)
	v_dual_mov_b32 v3, v21 :: v_dual_mov_b32 v8, v18
	v_mov_b32_e32 v17, v22
	s_lshl_b64 s[12:13], s[12:13], 4
	s_and_b32 s34, s3, s5
	s_delay_alu instid0(VALU_DEP_2) | instskip(NEXT) | instid1(VALU_DEP_4)
	v_lshlrev_b64_e32 v[2:3], 4, v[2:3]
	v_mov_b32_e32 v15, v9
	v_lshlrev_b64_e32 v[9:10], 4, v[16:17]
	s_lshl_b64 s[10:11], s[26:27], 4
	s_lshl_b64 s[26:27], s[20:21], 4
	;; [unrolled: 1-line block ×4, first 2 shown]
	v_add_co_u32 v2, s5, v2, s12
	s_wait_alu 0xf1ff
	v_add_co_ci_u32_e64 v3, null, s13, v3, s5
	s_wait_alu 0xfffe
	s_add_nc_u64 s[12:13], s[28:29], s[20:21]
	v_cmp_gt_i64_e64 s1, s[36:37], v[5:6]
	s_wait_alu 0xfffe
	v_add_co_u32 v4, s5, s12, v9
	s_wait_alu 0xf1ff
	v_add_co_ci_u32_e64 v9, null, s13, v10, s5
	v_add_co_u32 v40, s5, v2, v24
	s_wait_alu 0xf1ff
	v_add_co_ci_u32_e64 v41, null, 0, v3, s5
	v_add_co_u32 v42, s5, v4, v25
	v_cmp_gt_i64_e64 s2, s[36:37], v[11:12]
	v_cmp_gt_i64_e64 s3, s[38:39], v[19:20]
	s_wait_alu 0xf1ff
	v_add_co_ci_u32_e64 v43, null, 0, v9, s5
	v_cmp_gt_i64_e64 s28, s[40:41], 0
	v_lshlrev_b64_e32 v[9:10], 4, v[14:15]
	v_lshl_or_b32 v38, v37, 9, v25
	s_mov_b32 s7, 0
	s_lshl_b64 s[12:13], s[48:49], 7
	s_xor_b32 s29, vcc_lo, -1
	s_xor_b32 s35, s4, -1
	s_lshl_b64 s[4:5], s[30:31], 4
	s_lshl_b64 s[20:21], s[22:23], 4
	;; [unrolled: 1-line block ×3, first 2 shown]
	s_branch .LBB281_4
.LBB281_2:                              ;   in Loop: Header=BB281_4 Depth=1
	s_wait_alu 0xfffe
	s_or_b32 exec_lo, exec_lo, s26
.LBB281_3:                              ;   in Loop: Header=BB281_4 Depth=1
	s_add_co_i32 s6, s6, 0x10000
	s_delay_alu instid0(SALU_CYCLE_1)
	s_cmp_lt_i32 s6, s33
	s_cbranch_scc0 .LBB281_39
.LBB281_4:                              ; =>This Loop Header: Depth=1
                                        ;     Child Loop BB281_7 Depth 2
	s_lshl_b64 s[26:27], s[6:7], 3
	s_and_not1_b32 vcc_lo, exec_lo, s28
	s_wait_alu 0xfffe
	s_add_nc_u64 s[30:31], s[18:19], s[26:27]
	s_add_nc_u64 s[36:37], s[24:25], s[26:27]
	s_clause 0x1
	global_load_b64 v[11:12], v1, s[30:31]
	global_load_b64 v[13:14], v1, s[36:37]
	s_cbranch_vccnz .LBB281_15
; %bb.5:                                ;   in Loop: Header=BB281_4 Depth=1
	s_add_nc_u64 s[30:31], s[8:9], s[26:27]
	s_add_nc_u64 s[26:27], s[46:47], s[26:27]
	s_clause 0x1
	global_load_b64 v[2:3], v1, s[30:31]
	global_load_b64 v[17:18], v1, s[26:27]
	v_mov_b32_e32 v21, 0
	v_mov_b32_e32 v25, 0
	;; [unrolled: 1-line block ×3, first 2 shown]
	v_dual_mov_b32 v33, 0 :: v_dual_mov_b32 v22, 0
	v_dual_mov_b32 v19, 0 :: v_dual_mov_b32 v26, 0
	;; [unrolled: 1-line block ×5, first 2 shown]
	v_mov_b32_e32 v24, 0
	v_mov_b32_e32 v28, 0
	;; [unrolled: 1-line block ×3, first 2 shown]
	s_mov_b64 s[26:27], 0
	s_wait_loadcnt 0x1
	v_add_co_u32 v15, vcc_lo, v2, v40
	s_wait_alu 0xfffd
	v_add_co_ci_u32_e64 v16, null, v3, v41, vcc_lo
	s_wait_loadcnt 0x0
	v_add_co_u32 v17, vcc_lo, v17, v42
	s_wait_alu 0xfffd
	v_add_co_ci_u32_e64 v18, null, v18, v43, vcc_lo
	s_branch .LBB281_7
.LBB281_6:                              ;   in Loop: Header=BB281_7 Depth=2
	s_wait_alu 0xfffe
	s_or_b32 exec_lo, exec_lo, s30
	s_wait_dscnt 0x0
	s_barrier_signal -1
	s_barrier_wait -1
	global_inv scope:SCOPE_SE
	ds_load_b128 v[44:47], v36
	ds_load_b128 v[48:51], v35
	ds_load_b128 v[52:55], v35 offset:256
	ds_load_b128 v[56:59], v36 offset:2048
	;; [unrolled: 1-line block ×10, first 2 shown]
	s_add_nc_u64 s[26:27], s[26:27], 8
	v_add_co_u32 v15, vcc_lo, 0x80, v15
	s_wait_alu 0xfffe
	v_cmp_lt_i64_e64 s30, s[26:27], s[40:41]
	s_wait_alu 0xfffd
	v_add_co_ci_u32_e64 v16, null, 0, v16, vcc_lo
	v_add_co_u32 v17, vcc_lo, v17, s12
	s_wait_alu 0xfffd
	v_add_co_ci_u32_e64 v18, null, s13, v18, vcc_lo
	s_and_b32 vcc_lo, exec_lo, s30
	s_wait_dscnt 0xa
	v_mul_f64_e32 v[2:3], v[46:47], v[50:51]
	v_mul_f64_e32 v[92:93], v[44:45], v[50:51]
	s_wait_dscnt 0x9
	v_mul_f64_e32 v[94:95], v[46:47], v[54:55]
	v_mul_f64_e32 v[96:97], v[44:45], v[54:55]
	s_wait_dscnt 0x8
	v_mul_f64_e32 v[98:99], v[58:59], v[50:51]
	v_mul_f64_e32 v[50:51], v[56:57], v[50:51]
	v_mul_f64_e32 v[100:101], v[58:59], v[54:55]
	v_mul_f64_e32 v[54:55], v[56:57], v[54:55]
	s_wait_dscnt 0x5
	v_mul_f64_e32 v[102:103], v[62:63], v[70:71]
	v_mul_f64_e32 v[104:105], v[60:61], v[70:71]
	s_wait_dscnt 0x4
	v_mul_f64_e32 v[106:107], v[62:63], v[74:75]
	v_mul_f64_e32 v[108:109], v[60:61], v[74:75]
	;; [unrolled: 1-line block ×6, first 2 shown]
	s_wait_dscnt 0x2
	v_mul_f64_e32 v[118:119], v[78:79], v[82:83]
	v_mul_f64_e32 v[120:121], v[76:77], v[82:83]
	s_wait_dscnt 0x1
	v_mul_f64_e32 v[122:123], v[78:79], v[86:87]
	v_mul_f64_e32 v[124:125], v[76:77], v[86:87]
	;; [unrolled: 3-line block ×3, first 2 shown]
	v_mul_f64_e32 v[128:129], v[90:91], v[86:87]
	v_mul_f64_e32 v[86:87], v[88:89], v[86:87]
	v_fma_f64 v[2:3], v[44:45], v[48:49], -v[2:3]
	v_fma_f64 v[92:93], v[46:47], v[48:49], v[92:93]
	v_fma_f64 v[94:95], v[44:45], v[52:53], -v[94:95]
	v_fma_f64 v[96:97], v[46:47], v[52:53], v[96:97]
	;; [unrolled: 2-line block ×8, first 2 shown]
	ds_load_b128 v[44:47], v36 offset:48
	ds_load_b128 v[48:51], v36 offset:2096
	;; [unrolled: 1-line block ×4, first 2 shown]
	v_fma_f64 v[118:119], v[76:77], v[80:81], -v[118:119]
	v_fma_f64 v[120:121], v[78:79], v[80:81], v[120:121]
	v_fma_f64 v[76:77], v[76:77], v[84:85], -v[122:123]
	v_fma_f64 v[78:79], v[78:79], v[84:85], v[124:125]
	;; [unrolled: 2-line block ×4, first 2 shown]
	s_wait_dscnt 0x1
	v_mul_f64_e32 v[108:109], v[44:45], v[54:55]
	s_wait_dscnt 0x0
	v_mul_f64_e32 v[110:111], v[46:47], v[58:59]
	v_mul_f64_e32 v[112:113], v[44:45], v[58:59]
	v_add_f64_e32 v[2:3], v[31:32], v[2:3]
	v_add_f64_e32 v[70:71], v[92:93], v[33:34]
	;; [unrolled: 1-line block ×8, first 2 shown]
	v_mul_f64_e32 v[100:101], v[46:47], v[54:55]
	v_mul_f64_e32 v[114:115], v[50:51], v[54:55]
	;; [unrolled: 1-line block ×5, first 2 shown]
	ds_load_b128 v[19:22], v36 offset:64
	ds_load_b128 v[23:26], v35 offset:2048
	;; [unrolled: 1-line block ×4, first 2 shown]
	s_wait_dscnt 0x0
	v_mul_f64_e32 v[124:125], v[33:34], v[25:26]
	v_mul_f64_e32 v[126:127], v[33:34], v[29:30]
	v_fma_f64 v[108:109], v[46:47], v[52:53], v[108:109]
	v_fma_f64 v[110:111], v[44:45], v[56:57], -v[110:111]
	v_fma_f64 v[112:113], v[46:47], v[56:57], v[112:113]
	v_add_f64_e32 v[2:3], v[2:3], v[102:103]
	v_add_f64_e32 v[86:87], v[104:105], v[70:71]
	;; [unrolled: 1-line block ×8, first 2 shown]
	v_mul_f64_e32 v[98:99], v[21:22], v[25:26]
	v_mul_f64_e32 v[102:103], v[19:20], v[25:26]
	v_mul_f64_e32 v[104:105], v[21:22], v[29:30]
	v_mul_f64_e32 v[106:107], v[19:20], v[29:30]
	v_mul_f64_e32 v[25:26], v[31:32], v[25:26]
	v_mul_f64_e32 v[29:30], v[31:32], v[29:30]
	v_fma_f64 v[100:101], v[44:45], v[52:53], -v[100:101]
	v_fma_f64 v[114:115], v[48:49], v[52:53], -v[114:115]
	v_fma_f64 v[128:129], v[50:51], v[52:53], v[54:55]
	v_fma_f64 v[116:117], v[48:49], v[56:57], -v[116:117]
	v_fma_f64 v[56:57], v[50:51], v[56:57], v[130:131]
	ds_load_b128 v[58:61], v36 offset:80
	ds_load_b128 v[62:65], v36 offset:2128
	;; [unrolled: 1-line block ×4, first 2 shown]
	v_fma_f64 v[124:125], v[31:32], v[23:24], -v[124:125]
	v_fma_f64 v[126:127], v[31:32], v[27:28], -v[126:127]
	v_add_f64_e32 v[2:3], v[2:3], v[118:119]
	v_add_f64_e32 v[86:87], v[120:121], v[86:87]
	;; [unrolled: 1-line block ×8, first 2 shown]
	s_wait_dscnt 0x1
	v_mul_f64_e32 v[92:93], v[60:61], v[68:69]
	v_mul_f64_e32 v[94:95], v[58:59], v[68:69]
	s_wait_dscnt 0x0
	v_mul_f64_e32 v[96:97], v[60:61], v[72:73]
	v_mul_f64_e32 v[118:119], v[58:59], v[72:73]
	;; [unrolled: 1-line block ×6, first 2 shown]
	v_fma_f64 v[98:99], v[19:20], v[23:24], -v[98:99]
	v_fma_f64 v[102:103], v[21:22], v[23:24], v[102:103]
	v_fma_f64 v[104:105], v[19:20], v[27:28], -v[104:105]
	v_fma_f64 v[106:107], v[21:22], v[27:28], v[106:107]
	v_fma_f64 v[130:131], v[33:34], v[23:24], v[25:26]
	;; [unrolled: 1-line block ×3, first 2 shown]
	ds_load_b128 v[44:47], v36 offset:96
	ds_load_b128 v[48:51], v35 offset:3072
	;; [unrolled: 1-line block ×8, first 2 shown]
	s_wait_loadcnt_dscnt 0x0
	s_barrier_signal -1
	s_barrier_wait -1
	global_inv scope:SCOPE_SE
	v_add_f64_e32 v[2:3], v[2:3], v[100:101]
	v_add_f64_e32 v[86:87], v[108:109], v[86:87]
	;; [unrolled: 1-line block ×8, first 2 shown]
	v_mul_f64_e32 v[84:85], v[46:47], v[50:51]
	v_mul_f64_e32 v[100:101], v[44:45], v[50:51]
	;; [unrolled: 1-line block ×8, first 2 shown]
	v_fma_f64 v[92:93], v[58:59], v[66:67], -v[92:93]
	v_fma_f64 v[94:95], v[60:61], v[66:67], v[94:95]
	v_fma_f64 v[58:59], v[58:59], v[70:71], -v[96:97]
	v_fma_f64 v[60:61], v[60:61], v[70:71], v[118:119]
	;; [unrolled: 2-line block ×4, first 2 shown]
	v_add_f64_e32 v[2:3], v[2:3], v[98:99]
	v_add_f64_e32 v[68:69], v[102:103], v[86:87]
	;; [unrolled: 1-line block ×8, first 2 shown]
	v_mul_f64_e32 v[86:87], v[21:22], v[29:30]
	v_mul_f64_e32 v[88:89], v[19:20], v[29:30]
	;; [unrolled: 1-line block ×8, first 2 shown]
	v_fma_f64 v[84:85], v[44:45], v[48:49], -v[84:85]
	v_fma_f64 v[100:101], v[46:47], v[48:49], v[100:101]
	v_fma_f64 v[44:45], v[44:45], v[52:53], -v[108:109]
	v_fma_f64 v[46:47], v[46:47], v[52:53], v[110:111]
	;; [unrolled: 2-line block ×4, first 2 shown]
	v_add_f64_e32 v[2:3], v[2:3], v[92:93]
	v_add_f64_e32 v[54:55], v[94:95], v[68:69]
	;; [unrolled: 1-line block ×8, first 2 shown]
	v_fma_f64 v[64:65], v[19:20], v[27:28], -v[86:87]
	v_fma_f64 v[70:71], v[21:22], v[27:28], v[88:89]
	v_fma_f64 v[19:20], v[19:20], v[31:32], -v[90:91]
	v_fma_f64 v[21:22], v[21:22], v[31:32], v[98:99]
	;; [unrolled: 2-line block ×4, first 2 shown]
	v_add_f64_e32 v[2:3], v[2:3], v[84:85]
	v_add_f64_e32 v[23:24], v[100:101], v[54:55]
	;; [unrolled: 1-line block ×16, first 2 shown]
	s_wait_alu 0xfffe
	s_cbranch_vccz .LBB281_16
.LBB281_7:                              ;   Parent Loop BB281_4 Depth=1
                                        ; =>  This Inner Loop Header: Depth=2
	s_wait_alu 0xfffe
	v_add_co_u32 v2, s30, v37, s26
	s_wait_alu 0xf1ff
	v_add_co_ci_u32_e64 v3, null, 0, s27, s30
	s_delay_alu instid0(VALU_DEP_1)
	v_cmp_le_i64_e32 vcc_lo, s[40:41], v[2:3]
	s_or_b32 s30, s29, vcc_lo
	s_wait_alu 0xfffe
	s_and_saveexec_b32 s31, s30
	s_wait_alu 0xfffe
	s_xor_b32 s30, exec_lo, s31
; %bb.8:                                ;   in Loop: Header=BB281_7 Depth=2
	v_dual_mov_b32 v2, v1 :: v_dual_mov_b32 v3, v1
	v_mov_b32_e32 v4, v1
	ds_store_b128 v38, v[1:4]
; %bb.9:                                ;   in Loop: Header=BB281_7 Depth=2
	s_wait_alu 0xfffe
	s_and_not1_saveexec_b32 s30, s30
	s_cbranch_execz .LBB281_11
; %bb.10:                               ;   in Loop: Header=BB281_7 Depth=2
	flat_load_b128 v[44:47], v[17:18]
	s_wait_loadcnt_dscnt 0x0
	ds_store_2addr_b64 v38, v[44:45], v[46:47] offset1:1
.LBB281_11:                             ;   in Loop: Header=BB281_7 Depth=2
	s_wait_alu 0xfffe
	s_or_b32 exec_lo, exec_lo, s30
	v_add_co_u32 v2, s30, v0, s26
	s_wait_alu 0xf1ff
	v_add_co_ci_u32_e64 v3, null, 0, s27, s30
	s_delay_alu instid0(VALU_DEP_1)
	v_cmp_le_i64_e32 vcc_lo, s[40:41], v[2:3]
	s_or_b32 s30, vcc_lo, s35
	s_wait_alu 0xfffe
	s_and_saveexec_b32 s31, s30
	s_wait_alu 0xfffe
	s_xor_b32 s30, exec_lo, s31
; %bb.12:                               ;   in Loop: Header=BB281_7 Depth=2
	v_dual_mov_b32 v2, v1 :: v_dual_mov_b32 v3, v1
	v_mov_b32_e32 v4, v1
	ds_store_b128 v39, v[1:4]
; %bb.13:                               ;   in Loop: Header=BB281_7 Depth=2
	s_wait_alu 0xfffe
	s_and_not1_saveexec_b32 s30, s30
	s_cbranch_execz .LBB281_6
; %bb.14:                               ;   in Loop: Header=BB281_7 Depth=2
	flat_load_b128 v[44:47], v[15:16]
	s_wait_loadcnt_dscnt 0x0
	ds_store_2addr_b64 v39, v[44:45], v[46:47] offset1:1
	s_branch .LBB281_6
.LBB281_15:                             ;   in Loop: Header=BB281_4 Depth=1
	v_mov_b32_e32 v31, 0
	v_mov_b32_e32 v27, 0
	;; [unrolled: 1-line block ×3, first 2 shown]
	v_dual_mov_b32 v19, 0 :: v_dual_mov_b32 v32, 0
	v_dual_mov_b32 v33, 0 :: v_dual_mov_b32 v28, 0
	;; [unrolled: 1-line block ×5, first 2 shown]
	v_mov_b32_e32 v30, 0
	v_mov_b32_e32 v26, 0
	;; [unrolled: 1-line block ×3, first 2 shown]
.LBB281_16:                             ;   in Loop: Header=BB281_4 Depth=1
	s_wait_loadcnt 0x0
	v_add_co_u32 v4, vcc_lo, v13, s4
	s_wait_alu 0xfffd
	v_add_co_ci_u32_e64 v13, null, s5, v14, vcc_lo
	s_and_not1_b32 vcc_lo, exec_lo, s34
	s_mov_b32 s26, -1
	s_wait_alu 0xfffe
	s_cbranch_vccz .LBB281_18
; %bb.17:                               ;   in Loop: Header=BB281_4 Depth=1
	s_and_not1_b32 vcc_lo, exec_lo, s26
	s_wait_alu 0xfffe
	s_cbranch_vccnz .LBB281_3
	s_branch .LBB281_29
.LBB281_18:                             ;   in Loop: Header=BB281_4 Depth=1
	s_and_saveexec_b32 s26, s0
	s_cbranch_execz .LBB281_28
; %bb.19:                               ;   in Loop: Header=BB281_4 Depth=1
	v_lshlrev_b64_e32 v[2:3], 4, v[7:8]
	s_delay_alu instid0(VALU_DEP_1) | instskip(SKIP_1) | instid1(VALU_DEP_2)
	v_add_co_u32 v2, vcc_lo, v4, v2
	s_wait_alu 0xfffd
	v_add_co_ci_u32_e64 v3, null, v13, v3, vcc_lo
	s_and_saveexec_b32 s27, s1
	s_cbranch_execnz .LBB281_22
; %bb.20:                               ;   in Loop: Header=BB281_4 Depth=1
	s_wait_alu 0xfffe
	s_or_b32 exec_lo, exec_lo, s27
	s_and_saveexec_b32 s27, s2
	s_cbranch_execnz .LBB281_23
.LBB281_21:                             ;   in Loop: Header=BB281_4 Depth=1
	s_wait_alu 0xfffe
	s_or_b32 exec_lo, exec_lo, s27
	s_delay_alu instid0(SALU_CYCLE_1)
	s_and_b32 exec_lo, exec_lo, s3
	s_cbranch_execnz .LBB281_24
	s_branch .LBB281_28
.LBB281_22:                             ;   in Loop: Header=BB281_4 Depth=1
	v_mul_f64_e32 v[14:15], s[44:45], v[33:34]
	v_mul_f64_e32 v[16:17], s[42:43], v[33:34]
	v_lshlrev_b64_e32 v[44:45], 4, v[5:6]
	s_delay_alu instid0(VALU_DEP_1) | instskip(SKIP_1) | instid1(VALU_DEP_2)
	v_add_co_u32 v44, vcc_lo, v2, v44
	s_wait_alu 0xfffd
	v_add_co_ci_u32_e64 v45, null, v3, v45, vcc_lo
	v_fma_f64 v[14:15], s[42:43], v[31:32], -v[14:15]
	v_fma_f64 v[16:17], s[44:45], v[31:32], v[16:17]
	flat_store_b128 v[44:45], v[14:17]
	s_wait_alu 0xfffe
	s_or_b32 exec_lo, exec_lo, s27
	s_and_saveexec_b32 s27, s2
	s_cbranch_execz .LBB281_21
.LBB281_23:                             ;   in Loop: Header=BB281_4 Depth=1
	v_mul_f64_e32 v[14:15], s[44:45], v[29:30]
	v_mul_f64_e32 v[16:17], s[42:43], v[29:30]
	v_lshlrev_b64_e32 v[44:45], 4, v[5:6]
	s_delay_alu instid0(VALU_DEP_1) | instskip(SKIP_1) | instid1(VALU_DEP_2)
	v_add_co_u32 v44, vcc_lo, v2, v44
	s_wait_alu 0xfffd
	v_add_co_ci_u32_e64 v45, null, v3, v45, vcc_lo
	v_fma_f64 v[14:15], s[42:43], v[27:28], -v[14:15]
	v_fma_f64 v[16:17], s[44:45], v[27:28], v[16:17]
	flat_store_b128 v[44:45], v[14:17] offset:256
	s_wait_alu 0xfffe
	s_or_b32 exec_lo, exec_lo, s27
	s_delay_alu instid0(SALU_CYCLE_1)
	s_and_b32 exec_lo, exec_lo, s3
	s_cbranch_execz .LBB281_28
.LBB281_24:                             ;   in Loop: Header=BB281_4 Depth=1
	s_lshl_b64 s[30:31], s[10:11], 4
	v_lshlrev_b64_e32 v[14:15], 4, v[5:6]
	s_wait_alu 0xfffe
	v_add_co_u32 v2, vcc_lo, v2, s30
	s_wait_alu 0xfffd
	v_add_co_ci_u32_e64 v3, null, s31, v3, vcc_lo
	s_delay_alu instid0(VALU_DEP_2) | instskip(SKIP_1) | instid1(VALU_DEP_2)
	v_add_co_u32 v2, vcc_lo, v2, v14
	s_wait_alu 0xfffd
	v_add_co_ci_u32_e64 v3, null, v3, v15, vcc_lo
	s_and_saveexec_b32 s27, s1
	s_cbranch_execz .LBB281_26
; %bb.25:                               ;   in Loop: Header=BB281_4 Depth=1
	v_mul_f64_e32 v[14:15], s[44:45], v[25:26]
	v_mul_f64_e32 v[16:17], s[42:43], v[25:26]
	s_delay_alu instid0(VALU_DEP_2) | instskip(NEXT) | instid1(VALU_DEP_2)
	v_fma_f64 v[14:15], s[42:43], v[23:24], -v[14:15]
	v_fma_f64 v[16:17], s[44:45], v[23:24], v[16:17]
	flat_store_b128 v[2:3], v[14:17]
.LBB281_26:                             ;   in Loop: Header=BB281_4 Depth=1
	s_wait_alu 0xfffe
	s_or_b32 exec_lo, exec_lo, s27
	s_delay_alu instid0(SALU_CYCLE_1)
	s_and_b32 exec_lo, exec_lo, s2
	s_cbranch_execz .LBB281_28
; %bb.27:                               ;   in Loop: Header=BB281_4 Depth=1
	v_mul_f64_e32 v[14:15], s[44:45], v[21:22]
	v_mul_f64_e32 v[16:17], s[42:43], v[21:22]
	s_delay_alu instid0(VALU_DEP_2) | instskip(NEXT) | instid1(VALU_DEP_2)
	v_fma_f64 v[14:15], s[42:43], v[19:20], -v[14:15]
	v_fma_f64 v[16:17], s[44:45], v[19:20], v[16:17]
	flat_store_b128 v[2:3], v[14:17] offset:256
.LBB281_28:                             ;   in Loop: Header=BB281_4 Depth=1
	s_wait_alu 0xfffe
	s_or_b32 exec_lo, exec_lo, s26
	s_cbranch_execnz .LBB281_3
.LBB281_29:                             ;   in Loop: Header=BB281_4 Depth=1
	s_and_saveexec_b32 s26, s0
	s_cbranch_execz .LBB281_2
; %bb.30:                               ;   in Loop: Header=BB281_4 Depth=1
	v_add_co_u32 v2, vcc_lo, v11, s20
	v_lshlrev_b64_e32 v[14:15], 4, v[7:8]
	s_wait_alu 0xfffd
	v_add_co_ci_u32_e64 v3, null, s21, v12, vcc_lo
	s_delay_alu instid0(VALU_DEP_3) | instskip(SKIP_1) | instid1(VALU_DEP_2)
	v_add_co_u32 v11, vcc_lo, v2, v9
	s_wait_alu 0xfffd
	v_add_co_ci_u32_e64 v12, null, v3, v10, vcc_lo
	v_add_co_u32 v4, vcc_lo, v4, v14
	v_lshlrev_b64_e32 v[2:3], 4, v[5:6]
	s_wait_alu 0xfffd
	v_add_co_ci_u32_e64 v13, null, v13, v15, vcc_lo
	s_and_saveexec_b32 s27, s1
	s_cbranch_execnz .LBB281_33
; %bb.31:                               ;   in Loop: Header=BB281_4 Depth=1
	s_wait_alu 0xfffe
	s_or_b32 exec_lo, exec_lo, s27
	s_and_saveexec_b32 s27, s2
	s_cbranch_execnz .LBB281_34
.LBB281_32:                             ;   in Loop: Header=BB281_4 Depth=1
	s_wait_alu 0xfffe
	s_or_b32 exec_lo, exec_lo, s27
	s_delay_alu instid0(SALU_CYCLE_1)
	s_and_b32 exec_lo, exec_lo, s3
	s_cbranch_execz .LBB281_2
	s_branch .LBB281_35
.LBB281_33:                             ;   in Loop: Header=BB281_4 Depth=1
	v_add_co_u32 v14, vcc_lo, v11, v2
	s_wait_alu 0xfffd
	v_add_co_ci_u32_e64 v15, null, v12, v3, vcc_lo
	v_mul_f64_e32 v[44:45], s[44:45], v[33:34]
	v_mul_f64_e32 v[33:34], s[42:43], v[33:34]
	flat_load_b128 v[14:17], v[14:15]
	v_fma_f64 v[44:45], s[42:43], v[31:32], -v[44:45]
	v_fma_f64 v[31:32], s[44:45], v[31:32], v[33:34]
	s_wait_loadcnt_dscnt 0x0
	v_mul_f64_e32 v[46:47], s[16:17], v[16:17]
	v_mul_f64_e32 v[16:17], s[14:15], v[16:17]
	s_delay_alu instid0(VALU_DEP_2) | instskip(NEXT) | instid1(VALU_DEP_2)
	v_fma_f64 v[33:34], s[14:15], v[14:15], -v[46:47]
	v_fma_f64 v[16:17], s[16:17], v[14:15], v[16:17]
	s_delay_alu instid0(VALU_DEP_2) | instskip(NEXT) | instid1(VALU_DEP_2)
	v_add_f64_e32 v[14:15], v[44:45], v[33:34]
	v_add_f64_e32 v[16:17], v[31:32], v[16:17]
	v_add_co_u32 v31, vcc_lo, v4, v2
	s_wait_alu 0xfffd
	v_add_co_ci_u32_e64 v32, null, v13, v3, vcc_lo
	flat_store_b128 v[31:32], v[14:17]
	s_wait_alu 0xfffe
	s_or_b32 exec_lo, exec_lo, s27
	s_and_saveexec_b32 s27, s2
	s_cbranch_execz .LBB281_32
.LBB281_34:                             ;   in Loop: Header=BB281_4 Depth=1
	v_add_co_u32 v14, vcc_lo, v11, v2
	s_wait_alu 0xfffd
	v_add_co_ci_u32_e64 v15, null, v12, v3, vcc_lo
	v_mul_f64_e32 v[31:32], s[44:45], v[29:30]
	v_mul_f64_e32 v[29:30], s[42:43], v[29:30]
	flat_load_b128 v[14:17], v[14:15] offset:256
	v_fma_f64 v[31:32], s[42:43], v[27:28], -v[31:32]
	v_fma_f64 v[27:28], s[44:45], v[27:28], v[29:30]
	s_wait_loadcnt_dscnt 0x0
	v_mul_f64_e32 v[33:34], s[16:17], v[16:17]
	v_mul_f64_e32 v[16:17], s[14:15], v[16:17]
	s_delay_alu instid0(VALU_DEP_2) | instskip(NEXT) | instid1(VALU_DEP_2)
	v_fma_f64 v[29:30], s[14:15], v[14:15], -v[33:34]
	v_fma_f64 v[16:17], s[16:17], v[14:15], v[16:17]
	s_delay_alu instid0(VALU_DEP_2) | instskip(NEXT) | instid1(VALU_DEP_2)
	v_add_f64_e32 v[14:15], v[31:32], v[29:30]
	v_add_f64_e32 v[16:17], v[27:28], v[16:17]
	v_add_co_u32 v27, vcc_lo, v4, v2
	s_wait_alu 0xfffd
	v_add_co_ci_u32_e64 v28, null, v13, v3, vcc_lo
	flat_store_b128 v[27:28], v[14:17] offset:256
	s_wait_alu 0xfffe
	s_or_b32 exec_lo, exec_lo, s27
	s_delay_alu instid0(SALU_CYCLE_1)
	s_and_b32 exec_lo, exec_lo, s3
	s_cbranch_execz .LBB281_2
.LBB281_35:                             ;   in Loop: Header=BB281_4 Depth=1
	v_add_co_u32 v11, vcc_lo, v11, s22
	s_lshl_b64 s[30:31], s[10:11], 4
	s_wait_alu 0xfffd
	v_add_co_ci_u32_e64 v12, null, s23, v12, vcc_lo
	s_wait_alu 0xfffe
	v_add_co_u32 v4, vcc_lo, v4, s30
	s_wait_alu 0xfffd
	v_add_co_ci_u32_e64 v13, null, s31, v13, vcc_lo
	v_add_co_u32 v11, vcc_lo, v11, v2
	s_wait_alu 0xfffd
	v_add_co_ci_u32_e64 v12, null, v12, v3, vcc_lo
	;; [unrolled: 3-line block ×3, first 2 shown]
	s_and_saveexec_b32 s27, s1
	s_cbranch_execz .LBB281_37
; %bb.36:                               ;   in Loop: Header=BB281_4 Depth=1
	flat_load_b128 v[13:16], v[11:12]
	v_mul_f64_e32 v[17:18], s[44:45], v[25:26]
	v_mul_f64_e32 v[25:26], s[42:43], v[25:26]
	s_delay_alu instid0(VALU_DEP_2) | instskip(NEXT) | instid1(VALU_DEP_2)
	v_fma_f64 v[17:18], s[42:43], v[23:24], -v[17:18]
	v_fma_f64 v[23:24], s[44:45], v[23:24], v[25:26]
	s_wait_loadcnt_dscnt 0x0
	v_mul_f64_e32 v[27:28], s[16:17], v[15:16]
	v_mul_f64_e32 v[15:16], s[14:15], v[15:16]
	s_delay_alu instid0(VALU_DEP_2) | instskip(NEXT) | instid1(VALU_DEP_2)
	v_fma_f64 v[25:26], s[14:15], v[13:14], -v[27:28]
	v_fma_f64 v[15:16], s[16:17], v[13:14], v[15:16]
	s_delay_alu instid0(VALU_DEP_2) | instskip(NEXT) | instid1(VALU_DEP_2)
	v_add_f64_e32 v[13:14], v[17:18], v[25:26]
	v_add_f64_e32 v[15:16], v[23:24], v[15:16]
	flat_store_b128 v[2:3], v[13:16]
.LBB281_37:                             ;   in Loop: Header=BB281_4 Depth=1
	s_wait_alu 0xfffe
	s_or_b32 exec_lo, exec_lo, s27
	s_delay_alu instid0(SALU_CYCLE_1)
	s_and_b32 exec_lo, exec_lo, s2
	s_cbranch_execz .LBB281_2
; %bb.38:                               ;   in Loop: Header=BB281_4 Depth=1
	flat_load_b128 v[11:14], v[11:12] offset:256
	v_mul_f64_e32 v[15:16], s[44:45], v[21:22]
	v_mul_f64_e32 v[17:18], s[42:43], v[21:22]
	s_delay_alu instid0(VALU_DEP_2) | instskip(NEXT) | instid1(VALU_DEP_2)
	v_fma_f64 v[15:16], s[42:43], v[19:20], -v[15:16]
	v_fma_f64 v[17:18], s[44:45], v[19:20], v[17:18]
	s_wait_loadcnt_dscnt 0x0
	v_mul_f64_e32 v[21:22], s[16:17], v[13:14]
	v_mul_f64_e32 v[13:14], s[14:15], v[13:14]
	s_delay_alu instid0(VALU_DEP_2) | instskip(NEXT) | instid1(VALU_DEP_2)
	v_fma_f64 v[19:20], s[14:15], v[11:12], -v[21:22]
	v_fma_f64 v[13:14], s[16:17], v[11:12], v[13:14]
	s_delay_alu instid0(VALU_DEP_2) | instskip(NEXT) | instid1(VALU_DEP_2)
	v_add_f64_e32 v[11:12], v[15:16], v[19:20]
	v_add_f64_e32 v[13:14], v[17:18], v[13:14]
	flat_store_b128 v[2:3], v[11:14] offset:256
	s_branch .LBB281_2
.LBB281_39:
	s_nop 0
	s_sendmsg sendmsg(MSG_DEALLOC_VGPRS)
	s_endpgm
	.section	.rodata,"a",@progbits
	.p2align	6, 0x0
	.amdhsa_kernel _ZN12_GLOBAL__N_135rocblas_gemm_batched_general_kernelI19rocblas_complex_numIdELi16ELi16ELi32ELi32ELi8ELi32ELi8ELi8ELi32ELc78ELc78EKPKS2_S5_KPS2_EEvlllT_PT11_llSA_llS8_PT12_llPT13_lli
		.amdhsa_group_segment_fixed_size 8192
		.amdhsa_private_segment_fixed_size 0
		.amdhsa_kernarg_size 156
		.amdhsa_user_sgpr_count 2
		.amdhsa_user_sgpr_dispatch_ptr 0
		.amdhsa_user_sgpr_queue_ptr 0
		.amdhsa_user_sgpr_kernarg_segment_ptr 1
		.amdhsa_user_sgpr_dispatch_id 0
		.amdhsa_user_sgpr_private_segment_size 0
		.amdhsa_wavefront_size32 1
		.amdhsa_uses_dynamic_stack 0
		.amdhsa_enable_private_segment 0
		.amdhsa_system_sgpr_workgroup_id_x 1
		.amdhsa_system_sgpr_workgroup_id_y 1
		.amdhsa_system_sgpr_workgroup_id_z 1
		.amdhsa_system_sgpr_workgroup_info 0
		.amdhsa_system_vgpr_workitem_id 1
		.amdhsa_next_free_vgpr 134
		.amdhsa_next_free_sgpr 52
		.amdhsa_reserve_vcc 1
		.amdhsa_float_round_mode_32 0
		.amdhsa_float_round_mode_16_64 0
		.amdhsa_float_denorm_mode_32 3
		.amdhsa_float_denorm_mode_16_64 3
		.amdhsa_fp16_overflow 0
		.amdhsa_workgroup_processor_mode 1
		.amdhsa_memory_ordered 1
		.amdhsa_forward_progress 1
		.amdhsa_inst_pref_size 30
		.amdhsa_round_robin_scheduling 0
		.amdhsa_exception_fp_ieee_invalid_op 0
		.amdhsa_exception_fp_denorm_src 0
		.amdhsa_exception_fp_ieee_div_zero 0
		.amdhsa_exception_fp_ieee_overflow 0
		.amdhsa_exception_fp_ieee_underflow 0
		.amdhsa_exception_fp_ieee_inexact 0
		.amdhsa_exception_int_div_zero 0
	.end_amdhsa_kernel
	.section	.text._ZN12_GLOBAL__N_135rocblas_gemm_batched_general_kernelI19rocblas_complex_numIdELi16ELi16ELi32ELi32ELi8ELi32ELi8ELi8ELi32ELc78ELc78EKPKS2_S5_KPS2_EEvlllT_PT11_llSA_llS8_PT12_llPT13_lli,"axG",@progbits,_ZN12_GLOBAL__N_135rocblas_gemm_batched_general_kernelI19rocblas_complex_numIdELi16ELi16ELi32ELi32ELi8ELi32ELi8ELi8ELi32ELc78ELc78EKPKS2_S5_KPS2_EEvlllT_PT11_llSA_llS8_PT12_llPT13_lli,comdat
.Lfunc_end281:
	.size	_ZN12_GLOBAL__N_135rocblas_gemm_batched_general_kernelI19rocblas_complex_numIdELi16ELi16ELi32ELi32ELi8ELi32ELi8ELi8ELi32ELc78ELc78EKPKS2_S5_KPS2_EEvlllT_PT11_llSA_llS8_PT12_llPT13_lli, .Lfunc_end281-_ZN12_GLOBAL__N_135rocblas_gemm_batched_general_kernelI19rocblas_complex_numIdELi16ELi16ELi32ELi32ELi8ELi32ELi8ELi8ELi32ELc78ELc78EKPKS2_S5_KPS2_EEvlllT_PT11_llSA_llS8_PT12_llPT13_lli
                                        ; -- End function
	.set _ZN12_GLOBAL__N_135rocblas_gemm_batched_general_kernelI19rocblas_complex_numIdELi16ELi16ELi32ELi32ELi8ELi32ELi8ELi8ELi32ELc78ELc78EKPKS2_S5_KPS2_EEvlllT_PT11_llSA_llS8_PT12_llPT13_lli.num_vgpr, 134
	.set _ZN12_GLOBAL__N_135rocblas_gemm_batched_general_kernelI19rocblas_complex_numIdELi16ELi16ELi32ELi32ELi8ELi32ELi8ELi8ELi32ELc78ELc78EKPKS2_S5_KPS2_EEvlllT_PT11_llSA_llS8_PT12_llPT13_lli.num_agpr, 0
	.set _ZN12_GLOBAL__N_135rocblas_gemm_batched_general_kernelI19rocblas_complex_numIdELi16ELi16ELi32ELi32ELi8ELi32ELi8ELi8ELi32ELc78ELc78EKPKS2_S5_KPS2_EEvlllT_PT11_llSA_llS8_PT12_llPT13_lli.numbered_sgpr, 52
	.set _ZN12_GLOBAL__N_135rocblas_gemm_batched_general_kernelI19rocblas_complex_numIdELi16ELi16ELi32ELi32ELi8ELi32ELi8ELi8ELi32ELc78ELc78EKPKS2_S5_KPS2_EEvlllT_PT11_llSA_llS8_PT12_llPT13_lli.num_named_barrier, 0
	.set _ZN12_GLOBAL__N_135rocblas_gemm_batched_general_kernelI19rocblas_complex_numIdELi16ELi16ELi32ELi32ELi8ELi32ELi8ELi8ELi32ELc78ELc78EKPKS2_S5_KPS2_EEvlllT_PT11_llSA_llS8_PT12_llPT13_lli.private_seg_size, 0
	.set _ZN12_GLOBAL__N_135rocblas_gemm_batched_general_kernelI19rocblas_complex_numIdELi16ELi16ELi32ELi32ELi8ELi32ELi8ELi8ELi32ELc78ELc78EKPKS2_S5_KPS2_EEvlllT_PT11_llSA_llS8_PT12_llPT13_lli.uses_vcc, 1
	.set _ZN12_GLOBAL__N_135rocblas_gemm_batched_general_kernelI19rocblas_complex_numIdELi16ELi16ELi32ELi32ELi8ELi32ELi8ELi8ELi32ELc78ELc78EKPKS2_S5_KPS2_EEvlllT_PT11_llSA_llS8_PT12_llPT13_lli.uses_flat_scratch, 0
	.set _ZN12_GLOBAL__N_135rocblas_gemm_batched_general_kernelI19rocblas_complex_numIdELi16ELi16ELi32ELi32ELi8ELi32ELi8ELi8ELi32ELc78ELc78EKPKS2_S5_KPS2_EEvlllT_PT11_llSA_llS8_PT12_llPT13_lli.has_dyn_sized_stack, 0
	.set _ZN12_GLOBAL__N_135rocblas_gemm_batched_general_kernelI19rocblas_complex_numIdELi16ELi16ELi32ELi32ELi8ELi32ELi8ELi8ELi32ELc78ELc78EKPKS2_S5_KPS2_EEvlllT_PT11_llSA_llS8_PT12_llPT13_lli.has_recursion, 0
	.set _ZN12_GLOBAL__N_135rocblas_gemm_batched_general_kernelI19rocblas_complex_numIdELi16ELi16ELi32ELi32ELi8ELi32ELi8ELi8ELi32ELc78ELc78EKPKS2_S5_KPS2_EEvlllT_PT11_llSA_llS8_PT12_llPT13_lli.has_indirect_call, 0
	.section	.AMDGPU.csdata,"",@progbits
; Kernel info:
; codeLenInByte = 3832
; TotalNumSgprs: 54
; NumVgprs: 134
; ScratchSize: 0
; MemoryBound: 0
; FloatMode: 240
; IeeeMode: 1
; LDSByteSize: 8192 bytes/workgroup (compile time only)
; SGPRBlocks: 0
; VGPRBlocks: 16
; NumSGPRsForWavesPerEU: 54
; NumVGPRsForWavesPerEU: 134
; Occupancy: 10
; WaveLimiterHint : 1
; COMPUTE_PGM_RSRC2:SCRATCH_EN: 0
; COMPUTE_PGM_RSRC2:USER_SGPR: 2
; COMPUTE_PGM_RSRC2:TRAP_HANDLER: 0
; COMPUTE_PGM_RSRC2:TGID_X_EN: 1
; COMPUTE_PGM_RSRC2:TGID_Y_EN: 1
; COMPUTE_PGM_RSRC2:TGID_Z_EN: 1
; COMPUTE_PGM_RSRC2:TIDIG_COMP_CNT: 1
	.section	.text._ZN12_GLOBAL__N_135rocblas_gemm_batched_general_kernelI19rocblas_complex_numIdELi16ELi16ELi32ELi32ELi8ELi32ELi8ELi8ELi32ELc84ELc78EKPKS2_S5_KPS2_EEvlllT_PT11_llSA_llS8_PT12_llPT13_lli,"axG",@progbits,_ZN12_GLOBAL__N_135rocblas_gemm_batched_general_kernelI19rocblas_complex_numIdELi16ELi16ELi32ELi32ELi8ELi32ELi8ELi8ELi32ELc84ELc78EKPKS2_S5_KPS2_EEvlllT_PT11_llSA_llS8_PT12_llPT13_lli,comdat
	.globl	_ZN12_GLOBAL__N_135rocblas_gemm_batched_general_kernelI19rocblas_complex_numIdELi16ELi16ELi32ELi32ELi8ELi32ELi8ELi8ELi32ELc84ELc78EKPKS2_S5_KPS2_EEvlllT_PT11_llSA_llS8_PT12_llPT13_lli ; -- Begin function _ZN12_GLOBAL__N_135rocblas_gemm_batched_general_kernelI19rocblas_complex_numIdELi16ELi16ELi32ELi32ELi8ELi32ELi8ELi8ELi32ELc84ELc78EKPKS2_S5_KPS2_EEvlllT_PT11_llSA_llS8_PT12_llPT13_lli
	.p2align	8
	.type	_ZN12_GLOBAL__N_135rocblas_gemm_batched_general_kernelI19rocblas_complex_numIdELi16ELi16ELi32ELi32ELi8ELi32ELi8ELi8ELi32ELc84ELc78EKPKS2_S5_KPS2_EEvlllT_PT11_llSA_llS8_PT12_llPT13_lli,@function
_ZN12_GLOBAL__N_135rocblas_gemm_batched_general_kernelI19rocblas_complex_numIdELi16ELi16ELi32ELi32ELi8ELi32ELi8ELi8ELi32ELc84ELc78EKPKS2_S5_KPS2_EEvlllT_PT11_llSA_llS8_PT12_llPT13_lli: ; @_ZN12_GLOBAL__N_135rocblas_gemm_batched_general_kernelI19rocblas_complex_numIdELi16ELi16ELi32ELi32ELi8ELi32ELi8ELi8ELi32ELc84ELc78EKPKS2_S5_KPS2_EEvlllT_PT11_llSA_llS8_PT12_llPT13_lli
; %bb.0:
	s_load_b32 s30, s[0:1], 0x98
	s_lshr_b32 s6, ttmp7, 16
	s_wait_kmcnt 0x0
	s_cmp_ge_i32 s6, s30
	s_cbranch_scc1 .LBB282_39
; %bb.1:
	s_clause 0x3
	s_load_b512 s[8:23], s[0:1], 0x40
	s_load_b512 s[36:51], s[0:1], 0x0
	s_load_b64 s[28:29], s[0:1], 0x90
	s_load_b128 s[24:27], s[0:1], 0x80
	v_bfe_u32 v2, v0, 10, 10
	v_dual_mov_b32 v1, 0 :: v_dual_and_b32 v4, 0x3ff, v0
	s_mov_b32 s2, ttmp9
	s_ashr_i32 s3, ttmp9, 31
	s_and_b32 s0, ttmp7, 0xffff
	s_lshl_b64 s[4:5], s[2:3], 5
	s_delay_alu instid0(SALU_CYCLE_1)
	v_dual_mov_b32 v3, s5 :: v_dual_and_b32 v0, 7, v0
	v_lshl_add_u32 v7, v2, 4, v4
	s_lshl_b32 s0, s0, 5
	v_lshl_add_u32 v36, v2, 7, 0x1000
	v_add_co_u32 v9, s1, s0, v2
	v_lshlrev_b32_e32 v21, 4, v0
	s_wait_alu 0xf1ff
	v_add_co_ci_u32_e64 v10, null, 0, 0, s1
	s_wait_kmcnt 0x0
	v_cmp_eq_f64_e64 s3, s[14:15], 0
	v_cmp_eq_f64_e64 s31, s[16:17], 0
	v_lshrrev_b32_e32 v13, 3, v7
	v_add_co_u32 v5, s1, s4, v4
	s_wait_alu 0xf1ff
	v_add_co_ci_u32_e64 v6, null, s5, 0, s1
	s_delay_alu instid0(VALU_DEP_3)
	v_add_co_u32 v11, s0, v13, s0
	v_lshl_or_b32 v15, v13, 7, v21
	v_add_co_u32 v13, vcc_lo, v5, 16
	v_and_b32_e32 v8, 31, v7
	s_wait_alu 0xf1ff
	v_add_co_ci_u32_e64 v12, null, 0, 0, s0
	v_add_co_ci_u32_e64 v14, null, 0, v6, vcc_lo
	v_lshrrev_b32_e32 v37, 5, v7
	v_or_b32_e32 v2, s4, v8
	s_delay_alu instid0(VALU_DEP_4) | instskip(NEXT) | instid1(VALU_DEP_4)
	v_cmp_gt_i64_e64 s4, s[38:39], v[11:12]
	v_cmp_gt_i64_e64 s2, s[36:37], v[13:14]
	v_mad_co_u64_u32 v[12:13], null, v9, s20, 0
	v_lshlrev_b32_e32 v35, 4, v4
	v_lshlrev_b32_e32 v4, 4, v8
	v_mad_co_u64_u32 v[7:8], null, v9, s26, 0
	v_cmp_gt_i64_e32 vcc_lo, s[36:37], v[2:3]
	v_cmp_gt_i64_e64 s0, s[38:39], v[9:10]
	v_mad_co_u64_u32 v[19:20], null, s48, v2, 0
	s_mul_i32 s5, s48, s5
	s_lshl_b64 s[12:13], s[12:13], 4
	v_mov_b32_e32 v3, v8
	v_lshl_or_b32 v38, v37, 9, v4
	v_cmp_gt_i64_e64 s1, s[36:37], v[5:6]
	s_mov_b32 s7, 0
	s_xor_b32 s33, s4, -1
	v_mad_co_u64_u32 v[3:4], null, v9, s27, v[3:4]
	v_add_nc_u32_e32 v39, 0x1000, v15
	v_mad_co_u64_u32 v[15:16], null, s10, v11, 0
	s_and_b32 s31, s3, s31
	v_add_co_u32 v17, s3, v9, 16
	s_delay_alu instid0(VALU_DEP_1) | instskip(SKIP_2) | instid1(VALU_DEP_3)
	v_add_co_ci_u32_e64 v18, null, 0, v10, s3
	v_mov_b32_e32 v8, v3
	v_mov_b32_e32 v4, v16
	v_cmp_gt_i64_e64 s3, s[38:39], v[17:18]
	s_delay_alu instid0(VALU_DEP_2)
	v_mad_co_u64_u32 v[10:11], null, s11, v11, v[4:5]
	v_mul_lo_u32 v11, s49, v2
	v_mov_b32_e32 v4, v13
	s_lshl_b64 s[10:11], s[26:27], 4
	v_cmp_gt_i64_e64 s26, s[40:41], 0
	s_xor_b32 s27, vcc_lo, -1
	v_mov_b32_e32 v16, v10
	v_mad_co_u64_u32 v[13:14], null, v9, s21, v[4:5]
	s_wait_alu 0xfffe
	v_add3_u32 v20, v20, s5, v11
	s_lshl_b64 s[20:21], s[20:21], 4
	v_lshlrev_b64_e32 v[2:3], 4, v[15:16]
	s_wait_alu 0xfffe
	s_lshl_b64 s[20:21], s[20:21], 4
	v_lshlrev_b64_e32 v[9:10], 4, v[19:20]
	s_delay_alu instid0(VALU_DEP_2)
	v_add_co_u32 v2, s5, v2, s12
	s_wait_alu 0xf1ff
	v_add_co_ci_u32_e64 v3, null, s13, v3, s5
	s_lshl_b64 s[12:13], s[50:51], 4
	s_wait_alu 0xfffe
	v_add_co_u32 v4, s5, v9, s12
	s_wait_alu 0xf1ff
	v_add_co_ci_u32_e64 v9, null, s13, v10, s5
	v_lshlrev_b32_e32 v10, 4, v37
	v_add_co_u32 v40, s5, v2, v21
	s_wait_alu 0xf1ff
	v_add_co_ci_u32_e64 v41, null, 0, v3, s5
	s_delay_alu instid0(VALU_DEP_3)
	v_add_co_u32 v42, s5, v4, v10
	s_wait_alu 0xf1ff
	v_add_co_ci_u32_e64 v43, null, 0, v9, s5
	v_lshlrev_b64_e32 v[9:10], 4, v[12:13]
	s_lshl_b64 s[4:5], s[28:29], 4
	s_lshl_b64 s[12:13], s[22:23], 4
	s_branch .LBB282_4
.LBB282_2:                              ;   in Loop: Header=BB282_4 Depth=1
	s_wait_alu 0xfffe
	s_or_b32 exec_lo, exec_lo, s22
.LBB282_3:                              ;   in Loop: Header=BB282_4 Depth=1
	s_add_co_i32 s6, s6, 0x10000
	s_delay_alu instid0(SALU_CYCLE_1)
	s_cmp_lt_i32 s6, s30
	s_cbranch_scc0 .LBB282_39
.LBB282_4:                              ; =>This Loop Header: Depth=1
                                        ;     Child Loop BB282_7 Depth 2
	s_lshl_b64 s[22:23], s[6:7], 3
	s_and_not1_b32 vcc_lo, exec_lo, s26
	s_wait_alu 0xfffe
	s_add_nc_u64 s[28:29], s[18:19], s[22:23]
	s_add_nc_u64 s[34:35], s[24:25], s[22:23]
	s_clause 0x1
	global_load_b64 v[11:12], v1, s[28:29]
	global_load_b64 v[13:14], v1, s[34:35]
	s_cbranch_vccnz .LBB282_15
; %bb.5:                                ;   in Loop: Header=BB282_4 Depth=1
	s_add_nc_u64 s[28:29], s[8:9], s[22:23]
	s_add_nc_u64 s[22:23], s[46:47], s[22:23]
	s_clause 0x1
	global_load_b64 v[2:3], v1, s[28:29]
	global_load_b64 v[17:18], v1, s[22:23]
	v_mov_b32_e32 v21, 0
	v_mov_b32_e32 v25, 0
	;; [unrolled: 1-line block ×3, first 2 shown]
	v_dual_mov_b32 v33, 0 :: v_dual_mov_b32 v22, 0
	v_dual_mov_b32 v19, 0 :: v_dual_mov_b32 v26, 0
	;; [unrolled: 1-line block ×5, first 2 shown]
	v_mov_b32_e32 v24, 0
	v_mov_b32_e32 v28, 0
	;; [unrolled: 1-line block ×3, first 2 shown]
	s_mov_b64 s[22:23], 0
	s_wait_loadcnt 0x1
	v_add_co_u32 v15, vcc_lo, v2, v40
	s_wait_alu 0xfffd
	v_add_co_ci_u32_e64 v16, null, v3, v41, vcc_lo
	s_wait_loadcnt 0x0
	v_add_co_u32 v17, vcc_lo, v17, v42
	s_wait_alu 0xfffd
	v_add_co_ci_u32_e64 v18, null, v18, v43, vcc_lo
	s_branch .LBB282_7
.LBB282_6:                              ;   in Loop: Header=BB282_7 Depth=2
	s_wait_alu 0xfffe
	s_or_b32 exec_lo, exec_lo, s28
	s_wait_dscnt 0x0
	s_barrier_signal -1
	s_barrier_wait -1
	global_inv scope:SCOPE_SE
	ds_load_b128 v[44:47], v36
	ds_load_b128 v[48:51], v35
	ds_load_b128 v[52:55], v35 offset:256
	ds_load_b128 v[56:59], v36 offset:2048
	;; [unrolled: 1-line block ×10, first 2 shown]
	s_add_nc_u64 s[22:23], s[22:23], 8
	v_add_co_u32 v15, vcc_lo, 0x80, v15
	s_wait_alu 0xfffe
	v_cmp_lt_i64_e64 s28, s[22:23], s[40:41]
	s_wait_alu 0xfffd
	v_add_co_ci_u32_e64 v16, null, 0, v16, vcc_lo
	v_add_co_u32 v17, vcc_lo, 0x80, v17
	s_wait_alu 0xfffd
	v_add_co_ci_u32_e64 v18, null, 0, v18, vcc_lo
	s_and_b32 vcc_lo, exec_lo, s28
	s_wait_dscnt 0xa
	v_mul_f64_e32 v[2:3], v[46:47], v[50:51]
	v_mul_f64_e32 v[92:93], v[44:45], v[50:51]
	s_wait_dscnt 0x9
	v_mul_f64_e32 v[94:95], v[46:47], v[54:55]
	v_mul_f64_e32 v[96:97], v[44:45], v[54:55]
	;; [unrolled: 3-line block ×3, first 2 shown]
	v_mul_f64_e32 v[100:101], v[58:59], v[54:55]
	v_mul_f64_e32 v[54:55], v[56:57], v[54:55]
	s_wait_dscnt 0x5
	v_mul_f64_e32 v[102:103], v[62:63], v[70:71]
	v_mul_f64_e32 v[104:105], v[60:61], v[70:71]
	s_wait_dscnt 0x4
	v_mul_f64_e32 v[106:107], v[62:63], v[74:75]
	v_mul_f64_e32 v[108:109], v[60:61], v[74:75]
	;; [unrolled: 1-line block ×6, first 2 shown]
	s_wait_dscnt 0x2
	v_mul_f64_e32 v[118:119], v[78:79], v[82:83]
	v_mul_f64_e32 v[120:121], v[76:77], v[82:83]
	s_wait_dscnt 0x1
	v_mul_f64_e32 v[122:123], v[78:79], v[86:87]
	v_mul_f64_e32 v[124:125], v[76:77], v[86:87]
	;; [unrolled: 3-line block ×3, first 2 shown]
	v_mul_f64_e32 v[128:129], v[90:91], v[86:87]
	v_mul_f64_e32 v[86:87], v[88:89], v[86:87]
	v_fma_f64 v[2:3], v[44:45], v[48:49], -v[2:3]
	v_fma_f64 v[92:93], v[46:47], v[48:49], v[92:93]
	v_fma_f64 v[94:95], v[44:45], v[52:53], -v[94:95]
	v_fma_f64 v[96:97], v[46:47], v[52:53], v[96:97]
	;; [unrolled: 2-line block ×8, first 2 shown]
	ds_load_b128 v[44:47], v36 offset:48
	ds_load_b128 v[48:51], v36 offset:2096
	;; [unrolled: 1-line block ×4, first 2 shown]
	v_fma_f64 v[118:119], v[76:77], v[80:81], -v[118:119]
	v_fma_f64 v[120:121], v[78:79], v[80:81], v[120:121]
	v_fma_f64 v[76:77], v[76:77], v[84:85], -v[122:123]
	v_fma_f64 v[78:79], v[78:79], v[84:85], v[124:125]
	;; [unrolled: 2-line block ×4, first 2 shown]
	s_wait_dscnt 0x1
	v_mul_f64_e32 v[108:109], v[44:45], v[54:55]
	s_wait_dscnt 0x0
	v_mul_f64_e32 v[110:111], v[46:47], v[58:59]
	v_mul_f64_e32 v[112:113], v[44:45], v[58:59]
	v_add_f64_e32 v[2:3], v[31:32], v[2:3]
	v_add_f64_e32 v[70:71], v[92:93], v[33:34]
	;; [unrolled: 1-line block ×8, first 2 shown]
	v_mul_f64_e32 v[100:101], v[46:47], v[54:55]
	v_mul_f64_e32 v[114:115], v[50:51], v[54:55]
	;; [unrolled: 1-line block ×5, first 2 shown]
	ds_load_b128 v[19:22], v36 offset:64
	ds_load_b128 v[23:26], v35 offset:2048
	;; [unrolled: 1-line block ×4, first 2 shown]
	s_wait_dscnt 0x0
	v_mul_f64_e32 v[124:125], v[33:34], v[25:26]
	v_mul_f64_e32 v[126:127], v[33:34], v[29:30]
	v_fma_f64 v[108:109], v[46:47], v[52:53], v[108:109]
	v_fma_f64 v[110:111], v[44:45], v[56:57], -v[110:111]
	v_fma_f64 v[112:113], v[46:47], v[56:57], v[112:113]
	v_add_f64_e32 v[2:3], v[2:3], v[102:103]
	v_add_f64_e32 v[86:87], v[104:105], v[70:71]
	;; [unrolled: 1-line block ×8, first 2 shown]
	v_mul_f64_e32 v[98:99], v[21:22], v[25:26]
	v_mul_f64_e32 v[102:103], v[19:20], v[25:26]
	;; [unrolled: 1-line block ×6, first 2 shown]
	v_fma_f64 v[100:101], v[44:45], v[52:53], -v[100:101]
	v_fma_f64 v[114:115], v[48:49], v[52:53], -v[114:115]
	v_fma_f64 v[128:129], v[50:51], v[52:53], v[54:55]
	v_fma_f64 v[116:117], v[48:49], v[56:57], -v[116:117]
	v_fma_f64 v[56:57], v[50:51], v[56:57], v[130:131]
	ds_load_b128 v[58:61], v36 offset:80
	ds_load_b128 v[62:65], v36 offset:2128
	;; [unrolled: 1-line block ×4, first 2 shown]
	v_fma_f64 v[124:125], v[31:32], v[23:24], -v[124:125]
	v_fma_f64 v[126:127], v[31:32], v[27:28], -v[126:127]
	v_add_f64_e32 v[2:3], v[2:3], v[118:119]
	v_add_f64_e32 v[86:87], v[120:121], v[86:87]
	;; [unrolled: 1-line block ×8, first 2 shown]
	s_wait_dscnt 0x1
	v_mul_f64_e32 v[92:93], v[60:61], v[68:69]
	v_mul_f64_e32 v[94:95], v[58:59], v[68:69]
	s_wait_dscnt 0x0
	v_mul_f64_e32 v[96:97], v[60:61], v[72:73]
	v_mul_f64_e32 v[118:119], v[58:59], v[72:73]
	;; [unrolled: 1-line block ×6, first 2 shown]
	v_fma_f64 v[98:99], v[19:20], v[23:24], -v[98:99]
	v_fma_f64 v[102:103], v[21:22], v[23:24], v[102:103]
	v_fma_f64 v[104:105], v[19:20], v[27:28], -v[104:105]
	v_fma_f64 v[106:107], v[21:22], v[27:28], v[106:107]
	v_fma_f64 v[130:131], v[33:34], v[23:24], v[25:26]
	;; [unrolled: 1-line block ×3, first 2 shown]
	ds_load_b128 v[44:47], v36 offset:96
	ds_load_b128 v[48:51], v35 offset:3072
	;; [unrolled: 1-line block ×8, first 2 shown]
	s_wait_loadcnt_dscnt 0x0
	s_barrier_signal -1
	s_barrier_wait -1
	global_inv scope:SCOPE_SE
	v_add_f64_e32 v[2:3], v[2:3], v[100:101]
	v_add_f64_e32 v[86:87], v[108:109], v[86:87]
	;; [unrolled: 1-line block ×8, first 2 shown]
	v_mul_f64_e32 v[84:85], v[46:47], v[50:51]
	v_mul_f64_e32 v[100:101], v[44:45], v[50:51]
	;; [unrolled: 1-line block ×8, first 2 shown]
	v_fma_f64 v[92:93], v[58:59], v[66:67], -v[92:93]
	v_fma_f64 v[94:95], v[60:61], v[66:67], v[94:95]
	v_fma_f64 v[58:59], v[58:59], v[70:71], -v[96:97]
	v_fma_f64 v[60:61], v[60:61], v[70:71], v[118:119]
	;; [unrolled: 2-line block ×4, first 2 shown]
	v_add_f64_e32 v[2:3], v[2:3], v[98:99]
	v_add_f64_e32 v[68:69], v[102:103], v[86:87]
	;; [unrolled: 1-line block ×8, first 2 shown]
	v_mul_f64_e32 v[86:87], v[21:22], v[29:30]
	v_mul_f64_e32 v[88:89], v[19:20], v[29:30]
	;; [unrolled: 1-line block ×8, first 2 shown]
	v_fma_f64 v[84:85], v[44:45], v[48:49], -v[84:85]
	v_fma_f64 v[100:101], v[46:47], v[48:49], v[100:101]
	v_fma_f64 v[44:45], v[44:45], v[52:53], -v[108:109]
	v_fma_f64 v[46:47], v[46:47], v[52:53], v[110:111]
	;; [unrolled: 2-line block ×4, first 2 shown]
	v_add_f64_e32 v[2:3], v[2:3], v[92:93]
	v_add_f64_e32 v[54:55], v[94:95], v[68:69]
	;; [unrolled: 1-line block ×8, first 2 shown]
	v_fma_f64 v[64:65], v[19:20], v[27:28], -v[86:87]
	v_fma_f64 v[70:71], v[21:22], v[27:28], v[88:89]
	v_fma_f64 v[19:20], v[19:20], v[31:32], -v[90:91]
	v_fma_f64 v[21:22], v[21:22], v[31:32], v[98:99]
	;; [unrolled: 2-line block ×4, first 2 shown]
	v_add_f64_e32 v[2:3], v[2:3], v[84:85]
	v_add_f64_e32 v[23:24], v[100:101], v[54:55]
	;; [unrolled: 1-line block ×16, first 2 shown]
	s_wait_alu 0xfffe
	s_cbranch_vccz .LBB282_16
.LBB282_7:                              ;   Parent Loop BB282_4 Depth=1
                                        ; =>  This Inner Loop Header: Depth=2
	s_wait_alu 0xfffe
	v_add_co_u32 v2, s28, v37, s22
	s_wait_alu 0xf1ff
	v_add_co_ci_u32_e64 v3, null, 0, s23, s28
	s_delay_alu instid0(VALU_DEP_1)
	v_cmp_le_i64_e32 vcc_lo, s[40:41], v[2:3]
	s_or_b32 s28, s27, vcc_lo
	s_wait_alu 0xfffe
	s_and_saveexec_b32 s29, s28
	s_wait_alu 0xfffe
	s_xor_b32 s28, exec_lo, s29
; %bb.8:                                ;   in Loop: Header=BB282_7 Depth=2
	v_dual_mov_b32 v2, v1 :: v_dual_mov_b32 v3, v1
	v_mov_b32_e32 v4, v1
	ds_store_b128 v38, v[1:4]
; %bb.9:                                ;   in Loop: Header=BB282_7 Depth=2
	s_wait_alu 0xfffe
	s_and_not1_saveexec_b32 s28, s28
	s_cbranch_execz .LBB282_11
; %bb.10:                               ;   in Loop: Header=BB282_7 Depth=2
	flat_load_b128 v[44:47], v[17:18]
	s_wait_loadcnt_dscnt 0x0
	ds_store_2addr_b64 v38, v[44:45], v[46:47] offset1:1
.LBB282_11:                             ;   in Loop: Header=BB282_7 Depth=2
	s_wait_alu 0xfffe
	s_or_b32 exec_lo, exec_lo, s28
	v_add_co_u32 v2, s28, v0, s22
	s_wait_alu 0xf1ff
	v_add_co_ci_u32_e64 v3, null, 0, s23, s28
	s_delay_alu instid0(VALU_DEP_1)
	v_cmp_le_i64_e32 vcc_lo, s[40:41], v[2:3]
	s_or_b32 s28, vcc_lo, s33
	s_wait_alu 0xfffe
	s_and_saveexec_b32 s29, s28
	s_wait_alu 0xfffe
	s_xor_b32 s28, exec_lo, s29
; %bb.12:                               ;   in Loop: Header=BB282_7 Depth=2
	v_dual_mov_b32 v2, v1 :: v_dual_mov_b32 v3, v1
	v_mov_b32_e32 v4, v1
	ds_store_b128 v39, v[1:4]
; %bb.13:                               ;   in Loop: Header=BB282_7 Depth=2
	s_wait_alu 0xfffe
	s_and_not1_saveexec_b32 s28, s28
	s_cbranch_execz .LBB282_6
; %bb.14:                               ;   in Loop: Header=BB282_7 Depth=2
	flat_load_b128 v[44:47], v[15:16]
	s_wait_loadcnt_dscnt 0x0
	ds_store_2addr_b64 v39, v[44:45], v[46:47] offset1:1
	s_branch .LBB282_6
.LBB282_15:                             ;   in Loop: Header=BB282_4 Depth=1
	v_mov_b32_e32 v31, 0
	v_mov_b32_e32 v27, 0
	;; [unrolled: 1-line block ×3, first 2 shown]
	v_dual_mov_b32 v19, 0 :: v_dual_mov_b32 v32, 0
	v_dual_mov_b32 v33, 0 :: v_dual_mov_b32 v28, 0
	;; [unrolled: 1-line block ×5, first 2 shown]
	v_mov_b32_e32 v30, 0
	v_mov_b32_e32 v26, 0
	;; [unrolled: 1-line block ×3, first 2 shown]
.LBB282_16:                             ;   in Loop: Header=BB282_4 Depth=1
	s_wait_loadcnt 0x0
	v_add_co_u32 v4, vcc_lo, v13, s4
	s_wait_alu 0xfffd
	v_add_co_ci_u32_e64 v13, null, s5, v14, vcc_lo
	s_and_not1_b32 vcc_lo, exec_lo, s31
	s_mov_b32 s22, -1
	s_wait_alu 0xfffe
	s_cbranch_vccz .LBB282_18
; %bb.17:                               ;   in Loop: Header=BB282_4 Depth=1
	s_and_not1_b32 vcc_lo, exec_lo, s22
	s_wait_alu 0xfffe
	s_cbranch_vccnz .LBB282_3
	s_branch .LBB282_29
.LBB282_18:                             ;   in Loop: Header=BB282_4 Depth=1
	s_and_saveexec_b32 s22, s0
	s_cbranch_execz .LBB282_28
; %bb.19:                               ;   in Loop: Header=BB282_4 Depth=1
	v_lshlrev_b64_e32 v[2:3], 4, v[7:8]
	s_delay_alu instid0(VALU_DEP_1) | instskip(SKIP_1) | instid1(VALU_DEP_2)
	v_add_co_u32 v2, vcc_lo, v4, v2
	s_wait_alu 0xfffd
	v_add_co_ci_u32_e64 v3, null, v13, v3, vcc_lo
	s_and_saveexec_b32 s23, s1
	s_cbranch_execnz .LBB282_22
; %bb.20:                               ;   in Loop: Header=BB282_4 Depth=1
	s_wait_alu 0xfffe
	s_or_b32 exec_lo, exec_lo, s23
	s_and_saveexec_b32 s23, s2
	s_cbranch_execnz .LBB282_23
.LBB282_21:                             ;   in Loop: Header=BB282_4 Depth=1
	s_wait_alu 0xfffe
	s_or_b32 exec_lo, exec_lo, s23
	s_delay_alu instid0(SALU_CYCLE_1)
	s_and_b32 exec_lo, exec_lo, s3
	s_cbranch_execnz .LBB282_24
	s_branch .LBB282_28
.LBB282_22:                             ;   in Loop: Header=BB282_4 Depth=1
	v_mul_f64_e32 v[14:15], s[44:45], v[33:34]
	v_mul_f64_e32 v[16:17], s[42:43], v[33:34]
	v_lshlrev_b64_e32 v[44:45], 4, v[5:6]
	s_delay_alu instid0(VALU_DEP_1) | instskip(SKIP_1) | instid1(VALU_DEP_2)
	v_add_co_u32 v44, vcc_lo, v2, v44
	s_wait_alu 0xfffd
	v_add_co_ci_u32_e64 v45, null, v3, v45, vcc_lo
	v_fma_f64 v[14:15], s[42:43], v[31:32], -v[14:15]
	v_fma_f64 v[16:17], s[44:45], v[31:32], v[16:17]
	flat_store_b128 v[44:45], v[14:17]
	s_wait_alu 0xfffe
	s_or_b32 exec_lo, exec_lo, s23
	s_and_saveexec_b32 s23, s2
	s_cbranch_execz .LBB282_21
.LBB282_23:                             ;   in Loop: Header=BB282_4 Depth=1
	v_mul_f64_e32 v[14:15], s[44:45], v[29:30]
	v_mul_f64_e32 v[16:17], s[42:43], v[29:30]
	v_lshlrev_b64_e32 v[44:45], 4, v[5:6]
	s_delay_alu instid0(VALU_DEP_1) | instskip(SKIP_1) | instid1(VALU_DEP_2)
	v_add_co_u32 v44, vcc_lo, v2, v44
	s_wait_alu 0xfffd
	v_add_co_ci_u32_e64 v45, null, v3, v45, vcc_lo
	v_fma_f64 v[14:15], s[42:43], v[27:28], -v[14:15]
	v_fma_f64 v[16:17], s[44:45], v[27:28], v[16:17]
	flat_store_b128 v[44:45], v[14:17] offset:256
	s_wait_alu 0xfffe
	s_or_b32 exec_lo, exec_lo, s23
	s_delay_alu instid0(SALU_CYCLE_1)
	s_and_b32 exec_lo, exec_lo, s3
	s_cbranch_execz .LBB282_28
.LBB282_24:                             ;   in Loop: Header=BB282_4 Depth=1
	s_lshl_b64 s[28:29], s[10:11], 4
	v_lshlrev_b64_e32 v[14:15], 4, v[5:6]
	s_wait_alu 0xfffe
	v_add_co_u32 v2, vcc_lo, v2, s28
	s_wait_alu 0xfffd
	v_add_co_ci_u32_e64 v3, null, s29, v3, vcc_lo
	s_delay_alu instid0(VALU_DEP_2) | instskip(SKIP_1) | instid1(VALU_DEP_2)
	v_add_co_u32 v2, vcc_lo, v2, v14
	s_wait_alu 0xfffd
	v_add_co_ci_u32_e64 v3, null, v3, v15, vcc_lo
	s_and_saveexec_b32 s23, s1
	s_cbranch_execz .LBB282_26
; %bb.25:                               ;   in Loop: Header=BB282_4 Depth=1
	v_mul_f64_e32 v[14:15], s[44:45], v[25:26]
	v_mul_f64_e32 v[16:17], s[42:43], v[25:26]
	s_delay_alu instid0(VALU_DEP_2) | instskip(NEXT) | instid1(VALU_DEP_2)
	v_fma_f64 v[14:15], s[42:43], v[23:24], -v[14:15]
	v_fma_f64 v[16:17], s[44:45], v[23:24], v[16:17]
	flat_store_b128 v[2:3], v[14:17]
.LBB282_26:                             ;   in Loop: Header=BB282_4 Depth=1
	s_wait_alu 0xfffe
	s_or_b32 exec_lo, exec_lo, s23
	s_delay_alu instid0(SALU_CYCLE_1)
	s_and_b32 exec_lo, exec_lo, s2
	s_cbranch_execz .LBB282_28
; %bb.27:                               ;   in Loop: Header=BB282_4 Depth=1
	v_mul_f64_e32 v[14:15], s[44:45], v[21:22]
	v_mul_f64_e32 v[16:17], s[42:43], v[21:22]
	s_delay_alu instid0(VALU_DEP_2) | instskip(NEXT) | instid1(VALU_DEP_2)
	v_fma_f64 v[14:15], s[42:43], v[19:20], -v[14:15]
	v_fma_f64 v[16:17], s[44:45], v[19:20], v[16:17]
	flat_store_b128 v[2:3], v[14:17] offset:256
.LBB282_28:                             ;   in Loop: Header=BB282_4 Depth=1
	s_wait_alu 0xfffe
	s_or_b32 exec_lo, exec_lo, s22
	s_cbranch_execnz .LBB282_3
.LBB282_29:                             ;   in Loop: Header=BB282_4 Depth=1
	s_and_saveexec_b32 s22, s0
	s_cbranch_execz .LBB282_2
; %bb.30:                               ;   in Loop: Header=BB282_4 Depth=1
	v_add_co_u32 v2, vcc_lo, v11, s12
	v_lshlrev_b64_e32 v[14:15], 4, v[7:8]
	s_wait_alu 0xfffd
	v_add_co_ci_u32_e64 v3, null, s13, v12, vcc_lo
	s_delay_alu instid0(VALU_DEP_3) | instskip(SKIP_1) | instid1(VALU_DEP_2)
	v_add_co_u32 v11, vcc_lo, v2, v9
	s_wait_alu 0xfffd
	v_add_co_ci_u32_e64 v12, null, v3, v10, vcc_lo
	v_add_co_u32 v4, vcc_lo, v4, v14
	v_lshlrev_b64_e32 v[2:3], 4, v[5:6]
	s_wait_alu 0xfffd
	v_add_co_ci_u32_e64 v13, null, v13, v15, vcc_lo
	s_and_saveexec_b32 s23, s1
	s_cbranch_execnz .LBB282_33
; %bb.31:                               ;   in Loop: Header=BB282_4 Depth=1
	s_wait_alu 0xfffe
	s_or_b32 exec_lo, exec_lo, s23
	s_and_saveexec_b32 s23, s2
	s_cbranch_execnz .LBB282_34
.LBB282_32:                             ;   in Loop: Header=BB282_4 Depth=1
	s_wait_alu 0xfffe
	s_or_b32 exec_lo, exec_lo, s23
	s_delay_alu instid0(SALU_CYCLE_1)
	s_and_b32 exec_lo, exec_lo, s3
	s_cbranch_execz .LBB282_2
	s_branch .LBB282_35
.LBB282_33:                             ;   in Loop: Header=BB282_4 Depth=1
	v_add_co_u32 v14, vcc_lo, v11, v2
	s_wait_alu 0xfffd
	v_add_co_ci_u32_e64 v15, null, v12, v3, vcc_lo
	v_mul_f64_e32 v[44:45], s[44:45], v[33:34]
	v_mul_f64_e32 v[33:34], s[42:43], v[33:34]
	flat_load_b128 v[14:17], v[14:15]
	v_fma_f64 v[44:45], s[42:43], v[31:32], -v[44:45]
	v_fma_f64 v[31:32], s[44:45], v[31:32], v[33:34]
	s_wait_loadcnt_dscnt 0x0
	v_mul_f64_e32 v[46:47], s[16:17], v[16:17]
	v_mul_f64_e32 v[16:17], s[14:15], v[16:17]
	s_delay_alu instid0(VALU_DEP_2) | instskip(NEXT) | instid1(VALU_DEP_2)
	v_fma_f64 v[33:34], s[14:15], v[14:15], -v[46:47]
	v_fma_f64 v[16:17], s[16:17], v[14:15], v[16:17]
	s_delay_alu instid0(VALU_DEP_2) | instskip(NEXT) | instid1(VALU_DEP_2)
	v_add_f64_e32 v[14:15], v[44:45], v[33:34]
	v_add_f64_e32 v[16:17], v[31:32], v[16:17]
	v_add_co_u32 v31, vcc_lo, v4, v2
	s_wait_alu 0xfffd
	v_add_co_ci_u32_e64 v32, null, v13, v3, vcc_lo
	flat_store_b128 v[31:32], v[14:17]
	s_wait_alu 0xfffe
	s_or_b32 exec_lo, exec_lo, s23
	s_and_saveexec_b32 s23, s2
	s_cbranch_execz .LBB282_32
.LBB282_34:                             ;   in Loop: Header=BB282_4 Depth=1
	v_add_co_u32 v14, vcc_lo, v11, v2
	s_wait_alu 0xfffd
	v_add_co_ci_u32_e64 v15, null, v12, v3, vcc_lo
	v_mul_f64_e32 v[31:32], s[44:45], v[29:30]
	v_mul_f64_e32 v[29:30], s[42:43], v[29:30]
	flat_load_b128 v[14:17], v[14:15] offset:256
	v_fma_f64 v[31:32], s[42:43], v[27:28], -v[31:32]
	v_fma_f64 v[27:28], s[44:45], v[27:28], v[29:30]
	s_wait_loadcnt_dscnt 0x0
	v_mul_f64_e32 v[33:34], s[16:17], v[16:17]
	v_mul_f64_e32 v[16:17], s[14:15], v[16:17]
	s_delay_alu instid0(VALU_DEP_2) | instskip(NEXT) | instid1(VALU_DEP_2)
	v_fma_f64 v[29:30], s[14:15], v[14:15], -v[33:34]
	v_fma_f64 v[16:17], s[16:17], v[14:15], v[16:17]
	s_delay_alu instid0(VALU_DEP_2) | instskip(NEXT) | instid1(VALU_DEP_2)
	v_add_f64_e32 v[14:15], v[31:32], v[29:30]
	v_add_f64_e32 v[16:17], v[27:28], v[16:17]
	v_add_co_u32 v27, vcc_lo, v4, v2
	s_wait_alu 0xfffd
	v_add_co_ci_u32_e64 v28, null, v13, v3, vcc_lo
	flat_store_b128 v[27:28], v[14:17] offset:256
	s_wait_alu 0xfffe
	s_or_b32 exec_lo, exec_lo, s23
	s_delay_alu instid0(SALU_CYCLE_1)
	s_and_b32 exec_lo, exec_lo, s3
	s_cbranch_execz .LBB282_2
.LBB282_35:                             ;   in Loop: Header=BB282_4 Depth=1
	v_add_co_u32 v11, vcc_lo, v11, s20
	s_lshl_b64 s[28:29], s[10:11], 4
	s_wait_alu 0xfffd
	v_add_co_ci_u32_e64 v12, null, s21, v12, vcc_lo
	s_wait_alu 0xfffe
	v_add_co_u32 v4, vcc_lo, v4, s28
	s_wait_alu 0xfffd
	v_add_co_ci_u32_e64 v13, null, s29, v13, vcc_lo
	v_add_co_u32 v11, vcc_lo, v11, v2
	s_wait_alu 0xfffd
	v_add_co_ci_u32_e64 v12, null, v12, v3, vcc_lo
	;; [unrolled: 3-line block ×3, first 2 shown]
	s_and_saveexec_b32 s23, s1
	s_cbranch_execz .LBB282_37
; %bb.36:                               ;   in Loop: Header=BB282_4 Depth=1
	flat_load_b128 v[13:16], v[11:12]
	v_mul_f64_e32 v[17:18], s[44:45], v[25:26]
	v_mul_f64_e32 v[25:26], s[42:43], v[25:26]
	s_delay_alu instid0(VALU_DEP_2) | instskip(NEXT) | instid1(VALU_DEP_2)
	v_fma_f64 v[17:18], s[42:43], v[23:24], -v[17:18]
	v_fma_f64 v[23:24], s[44:45], v[23:24], v[25:26]
	s_wait_loadcnt_dscnt 0x0
	v_mul_f64_e32 v[27:28], s[16:17], v[15:16]
	v_mul_f64_e32 v[15:16], s[14:15], v[15:16]
	s_delay_alu instid0(VALU_DEP_2) | instskip(NEXT) | instid1(VALU_DEP_2)
	v_fma_f64 v[25:26], s[14:15], v[13:14], -v[27:28]
	v_fma_f64 v[15:16], s[16:17], v[13:14], v[15:16]
	s_delay_alu instid0(VALU_DEP_2) | instskip(NEXT) | instid1(VALU_DEP_2)
	v_add_f64_e32 v[13:14], v[17:18], v[25:26]
	v_add_f64_e32 v[15:16], v[23:24], v[15:16]
	flat_store_b128 v[2:3], v[13:16]
.LBB282_37:                             ;   in Loop: Header=BB282_4 Depth=1
	s_wait_alu 0xfffe
	s_or_b32 exec_lo, exec_lo, s23
	s_delay_alu instid0(SALU_CYCLE_1)
	s_and_b32 exec_lo, exec_lo, s2
	s_cbranch_execz .LBB282_2
; %bb.38:                               ;   in Loop: Header=BB282_4 Depth=1
	flat_load_b128 v[11:14], v[11:12] offset:256
	v_mul_f64_e32 v[15:16], s[44:45], v[21:22]
	v_mul_f64_e32 v[17:18], s[42:43], v[21:22]
	s_delay_alu instid0(VALU_DEP_2) | instskip(NEXT) | instid1(VALU_DEP_2)
	v_fma_f64 v[15:16], s[42:43], v[19:20], -v[15:16]
	v_fma_f64 v[17:18], s[44:45], v[19:20], v[17:18]
	s_wait_loadcnt_dscnt 0x0
	v_mul_f64_e32 v[21:22], s[16:17], v[13:14]
	v_mul_f64_e32 v[13:14], s[14:15], v[13:14]
	s_delay_alu instid0(VALU_DEP_2) | instskip(NEXT) | instid1(VALU_DEP_2)
	v_fma_f64 v[19:20], s[14:15], v[11:12], -v[21:22]
	v_fma_f64 v[13:14], s[16:17], v[11:12], v[13:14]
	s_delay_alu instid0(VALU_DEP_2) | instskip(NEXT) | instid1(VALU_DEP_2)
	v_add_f64_e32 v[11:12], v[15:16], v[19:20]
	v_add_f64_e32 v[13:14], v[17:18], v[13:14]
	flat_store_b128 v[2:3], v[11:14] offset:256
	s_branch .LBB282_2
.LBB282_39:
	s_nop 0
	s_sendmsg sendmsg(MSG_DEALLOC_VGPRS)
	s_endpgm
	.section	.rodata,"a",@progbits
	.p2align	6, 0x0
	.amdhsa_kernel _ZN12_GLOBAL__N_135rocblas_gemm_batched_general_kernelI19rocblas_complex_numIdELi16ELi16ELi32ELi32ELi8ELi32ELi8ELi8ELi32ELc84ELc78EKPKS2_S5_KPS2_EEvlllT_PT11_llSA_llS8_PT12_llPT13_lli
		.amdhsa_group_segment_fixed_size 8192
		.amdhsa_private_segment_fixed_size 0
		.amdhsa_kernarg_size 156
		.amdhsa_user_sgpr_count 2
		.amdhsa_user_sgpr_dispatch_ptr 0
		.amdhsa_user_sgpr_queue_ptr 0
		.amdhsa_user_sgpr_kernarg_segment_ptr 1
		.amdhsa_user_sgpr_dispatch_id 0
		.amdhsa_user_sgpr_private_segment_size 0
		.amdhsa_wavefront_size32 1
		.amdhsa_uses_dynamic_stack 0
		.amdhsa_enable_private_segment 0
		.amdhsa_system_sgpr_workgroup_id_x 1
		.amdhsa_system_sgpr_workgroup_id_y 1
		.amdhsa_system_sgpr_workgroup_id_z 1
		.amdhsa_system_sgpr_workgroup_info 0
		.amdhsa_system_vgpr_workitem_id 1
		.amdhsa_next_free_vgpr 134
		.amdhsa_next_free_sgpr 52
		.amdhsa_reserve_vcc 1
		.amdhsa_float_round_mode_32 0
		.amdhsa_float_round_mode_16_64 0
		.amdhsa_float_denorm_mode_32 3
		.amdhsa_float_denorm_mode_16_64 3
		.amdhsa_fp16_overflow 0
		.amdhsa_workgroup_processor_mode 1
		.amdhsa_memory_ordered 1
		.amdhsa_forward_progress 1
		.amdhsa_inst_pref_size 31
		.amdhsa_round_robin_scheduling 0
		.amdhsa_exception_fp_ieee_invalid_op 0
		.amdhsa_exception_fp_denorm_src 0
		.amdhsa_exception_fp_ieee_div_zero 0
		.amdhsa_exception_fp_ieee_overflow 0
		.amdhsa_exception_fp_ieee_underflow 0
		.amdhsa_exception_fp_ieee_inexact 0
		.amdhsa_exception_int_div_zero 0
	.end_amdhsa_kernel
	.section	.text._ZN12_GLOBAL__N_135rocblas_gemm_batched_general_kernelI19rocblas_complex_numIdELi16ELi16ELi32ELi32ELi8ELi32ELi8ELi8ELi32ELc84ELc78EKPKS2_S5_KPS2_EEvlllT_PT11_llSA_llS8_PT12_llPT13_lli,"axG",@progbits,_ZN12_GLOBAL__N_135rocblas_gemm_batched_general_kernelI19rocblas_complex_numIdELi16ELi16ELi32ELi32ELi8ELi32ELi8ELi8ELi32ELc84ELc78EKPKS2_S5_KPS2_EEvlllT_PT11_llSA_llS8_PT12_llPT13_lli,comdat
.Lfunc_end282:
	.size	_ZN12_GLOBAL__N_135rocblas_gemm_batched_general_kernelI19rocblas_complex_numIdELi16ELi16ELi32ELi32ELi8ELi32ELi8ELi8ELi32ELc84ELc78EKPKS2_S5_KPS2_EEvlllT_PT11_llSA_llS8_PT12_llPT13_lli, .Lfunc_end282-_ZN12_GLOBAL__N_135rocblas_gemm_batched_general_kernelI19rocblas_complex_numIdELi16ELi16ELi32ELi32ELi8ELi32ELi8ELi8ELi32ELc84ELc78EKPKS2_S5_KPS2_EEvlllT_PT11_llSA_llS8_PT12_llPT13_lli
                                        ; -- End function
	.set _ZN12_GLOBAL__N_135rocblas_gemm_batched_general_kernelI19rocblas_complex_numIdELi16ELi16ELi32ELi32ELi8ELi32ELi8ELi8ELi32ELc84ELc78EKPKS2_S5_KPS2_EEvlllT_PT11_llSA_llS8_PT12_llPT13_lli.num_vgpr, 134
	.set _ZN12_GLOBAL__N_135rocblas_gemm_batched_general_kernelI19rocblas_complex_numIdELi16ELi16ELi32ELi32ELi8ELi32ELi8ELi8ELi32ELc84ELc78EKPKS2_S5_KPS2_EEvlllT_PT11_llSA_llS8_PT12_llPT13_lli.num_agpr, 0
	.set _ZN12_GLOBAL__N_135rocblas_gemm_batched_general_kernelI19rocblas_complex_numIdELi16ELi16ELi32ELi32ELi8ELi32ELi8ELi8ELi32ELc84ELc78EKPKS2_S5_KPS2_EEvlllT_PT11_llSA_llS8_PT12_llPT13_lli.numbered_sgpr, 52
	.set _ZN12_GLOBAL__N_135rocblas_gemm_batched_general_kernelI19rocblas_complex_numIdELi16ELi16ELi32ELi32ELi8ELi32ELi8ELi8ELi32ELc84ELc78EKPKS2_S5_KPS2_EEvlllT_PT11_llSA_llS8_PT12_llPT13_lli.num_named_barrier, 0
	.set _ZN12_GLOBAL__N_135rocblas_gemm_batched_general_kernelI19rocblas_complex_numIdELi16ELi16ELi32ELi32ELi8ELi32ELi8ELi8ELi32ELc84ELc78EKPKS2_S5_KPS2_EEvlllT_PT11_llSA_llS8_PT12_llPT13_lli.private_seg_size, 0
	.set _ZN12_GLOBAL__N_135rocblas_gemm_batched_general_kernelI19rocblas_complex_numIdELi16ELi16ELi32ELi32ELi8ELi32ELi8ELi8ELi32ELc84ELc78EKPKS2_S5_KPS2_EEvlllT_PT11_llSA_llS8_PT12_llPT13_lli.uses_vcc, 1
	.set _ZN12_GLOBAL__N_135rocblas_gemm_batched_general_kernelI19rocblas_complex_numIdELi16ELi16ELi32ELi32ELi8ELi32ELi8ELi8ELi32ELc84ELc78EKPKS2_S5_KPS2_EEvlllT_PT11_llSA_llS8_PT12_llPT13_lli.uses_flat_scratch, 0
	.set _ZN12_GLOBAL__N_135rocblas_gemm_batched_general_kernelI19rocblas_complex_numIdELi16ELi16ELi32ELi32ELi8ELi32ELi8ELi8ELi32ELc84ELc78EKPKS2_S5_KPS2_EEvlllT_PT11_llSA_llS8_PT12_llPT13_lli.has_dyn_sized_stack, 0
	.set _ZN12_GLOBAL__N_135rocblas_gemm_batched_general_kernelI19rocblas_complex_numIdELi16ELi16ELi32ELi32ELi8ELi32ELi8ELi8ELi32ELc84ELc78EKPKS2_S5_KPS2_EEvlllT_PT11_llSA_llS8_PT12_llPT13_lli.has_recursion, 0
	.set _ZN12_GLOBAL__N_135rocblas_gemm_batched_general_kernelI19rocblas_complex_numIdELi16ELi16ELi32ELi32ELi8ELi32ELi8ELi8ELi32ELc84ELc78EKPKS2_S5_KPS2_EEvlllT_PT11_llSA_llS8_PT12_llPT13_lli.has_indirect_call, 0
	.section	.AMDGPU.csdata,"",@progbits
; Kernel info:
; codeLenInByte = 3848
; TotalNumSgprs: 54
; NumVgprs: 134
; ScratchSize: 0
; MemoryBound: 0
; FloatMode: 240
; IeeeMode: 1
; LDSByteSize: 8192 bytes/workgroup (compile time only)
; SGPRBlocks: 0
; VGPRBlocks: 16
; NumSGPRsForWavesPerEU: 54
; NumVGPRsForWavesPerEU: 134
; Occupancy: 10
; WaveLimiterHint : 1
; COMPUTE_PGM_RSRC2:SCRATCH_EN: 0
; COMPUTE_PGM_RSRC2:USER_SGPR: 2
; COMPUTE_PGM_RSRC2:TRAP_HANDLER: 0
; COMPUTE_PGM_RSRC2:TGID_X_EN: 1
; COMPUTE_PGM_RSRC2:TGID_Y_EN: 1
; COMPUTE_PGM_RSRC2:TGID_Z_EN: 1
; COMPUTE_PGM_RSRC2:TIDIG_COMP_CNT: 1
	.section	.text._ZN12_GLOBAL__N_135rocblas_gemm_batched_general_kernelI19rocblas_complex_numIdELi16ELi16ELi32ELi32ELi8ELi32ELi8ELi8ELi32ELc78ELc84EKPKS2_S5_KPS2_EEvlllT_PT11_llSA_llS8_PT12_llPT13_lli,"axG",@progbits,_ZN12_GLOBAL__N_135rocblas_gemm_batched_general_kernelI19rocblas_complex_numIdELi16ELi16ELi32ELi32ELi8ELi32ELi8ELi8ELi32ELc78ELc84EKPKS2_S5_KPS2_EEvlllT_PT11_llSA_llS8_PT12_llPT13_lli,comdat
	.globl	_ZN12_GLOBAL__N_135rocblas_gemm_batched_general_kernelI19rocblas_complex_numIdELi16ELi16ELi32ELi32ELi8ELi32ELi8ELi8ELi32ELc78ELc84EKPKS2_S5_KPS2_EEvlllT_PT11_llSA_llS8_PT12_llPT13_lli ; -- Begin function _ZN12_GLOBAL__N_135rocblas_gemm_batched_general_kernelI19rocblas_complex_numIdELi16ELi16ELi32ELi32ELi8ELi32ELi8ELi8ELi32ELc78ELc84EKPKS2_S5_KPS2_EEvlllT_PT11_llSA_llS8_PT12_llPT13_lli
	.p2align	8
	.type	_ZN12_GLOBAL__N_135rocblas_gemm_batched_general_kernelI19rocblas_complex_numIdELi16ELi16ELi32ELi32ELi8ELi32ELi8ELi8ELi32ELc78ELc84EKPKS2_S5_KPS2_EEvlllT_PT11_llSA_llS8_PT12_llPT13_lli,@function
_ZN12_GLOBAL__N_135rocblas_gemm_batched_general_kernelI19rocblas_complex_numIdELi16ELi16ELi32ELi32ELi8ELi32ELi8ELi8ELi32ELc78ELc84EKPKS2_S5_KPS2_EEvlllT_PT11_llSA_llS8_PT12_llPT13_lli: ; @_ZN12_GLOBAL__N_135rocblas_gemm_batched_general_kernelI19rocblas_complex_numIdELi16ELi16ELi32ELi32ELi8ELi32ELi8ELi8ELi32ELc78ELc84EKPKS2_S5_KPS2_EEvlllT_PT11_llSA_llS8_PT12_llPT13_lli
; %bb.0:
	s_load_b32 s33, s[0:1], 0x98
	s_lshr_b32 s6, ttmp7, 16
	s_wait_kmcnt 0x0
	s_cmp_ge_i32 s6, s33
	s_cbranch_scc1 .LBB283_39
; %bb.1:
	s_clause 0x3
	s_load_b512 s[8:23], s[0:1], 0x40
	s_load_b512 s[36:51], s[0:1], 0x0
	s_load_b64 s[30:31], s[0:1], 0x90
	s_load_b128 s[24:27], s[0:1], 0x80
	v_bfe_u32 v2, v0, 10, 10
	v_dual_mov_b32 v1, 0 :: v_dual_and_b32 v4, 0x3ff, v0
	s_and_b32 s5, ttmp7, 0xffff
	s_mov_b32 s28, ttmp9
	s_ashr_i32 s29, ttmp9, 31
	s_lshl_b32 s2, s5, 5
	v_lshl_add_u32 v7, v2, 4, v4
	s_lshl_b64 s[0:1], s[28:29], 5
	v_add_co_u32 v9, s4, s2, v2
	v_lshl_add_u32 v36, v2, 7, 0x1000
	s_delay_alu instid0(VALU_DEP_3)
	v_and_b32_e32 v11, 31, v7
	v_lshrrev_b32_e32 v19, 3, v7
	v_add_co_ci_u32_e64 v10, null, 0, 0, s4
	s_wait_kmcnt 0x0
	v_cmp_eq_f64_e64 s3, s[14:15], 0
	v_cmp_eq_f64_e64 s34, s[16:17], 0
	v_add_co_u32 v5, s4, s0, v4
	v_lshrrev_b32_e32 v37, 5, v7
	v_or_b32_e32 v2, s0, v11
	v_add_co_u32 v7, s0, v19, s2
	v_dual_mov_b32 v3, s1 :: v_dual_and_b32 v0, 7, v0
	s_wait_alu 0xf1ff
	v_add_co_ci_u32_e64 v8, null, 0, 0, s0
	v_add_co_ci_u32_e64 v6, null, s1, 0, s4
	v_lshlrev_b32_e32 v35, 4, v4
	s_delay_alu instid0(VALU_DEP_3) | instskip(SKIP_4) | instid1(VALU_DEP_1)
	v_cmp_gt_i64_e64 s4, s[38:39], v[7:8]
	v_mad_co_u64_u32 v[7:8], null, v9, s26, 0
	v_lshlrev_b32_e32 v13, 4, v0
	v_lshlrev_b32_e32 v20, 4, v11
	v_add_co_u32 v11, vcc_lo, v5, 16
	v_add_co_ci_u32_e64 v12, null, 0, v6, vcc_lo
	s_delay_alu instid0(VALU_DEP_4) | instskip(SKIP_3) | instid1(VALU_DEP_4)
	v_lshl_or_b32 v4, v19, 7, v13
	v_mad_co_u64_u32 v[13:14], null, v9, s20, 0
	v_cmp_gt_i64_e32 vcc_lo, s[36:37], v[2:3]
	v_mad_co_u64_u32 v[2:3], null, s10, v0, 0
	v_dual_mov_b32 v4, v8 :: v_dual_add_nc_u32 v39, 0x1000, v4
	v_cmp_gt_i64_e64 s2, s[36:37], v[11:12]
	v_cmp_gt_i64_e64 s0, s[38:39], v[9:10]
	s_mov_b32 s7, 0
	v_cmp_gt_i64_e64 s1, s[36:37], v[5:6]
	v_mad_co_u64_u32 v[11:12], null, v9, s27, v[4:5]
	v_mov_b32_e32 v4, v14
	s_and_b32 s34, s3, s34
	v_add_co_u32 v17, s3, v9, 16
	s_wait_alu 0xf1ff
	v_add_co_ci_u32_e64 v18, null, 0, v10, s3
	v_mad_co_u64_u32 v[14:15], null, s11, v0, v[3:4]
	v_mad_co_u64_u32 v[15:16], null, s48, v37, 0
	v_mad_co_u64_u32 v[9:10], null, v9, s21, v[4:5]
	v_mov_b32_e32 v8, v11
	s_lshl_b32 s36, s5, 9
	s_delay_alu instid0(VALU_DEP_4) | instskip(SKIP_1) | instid1(VALU_DEP_4)
	v_mov_b32_e32 v3, v14
	s_mov_b32 s37, s7
	v_mov_b32_e32 v4, v16
	s_lshl_b64 s[12:13], s[12:13], 4
	s_delay_alu instid0(VALU_DEP_4)
	v_mov_b32_e32 v14, v9
	v_lshlrev_b64_e32 v[2:3], 4, v[2:3]
	s_wait_alu 0xfffe
	s_add_nc_u64 s[12:13], s[12:13], s[36:37]
	v_mad_co_u64_u32 v[10:11], null, s49, v37, v[4:5]
	v_cmp_gt_i64_e64 s3, s[38:39], v[17:18]
	s_lshl_b64 s[38:39], s[20:21], 4
	v_add_co_u32 v4, s5, s12, v2
	s_wait_alu 0xf1ff
	v_add_co_ci_u32_e64 v9, null, s13, v3, s5
	v_mov_b32_e32 v16, v10
	v_lshlrev_b32_e32 v10, 4, v19
	s_lshl_b64 s[12:13], s[28:29], 9
	s_lshl_b64 s[20:21], s[50:51], 4
	v_cmp_gt_i64_e64 s35, s[40:41], 0
	v_lshlrev_b64_e32 v[2:3], 4, v[15:16]
	v_add_co_u32 v40, s5, v4, v10
	s_wait_alu 0xfffe
	s_add_nc_u64 s[12:13], s[20:21], s[12:13]
	v_add_co_ci_u32_e64 v41, null, 0, v9, s5
	s_wait_alu 0xfffe
	v_add_co_u32 v2, s5, s12, v2
	s_wait_alu 0xf1ff
	v_add_co_ci_u32_e64 v3, null, s13, v3, s5
	v_lshlrev_b64_e32 v[9:10], 4, v[13:14]
	s_delay_alu instid0(VALU_DEP_3)
	v_add_co_u32 v42, s5, v2, v20
	v_lshl_or_b32 v38, v37, 9, v20
	s_wait_alu 0xf1ff
	v_add_co_ci_u32_e64 v43, null, 0, v3, s5
	s_lshl_b64 s[26:27], s[26:27], 4
	s_lshl_b64 s[10:11], s[10:11], 7
	;; [unrolled: 1-line block ×3, first 2 shown]
	s_xor_b32 s36, vcc_lo, -1
	s_xor_b32 s37, s4, -1
	s_lshl_b64 s[4:5], s[30:31], 4
	s_lshl_b64 s[20:21], s[22:23], 4
	;; [unrolled: 1-line block ×3, first 2 shown]
	s_branch .LBB283_4
.LBB283_2:                              ;   in Loop: Header=BB283_4 Depth=1
	s_wait_alu 0xfffe
	s_or_b32 exec_lo, exec_lo, s28
.LBB283_3:                              ;   in Loop: Header=BB283_4 Depth=1
	s_add_co_i32 s6, s6, 0x10000
	s_delay_alu instid0(SALU_CYCLE_1)
	s_cmp_lt_i32 s6, s33
	s_cbranch_scc0 .LBB283_39
.LBB283_4:                              ; =>This Loop Header: Depth=1
                                        ;     Child Loop BB283_7 Depth 2
	s_lshl_b64 s[28:29], s[6:7], 3
	s_and_not1_b32 vcc_lo, exec_lo, s35
	s_wait_alu 0xfffe
	s_add_nc_u64 s[30:31], s[18:19], s[28:29]
	s_add_nc_u64 s[38:39], s[24:25], s[28:29]
	s_clause 0x1
	global_load_b64 v[11:12], v1, s[30:31]
	global_load_b64 v[13:14], v1, s[38:39]
	s_cbranch_vccnz .LBB283_15
; %bb.5:                                ;   in Loop: Header=BB283_4 Depth=1
	s_add_nc_u64 s[30:31], s[8:9], s[28:29]
	s_add_nc_u64 s[28:29], s[46:47], s[28:29]
	s_clause 0x1
	global_load_b64 v[2:3], v1, s[30:31]
	global_load_b64 v[17:18], v1, s[28:29]
	v_mov_b32_e32 v21, 0
	v_mov_b32_e32 v25, 0
	;; [unrolled: 1-line block ×3, first 2 shown]
	v_dual_mov_b32 v33, 0 :: v_dual_mov_b32 v22, 0
	v_dual_mov_b32 v19, 0 :: v_dual_mov_b32 v26, 0
	;; [unrolled: 1-line block ×5, first 2 shown]
	v_mov_b32_e32 v24, 0
	v_mov_b32_e32 v28, 0
	;; [unrolled: 1-line block ×3, first 2 shown]
	s_mov_b64 s[28:29], 0
	s_wait_loadcnt 0x1
	v_add_co_u32 v15, vcc_lo, v2, v40
	s_wait_alu 0xfffd
	v_add_co_ci_u32_e64 v16, null, v3, v41, vcc_lo
	s_wait_loadcnt 0x0
	v_add_co_u32 v17, vcc_lo, v17, v42
	s_wait_alu 0xfffd
	v_add_co_ci_u32_e64 v18, null, v18, v43, vcc_lo
	s_branch .LBB283_7
.LBB283_6:                              ;   in Loop: Header=BB283_7 Depth=2
	s_wait_alu 0xfffe
	s_or_b32 exec_lo, exec_lo, s30
	s_wait_dscnt 0x0
	s_barrier_signal -1
	s_barrier_wait -1
	global_inv scope:SCOPE_SE
	ds_load_b128 v[44:47], v36
	ds_load_b128 v[48:51], v35
	ds_load_b128 v[52:55], v35 offset:256
	ds_load_b128 v[56:59], v36 offset:2048
	;; [unrolled: 1-line block ×10, first 2 shown]
	s_add_nc_u64 s[28:29], s[28:29], 8
	v_add_co_u32 v15, vcc_lo, v15, s10
	s_wait_alu 0xfffe
	v_cmp_lt_i64_e64 s30, s[28:29], s[40:41]
	s_wait_alu 0xfffd
	v_add_co_ci_u32_e64 v16, null, s11, v16, vcc_lo
	v_add_co_u32 v17, vcc_lo, v17, s12
	s_wait_alu 0xfffd
	v_add_co_ci_u32_e64 v18, null, s13, v18, vcc_lo
	s_and_b32 vcc_lo, exec_lo, s30
	s_wait_dscnt 0xa
	v_mul_f64_e32 v[2:3], v[46:47], v[50:51]
	v_mul_f64_e32 v[92:93], v[44:45], v[50:51]
	s_wait_dscnt 0x9
	v_mul_f64_e32 v[94:95], v[46:47], v[54:55]
	v_mul_f64_e32 v[96:97], v[44:45], v[54:55]
	;; [unrolled: 3-line block ×3, first 2 shown]
	v_mul_f64_e32 v[100:101], v[58:59], v[54:55]
	v_mul_f64_e32 v[54:55], v[56:57], v[54:55]
	s_wait_dscnt 0x5
	v_mul_f64_e32 v[102:103], v[62:63], v[70:71]
	v_mul_f64_e32 v[104:105], v[60:61], v[70:71]
	s_wait_dscnt 0x4
	v_mul_f64_e32 v[106:107], v[62:63], v[74:75]
	v_mul_f64_e32 v[108:109], v[60:61], v[74:75]
	;; [unrolled: 1-line block ×6, first 2 shown]
	s_wait_dscnt 0x2
	v_mul_f64_e32 v[118:119], v[78:79], v[82:83]
	v_mul_f64_e32 v[120:121], v[76:77], v[82:83]
	s_wait_dscnt 0x1
	v_mul_f64_e32 v[122:123], v[78:79], v[86:87]
	v_mul_f64_e32 v[124:125], v[76:77], v[86:87]
	;; [unrolled: 3-line block ×3, first 2 shown]
	v_mul_f64_e32 v[128:129], v[90:91], v[86:87]
	v_mul_f64_e32 v[86:87], v[88:89], v[86:87]
	v_fma_f64 v[2:3], v[44:45], v[48:49], -v[2:3]
	v_fma_f64 v[92:93], v[46:47], v[48:49], v[92:93]
	v_fma_f64 v[94:95], v[44:45], v[52:53], -v[94:95]
	v_fma_f64 v[96:97], v[46:47], v[52:53], v[96:97]
	;; [unrolled: 2-line block ×8, first 2 shown]
	ds_load_b128 v[44:47], v36 offset:48
	ds_load_b128 v[48:51], v36 offset:2096
	;; [unrolled: 1-line block ×4, first 2 shown]
	v_fma_f64 v[118:119], v[76:77], v[80:81], -v[118:119]
	v_fma_f64 v[120:121], v[78:79], v[80:81], v[120:121]
	v_fma_f64 v[76:77], v[76:77], v[84:85], -v[122:123]
	v_fma_f64 v[78:79], v[78:79], v[84:85], v[124:125]
	;; [unrolled: 2-line block ×4, first 2 shown]
	s_wait_dscnt 0x1
	v_mul_f64_e32 v[108:109], v[44:45], v[54:55]
	s_wait_dscnt 0x0
	v_mul_f64_e32 v[110:111], v[46:47], v[58:59]
	v_mul_f64_e32 v[112:113], v[44:45], v[58:59]
	v_add_f64_e32 v[2:3], v[31:32], v[2:3]
	v_add_f64_e32 v[70:71], v[92:93], v[33:34]
	;; [unrolled: 1-line block ×8, first 2 shown]
	v_mul_f64_e32 v[100:101], v[46:47], v[54:55]
	v_mul_f64_e32 v[114:115], v[50:51], v[54:55]
	;; [unrolled: 1-line block ×5, first 2 shown]
	ds_load_b128 v[19:22], v36 offset:64
	ds_load_b128 v[23:26], v35 offset:2048
	;; [unrolled: 1-line block ×4, first 2 shown]
	s_wait_dscnt 0x0
	v_mul_f64_e32 v[124:125], v[33:34], v[25:26]
	v_mul_f64_e32 v[126:127], v[33:34], v[29:30]
	v_fma_f64 v[108:109], v[46:47], v[52:53], v[108:109]
	v_fma_f64 v[110:111], v[44:45], v[56:57], -v[110:111]
	v_fma_f64 v[112:113], v[46:47], v[56:57], v[112:113]
	v_add_f64_e32 v[2:3], v[2:3], v[102:103]
	v_add_f64_e32 v[86:87], v[104:105], v[70:71]
	;; [unrolled: 1-line block ×8, first 2 shown]
	v_mul_f64_e32 v[98:99], v[21:22], v[25:26]
	v_mul_f64_e32 v[102:103], v[19:20], v[25:26]
	;; [unrolled: 1-line block ×6, first 2 shown]
	v_fma_f64 v[100:101], v[44:45], v[52:53], -v[100:101]
	v_fma_f64 v[114:115], v[48:49], v[52:53], -v[114:115]
	v_fma_f64 v[128:129], v[50:51], v[52:53], v[54:55]
	v_fma_f64 v[116:117], v[48:49], v[56:57], -v[116:117]
	v_fma_f64 v[56:57], v[50:51], v[56:57], v[130:131]
	ds_load_b128 v[58:61], v36 offset:80
	ds_load_b128 v[62:65], v36 offset:2128
	;; [unrolled: 1-line block ×4, first 2 shown]
	v_fma_f64 v[124:125], v[31:32], v[23:24], -v[124:125]
	v_fma_f64 v[126:127], v[31:32], v[27:28], -v[126:127]
	v_add_f64_e32 v[2:3], v[2:3], v[118:119]
	v_add_f64_e32 v[86:87], v[120:121], v[86:87]
	;; [unrolled: 1-line block ×8, first 2 shown]
	s_wait_dscnt 0x1
	v_mul_f64_e32 v[92:93], v[60:61], v[68:69]
	v_mul_f64_e32 v[94:95], v[58:59], v[68:69]
	s_wait_dscnt 0x0
	v_mul_f64_e32 v[96:97], v[60:61], v[72:73]
	v_mul_f64_e32 v[118:119], v[58:59], v[72:73]
	;; [unrolled: 1-line block ×6, first 2 shown]
	v_fma_f64 v[98:99], v[19:20], v[23:24], -v[98:99]
	v_fma_f64 v[102:103], v[21:22], v[23:24], v[102:103]
	v_fma_f64 v[104:105], v[19:20], v[27:28], -v[104:105]
	v_fma_f64 v[106:107], v[21:22], v[27:28], v[106:107]
	v_fma_f64 v[130:131], v[33:34], v[23:24], v[25:26]
	;; [unrolled: 1-line block ×3, first 2 shown]
	ds_load_b128 v[44:47], v36 offset:96
	ds_load_b128 v[48:51], v35 offset:3072
	;; [unrolled: 1-line block ×8, first 2 shown]
	s_wait_loadcnt_dscnt 0x0
	s_barrier_signal -1
	s_barrier_wait -1
	global_inv scope:SCOPE_SE
	v_add_f64_e32 v[2:3], v[2:3], v[100:101]
	v_add_f64_e32 v[86:87], v[108:109], v[86:87]
	;; [unrolled: 1-line block ×8, first 2 shown]
	v_mul_f64_e32 v[84:85], v[46:47], v[50:51]
	v_mul_f64_e32 v[100:101], v[44:45], v[50:51]
	;; [unrolled: 1-line block ×8, first 2 shown]
	v_fma_f64 v[92:93], v[58:59], v[66:67], -v[92:93]
	v_fma_f64 v[94:95], v[60:61], v[66:67], v[94:95]
	v_fma_f64 v[58:59], v[58:59], v[70:71], -v[96:97]
	v_fma_f64 v[60:61], v[60:61], v[70:71], v[118:119]
	v_fma_f64 v[96:97], v[62:63], v[66:67], -v[120:121]
	v_fma_f64 v[66:67], v[64:65], v[66:67], v[68:69]
	v_fma_f64 v[62:63], v[62:63], v[70:71], -v[122:123]
	v_fma_f64 v[64:65], v[64:65], v[70:71], v[72:73]
	v_add_f64_e32 v[2:3], v[2:3], v[98:99]
	v_add_f64_e32 v[68:69], v[102:103], v[86:87]
	;; [unrolled: 1-line block ×8, first 2 shown]
	v_mul_f64_e32 v[86:87], v[21:22], v[29:30]
	v_mul_f64_e32 v[88:89], v[19:20], v[29:30]
	;; [unrolled: 1-line block ×8, first 2 shown]
	v_fma_f64 v[84:85], v[44:45], v[48:49], -v[84:85]
	v_fma_f64 v[100:101], v[46:47], v[48:49], v[100:101]
	v_fma_f64 v[44:45], v[44:45], v[52:53], -v[108:109]
	v_fma_f64 v[46:47], v[46:47], v[52:53], v[110:111]
	;; [unrolled: 2-line block ×4, first 2 shown]
	v_add_f64_e32 v[2:3], v[2:3], v[92:93]
	v_add_f64_e32 v[54:55], v[94:95], v[68:69]
	;; [unrolled: 1-line block ×8, first 2 shown]
	v_fma_f64 v[64:65], v[19:20], v[27:28], -v[86:87]
	v_fma_f64 v[70:71], v[21:22], v[27:28], v[88:89]
	v_fma_f64 v[19:20], v[19:20], v[31:32], -v[90:91]
	v_fma_f64 v[21:22], v[21:22], v[31:32], v[98:99]
	v_fma_f64 v[72:73], v[23:24], v[27:28], -v[102:103]
	v_fma_f64 v[74:75], v[25:26], v[27:28], v[29:30]
	v_fma_f64 v[76:77], v[23:24], v[31:32], -v[104:105]
	v_fma_f64 v[78:79], v[25:26], v[31:32], v[33:34]
	v_add_f64_e32 v[2:3], v[2:3], v[84:85]
	v_add_f64_e32 v[23:24], v[100:101], v[54:55]
	;; [unrolled: 1-line block ×16, first 2 shown]
	s_wait_alu 0xfffe
	s_cbranch_vccz .LBB283_16
.LBB283_7:                              ;   Parent Loop BB283_4 Depth=1
                                        ; =>  This Inner Loop Header: Depth=2
	s_wait_alu 0xfffe
	v_add_co_u32 v2, s30, v37, s28
	s_wait_alu 0xf1ff
	v_add_co_ci_u32_e64 v3, null, 0, s29, s30
	s_delay_alu instid0(VALU_DEP_1)
	v_cmp_le_i64_e32 vcc_lo, s[40:41], v[2:3]
	s_or_b32 s30, s36, vcc_lo
	s_wait_alu 0xfffe
	s_and_saveexec_b32 s31, s30
	s_wait_alu 0xfffe
	s_xor_b32 s30, exec_lo, s31
; %bb.8:                                ;   in Loop: Header=BB283_7 Depth=2
	v_dual_mov_b32 v2, v1 :: v_dual_mov_b32 v3, v1
	v_mov_b32_e32 v4, v1
	ds_store_b128 v38, v[1:4]
; %bb.9:                                ;   in Loop: Header=BB283_7 Depth=2
	s_wait_alu 0xfffe
	s_and_not1_saveexec_b32 s30, s30
	s_cbranch_execz .LBB283_11
; %bb.10:                               ;   in Loop: Header=BB283_7 Depth=2
	flat_load_b128 v[44:47], v[17:18]
	s_wait_loadcnt_dscnt 0x0
	ds_store_2addr_b64 v38, v[44:45], v[46:47] offset1:1
.LBB283_11:                             ;   in Loop: Header=BB283_7 Depth=2
	s_wait_alu 0xfffe
	s_or_b32 exec_lo, exec_lo, s30
	v_add_co_u32 v2, s30, v0, s28
	s_wait_alu 0xf1ff
	v_add_co_ci_u32_e64 v3, null, 0, s29, s30
	s_delay_alu instid0(VALU_DEP_1)
	v_cmp_le_i64_e32 vcc_lo, s[40:41], v[2:3]
	s_or_b32 s30, vcc_lo, s37
	s_wait_alu 0xfffe
	s_and_saveexec_b32 s31, s30
	s_wait_alu 0xfffe
	s_xor_b32 s30, exec_lo, s31
; %bb.12:                               ;   in Loop: Header=BB283_7 Depth=2
	v_dual_mov_b32 v2, v1 :: v_dual_mov_b32 v3, v1
	v_mov_b32_e32 v4, v1
	ds_store_b128 v39, v[1:4]
; %bb.13:                               ;   in Loop: Header=BB283_7 Depth=2
	s_wait_alu 0xfffe
	s_and_not1_saveexec_b32 s30, s30
	s_cbranch_execz .LBB283_6
; %bb.14:                               ;   in Loop: Header=BB283_7 Depth=2
	flat_load_b128 v[44:47], v[15:16]
	s_wait_loadcnt_dscnt 0x0
	ds_store_2addr_b64 v39, v[44:45], v[46:47] offset1:1
	s_branch .LBB283_6
.LBB283_15:                             ;   in Loop: Header=BB283_4 Depth=1
	v_mov_b32_e32 v31, 0
	v_mov_b32_e32 v27, 0
	;; [unrolled: 1-line block ×3, first 2 shown]
	v_dual_mov_b32 v19, 0 :: v_dual_mov_b32 v32, 0
	v_dual_mov_b32 v33, 0 :: v_dual_mov_b32 v28, 0
	;; [unrolled: 1-line block ×5, first 2 shown]
	v_mov_b32_e32 v30, 0
	v_mov_b32_e32 v26, 0
	;; [unrolled: 1-line block ×3, first 2 shown]
.LBB283_16:                             ;   in Loop: Header=BB283_4 Depth=1
	s_wait_loadcnt 0x0
	v_add_co_u32 v4, vcc_lo, v13, s4
	s_wait_alu 0xfffd
	v_add_co_ci_u32_e64 v13, null, s5, v14, vcc_lo
	s_and_not1_b32 vcc_lo, exec_lo, s34
	s_mov_b32 s28, -1
	s_wait_alu 0xfffe
	s_cbranch_vccz .LBB283_18
; %bb.17:                               ;   in Loop: Header=BB283_4 Depth=1
	s_and_not1_b32 vcc_lo, exec_lo, s28
	s_wait_alu 0xfffe
	s_cbranch_vccnz .LBB283_3
	s_branch .LBB283_29
.LBB283_18:                             ;   in Loop: Header=BB283_4 Depth=1
	s_and_saveexec_b32 s28, s0
	s_cbranch_execz .LBB283_28
; %bb.19:                               ;   in Loop: Header=BB283_4 Depth=1
	v_lshlrev_b64_e32 v[2:3], 4, v[7:8]
	s_delay_alu instid0(VALU_DEP_1) | instskip(SKIP_1) | instid1(VALU_DEP_2)
	v_add_co_u32 v2, vcc_lo, v4, v2
	s_wait_alu 0xfffd
	v_add_co_ci_u32_e64 v3, null, v13, v3, vcc_lo
	s_and_saveexec_b32 s29, s1
	s_cbranch_execnz .LBB283_22
; %bb.20:                               ;   in Loop: Header=BB283_4 Depth=1
	s_wait_alu 0xfffe
	s_or_b32 exec_lo, exec_lo, s29
	s_and_saveexec_b32 s29, s2
	s_cbranch_execnz .LBB283_23
.LBB283_21:                             ;   in Loop: Header=BB283_4 Depth=1
	s_wait_alu 0xfffe
	s_or_b32 exec_lo, exec_lo, s29
	s_delay_alu instid0(SALU_CYCLE_1)
	s_and_b32 exec_lo, exec_lo, s3
	s_cbranch_execnz .LBB283_24
	s_branch .LBB283_28
.LBB283_22:                             ;   in Loop: Header=BB283_4 Depth=1
	v_mul_f64_e32 v[14:15], s[44:45], v[33:34]
	v_mul_f64_e32 v[16:17], s[42:43], v[33:34]
	v_lshlrev_b64_e32 v[44:45], 4, v[5:6]
	s_delay_alu instid0(VALU_DEP_1) | instskip(SKIP_1) | instid1(VALU_DEP_2)
	v_add_co_u32 v44, vcc_lo, v2, v44
	s_wait_alu 0xfffd
	v_add_co_ci_u32_e64 v45, null, v3, v45, vcc_lo
	v_fma_f64 v[14:15], s[42:43], v[31:32], -v[14:15]
	v_fma_f64 v[16:17], s[44:45], v[31:32], v[16:17]
	flat_store_b128 v[44:45], v[14:17]
	s_wait_alu 0xfffe
	s_or_b32 exec_lo, exec_lo, s29
	s_and_saveexec_b32 s29, s2
	s_cbranch_execz .LBB283_21
.LBB283_23:                             ;   in Loop: Header=BB283_4 Depth=1
	v_mul_f64_e32 v[14:15], s[44:45], v[29:30]
	v_mul_f64_e32 v[16:17], s[42:43], v[29:30]
	v_lshlrev_b64_e32 v[44:45], 4, v[5:6]
	s_delay_alu instid0(VALU_DEP_1) | instskip(SKIP_1) | instid1(VALU_DEP_2)
	v_add_co_u32 v44, vcc_lo, v2, v44
	s_wait_alu 0xfffd
	v_add_co_ci_u32_e64 v45, null, v3, v45, vcc_lo
	v_fma_f64 v[14:15], s[42:43], v[27:28], -v[14:15]
	v_fma_f64 v[16:17], s[44:45], v[27:28], v[16:17]
	flat_store_b128 v[44:45], v[14:17] offset:256
	s_wait_alu 0xfffe
	s_or_b32 exec_lo, exec_lo, s29
	s_delay_alu instid0(SALU_CYCLE_1)
	s_and_b32 exec_lo, exec_lo, s3
	s_cbranch_execz .LBB283_28
.LBB283_24:                             ;   in Loop: Header=BB283_4 Depth=1
	s_lshl_b64 s[30:31], s[26:27], 4
	v_lshlrev_b64_e32 v[14:15], 4, v[5:6]
	s_wait_alu 0xfffe
	v_add_co_u32 v2, vcc_lo, v2, s30
	s_wait_alu 0xfffd
	v_add_co_ci_u32_e64 v3, null, s31, v3, vcc_lo
	s_delay_alu instid0(VALU_DEP_2) | instskip(SKIP_1) | instid1(VALU_DEP_2)
	v_add_co_u32 v2, vcc_lo, v2, v14
	s_wait_alu 0xfffd
	v_add_co_ci_u32_e64 v3, null, v3, v15, vcc_lo
	s_and_saveexec_b32 s29, s1
	s_cbranch_execz .LBB283_26
; %bb.25:                               ;   in Loop: Header=BB283_4 Depth=1
	v_mul_f64_e32 v[14:15], s[44:45], v[25:26]
	v_mul_f64_e32 v[16:17], s[42:43], v[25:26]
	s_delay_alu instid0(VALU_DEP_2) | instskip(NEXT) | instid1(VALU_DEP_2)
	v_fma_f64 v[14:15], s[42:43], v[23:24], -v[14:15]
	v_fma_f64 v[16:17], s[44:45], v[23:24], v[16:17]
	flat_store_b128 v[2:3], v[14:17]
.LBB283_26:                             ;   in Loop: Header=BB283_4 Depth=1
	s_wait_alu 0xfffe
	s_or_b32 exec_lo, exec_lo, s29
	s_delay_alu instid0(SALU_CYCLE_1)
	s_and_b32 exec_lo, exec_lo, s2
	s_cbranch_execz .LBB283_28
; %bb.27:                               ;   in Loop: Header=BB283_4 Depth=1
	v_mul_f64_e32 v[14:15], s[44:45], v[21:22]
	v_mul_f64_e32 v[16:17], s[42:43], v[21:22]
	s_delay_alu instid0(VALU_DEP_2) | instskip(NEXT) | instid1(VALU_DEP_2)
	v_fma_f64 v[14:15], s[42:43], v[19:20], -v[14:15]
	v_fma_f64 v[16:17], s[44:45], v[19:20], v[16:17]
	flat_store_b128 v[2:3], v[14:17] offset:256
.LBB283_28:                             ;   in Loop: Header=BB283_4 Depth=1
	s_wait_alu 0xfffe
	s_or_b32 exec_lo, exec_lo, s28
	s_cbranch_execnz .LBB283_3
.LBB283_29:                             ;   in Loop: Header=BB283_4 Depth=1
	s_and_saveexec_b32 s28, s0
	s_cbranch_execz .LBB283_2
; %bb.30:                               ;   in Loop: Header=BB283_4 Depth=1
	v_add_co_u32 v2, vcc_lo, v11, s20
	v_lshlrev_b64_e32 v[14:15], 4, v[7:8]
	s_wait_alu 0xfffd
	v_add_co_ci_u32_e64 v3, null, s21, v12, vcc_lo
	s_delay_alu instid0(VALU_DEP_3) | instskip(SKIP_1) | instid1(VALU_DEP_2)
	v_add_co_u32 v11, vcc_lo, v2, v9
	s_wait_alu 0xfffd
	v_add_co_ci_u32_e64 v12, null, v3, v10, vcc_lo
	v_add_co_u32 v4, vcc_lo, v4, v14
	v_lshlrev_b64_e32 v[2:3], 4, v[5:6]
	s_wait_alu 0xfffd
	v_add_co_ci_u32_e64 v13, null, v13, v15, vcc_lo
	s_and_saveexec_b32 s29, s1
	s_cbranch_execnz .LBB283_33
; %bb.31:                               ;   in Loop: Header=BB283_4 Depth=1
	s_wait_alu 0xfffe
	s_or_b32 exec_lo, exec_lo, s29
	s_and_saveexec_b32 s29, s2
	s_cbranch_execnz .LBB283_34
.LBB283_32:                             ;   in Loop: Header=BB283_4 Depth=1
	s_wait_alu 0xfffe
	s_or_b32 exec_lo, exec_lo, s29
	s_delay_alu instid0(SALU_CYCLE_1)
	s_and_b32 exec_lo, exec_lo, s3
	s_cbranch_execz .LBB283_2
	s_branch .LBB283_35
.LBB283_33:                             ;   in Loop: Header=BB283_4 Depth=1
	v_add_co_u32 v14, vcc_lo, v11, v2
	s_wait_alu 0xfffd
	v_add_co_ci_u32_e64 v15, null, v12, v3, vcc_lo
	v_mul_f64_e32 v[44:45], s[44:45], v[33:34]
	v_mul_f64_e32 v[33:34], s[42:43], v[33:34]
	flat_load_b128 v[14:17], v[14:15]
	v_fma_f64 v[44:45], s[42:43], v[31:32], -v[44:45]
	v_fma_f64 v[31:32], s[44:45], v[31:32], v[33:34]
	s_wait_loadcnt_dscnt 0x0
	v_mul_f64_e32 v[46:47], s[16:17], v[16:17]
	v_mul_f64_e32 v[16:17], s[14:15], v[16:17]
	s_delay_alu instid0(VALU_DEP_2) | instskip(NEXT) | instid1(VALU_DEP_2)
	v_fma_f64 v[33:34], s[14:15], v[14:15], -v[46:47]
	v_fma_f64 v[16:17], s[16:17], v[14:15], v[16:17]
	s_delay_alu instid0(VALU_DEP_2) | instskip(NEXT) | instid1(VALU_DEP_2)
	v_add_f64_e32 v[14:15], v[44:45], v[33:34]
	v_add_f64_e32 v[16:17], v[31:32], v[16:17]
	v_add_co_u32 v31, vcc_lo, v4, v2
	s_wait_alu 0xfffd
	v_add_co_ci_u32_e64 v32, null, v13, v3, vcc_lo
	flat_store_b128 v[31:32], v[14:17]
	s_wait_alu 0xfffe
	s_or_b32 exec_lo, exec_lo, s29
	s_and_saveexec_b32 s29, s2
	s_cbranch_execz .LBB283_32
.LBB283_34:                             ;   in Loop: Header=BB283_4 Depth=1
	v_add_co_u32 v14, vcc_lo, v11, v2
	s_wait_alu 0xfffd
	v_add_co_ci_u32_e64 v15, null, v12, v3, vcc_lo
	v_mul_f64_e32 v[31:32], s[44:45], v[29:30]
	v_mul_f64_e32 v[29:30], s[42:43], v[29:30]
	flat_load_b128 v[14:17], v[14:15] offset:256
	v_fma_f64 v[31:32], s[42:43], v[27:28], -v[31:32]
	v_fma_f64 v[27:28], s[44:45], v[27:28], v[29:30]
	s_wait_loadcnt_dscnt 0x0
	v_mul_f64_e32 v[33:34], s[16:17], v[16:17]
	v_mul_f64_e32 v[16:17], s[14:15], v[16:17]
	s_delay_alu instid0(VALU_DEP_2) | instskip(NEXT) | instid1(VALU_DEP_2)
	v_fma_f64 v[29:30], s[14:15], v[14:15], -v[33:34]
	v_fma_f64 v[16:17], s[16:17], v[14:15], v[16:17]
	s_delay_alu instid0(VALU_DEP_2) | instskip(NEXT) | instid1(VALU_DEP_2)
	v_add_f64_e32 v[14:15], v[31:32], v[29:30]
	v_add_f64_e32 v[16:17], v[27:28], v[16:17]
	v_add_co_u32 v27, vcc_lo, v4, v2
	s_wait_alu 0xfffd
	v_add_co_ci_u32_e64 v28, null, v13, v3, vcc_lo
	flat_store_b128 v[27:28], v[14:17] offset:256
	s_wait_alu 0xfffe
	s_or_b32 exec_lo, exec_lo, s29
	s_delay_alu instid0(SALU_CYCLE_1)
	s_and_b32 exec_lo, exec_lo, s3
	s_cbranch_execz .LBB283_2
.LBB283_35:                             ;   in Loop: Header=BB283_4 Depth=1
	v_add_co_u32 v11, vcc_lo, v11, s22
	s_lshl_b64 s[30:31], s[26:27], 4
	s_wait_alu 0xfffd
	v_add_co_ci_u32_e64 v12, null, s23, v12, vcc_lo
	s_wait_alu 0xfffe
	v_add_co_u32 v4, vcc_lo, v4, s30
	s_wait_alu 0xfffd
	v_add_co_ci_u32_e64 v13, null, s31, v13, vcc_lo
	v_add_co_u32 v11, vcc_lo, v11, v2
	s_wait_alu 0xfffd
	v_add_co_ci_u32_e64 v12, null, v12, v3, vcc_lo
	;; [unrolled: 3-line block ×3, first 2 shown]
	s_and_saveexec_b32 s29, s1
	s_cbranch_execz .LBB283_37
; %bb.36:                               ;   in Loop: Header=BB283_4 Depth=1
	flat_load_b128 v[13:16], v[11:12]
	v_mul_f64_e32 v[17:18], s[44:45], v[25:26]
	v_mul_f64_e32 v[25:26], s[42:43], v[25:26]
	s_delay_alu instid0(VALU_DEP_2) | instskip(NEXT) | instid1(VALU_DEP_2)
	v_fma_f64 v[17:18], s[42:43], v[23:24], -v[17:18]
	v_fma_f64 v[23:24], s[44:45], v[23:24], v[25:26]
	s_wait_loadcnt_dscnt 0x0
	v_mul_f64_e32 v[27:28], s[16:17], v[15:16]
	v_mul_f64_e32 v[15:16], s[14:15], v[15:16]
	s_delay_alu instid0(VALU_DEP_2) | instskip(NEXT) | instid1(VALU_DEP_2)
	v_fma_f64 v[25:26], s[14:15], v[13:14], -v[27:28]
	v_fma_f64 v[15:16], s[16:17], v[13:14], v[15:16]
	s_delay_alu instid0(VALU_DEP_2) | instskip(NEXT) | instid1(VALU_DEP_2)
	v_add_f64_e32 v[13:14], v[17:18], v[25:26]
	v_add_f64_e32 v[15:16], v[23:24], v[15:16]
	flat_store_b128 v[2:3], v[13:16]
.LBB283_37:                             ;   in Loop: Header=BB283_4 Depth=1
	s_wait_alu 0xfffe
	s_or_b32 exec_lo, exec_lo, s29
	s_delay_alu instid0(SALU_CYCLE_1)
	s_and_b32 exec_lo, exec_lo, s2
	s_cbranch_execz .LBB283_2
; %bb.38:                               ;   in Loop: Header=BB283_4 Depth=1
	flat_load_b128 v[11:14], v[11:12] offset:256
	v_mul_f64_e32 v[15:16], s[44:45], v[21:22]
	v_mul_f64_e32 v[17:18], s[42:43], v[21:22]
	s_delay_alu instid0(VALU_DEP_2) | instskip(NEXT) | instid1(VALU_DEP_2)
	v_fma_f64 v[15:16], s[42:43], v[19:20], -v[15:16]
	v_fma_f64 v[17:18], s[44:45], v[19:20], v[17:18]
	s_wait_loadcnt_dscnt 0x0
	v_mul_f64_e32 v[21:22], s[16:17], v[13:14]
	v_mul_f64_e32 v[13:14], s[14:15], v[13:14]
	s_delay_alu instid0(VALU_DEP_2) | instskip(NEXT) | instid1(VALU_DEP_2)
	v_fma_f64 v[19:20], s[14:15], v[11:12], -v[21:22]
	v_fma_f64 v[13:14], s[16:17], v[11:12], v[13:14]
	s_delay_alu instid0(VALU_DEP_2) | instskip(NEXT) | instid1(VALU_DEP_2)
	v_add_f64_e32 v[11:12], v[15:16], v[19:20]
	v_add_f64_e32 v[13:14], v[17:18], v[13:14]
	flat_store_b128 v[2:3], v[11:14] offset:256
	s_branch .LBB283_2
.LBB283_39:
	s_nop 0
	s_sendmsg sendmsg(MSG_DEALLOC_VGPRS)
	s_endpgm
	.section	.rodata,"a",@progbits
	.p2align	6, 0x0
	.amdhsa_kernel _ZN12_GLOBAL__N_135rocblas_gemm_batched_general_kernelI19rocblas_complex_numIdELi16ELi16ELi32ELi32ELi8ELi32ELi8ELi8ELi32ELc78ELc84EKPKS2_S5_KPS2_EEvlllT_PT11_llSA_llS8_PT12_llPT13_lli
		.amdhsa_group_segment_fixed_size 8192
		.amdhsa_private_segment_fixed_size 0
		.amdhsa_kernarg_size 156
		.amdhsa_user_sgpr_count 2
		.amdhsa_user_sgpr_dispatch_ptr 0
		.amdhsa_user_sgpr_queue_ptr 0
		.amdhsa_user_sgpr_kernarg_segment_ptr 1
		.amdhsa_user_sgpr_dispatch_id 0
		.amdhsa_user_sgpr_private_segment_size 0
		.amdhsa_wavefront_size32 1
		.amdhsa_uses_dynamic_stack 0
		.amdhsa_enable_private_segment 0
		.amdhsa_system_sgpr_workgroup_id_x 1
		.amdhsa_system_sgpr_workgroup_id_y 1
		.amdhsa_system_sgpr_workgroup_id_z 1
		.amdhsa_system_sgpr_workgroup_info 0
		.amdhsa_system_vgpr_workitem_id 1
		.amdhsa_next_free_vgpr 134
		.amdhsa_next_free_sgpr 52
		.amdhsa_reserve_vcc 1
		.amdhsa_float_round_mode_32 0
		.amdhsa_float_round_mode_16_64 0
		.amdhsa_float_denorm_mode_32 3
		.amdhsa_float_denorm_mode_16_64 3
		.amdhsa_fp16_overflow 0
		.amdhsa_workgroup_processor_mode 1
		.amdhsa_memory_ordered 1
		.amdhsa_forward_progress 1
		.amdhsa_inst_pref_size 31
		.amdhsa_round_robin_scheduling 0
		.amdhsa_exception_fp_ieee_invalid_op 0
		.amdhsa_exception_fp_denorm_src 0
		.amdhsa_exception_fp_ieee_div_zero 0
		.amdhsa_exception_fp_ieee_overflow 0
		.amdhsa_exception_fp_ieee_underflow 0
		.amdhsa_exception_fp_ieee_inexact 0
		.amdhsa_exception_int_div_zero 0
	.end_amdhsa_kernel
	.section	.text._ZN12_GLOBAL__N_135rocblas_gemm_batched_general_kernelI19rocblas_complex_numIdELi16ELi16ELi32ELi32ELi8ELi32ELi8ELi8ELi32ELc78ELc84EKPKS2_S5_KPS2_EEvlllT_PT11_llSA_llS8_PT12_llPT13_lli,"axG",@progbits,_ZN12_GLOBAL__N_135rocblas_gemm_batched_general_kernelI19rocblas_complex_numIdELi16ELi16ELi32ELi32ELi8ELi32ELi8ELi8ELi32ELc78ELc84EKPKS2_S5_KPS2_EEvlllT_PT11_llSA_llS8_PT12_llPT13_lli,comdat
.Lfunc_end283:
	.size	_ZN12_GLOBAL__N_135rocblas_gemm_batched_general_kernelI19rocblas_complex_numIdELi16ELi16ELi32ELi32ELi8ELi32ELi8ELi8ELi32ELc78ELc84EKPKS2_S5_KPS2_EEvlllT_PT11_llSA_llS8_PT12_llPT13_lli, .Lfunc_end283-_ZN12_GLOBAL__N_135rocblas_gemm_batched_general_kernelI19rocblas_complex_numIdELi16ELi16ELi32ELi32ELi8ELi32ELi8ELi8ELi32ELc78ELc84EKPKS2_S5_KPS2_EEvlllT_PT11_llSA_llS8_PT12_llPT13_lli
                                        ; -- End function
	.set _ZN12_GLOBAL__N_135rocblas_gemm_batched_general_kernelI19rocblas_complex_numIdELi16ELi16ELi32ELi32ELi8ELi32ELi8ELi8ELi32ELc78ELc84EKPKS2_S5_KPS2_EEvlllT_PT11_llSA_llS8_PT12_llPT13_lli.num_vgpr, 134
	.set _ZN12_GLOBAL__N_135rocblas_gemm_batched_general_kernelI19rocblas_complex_numIdELi16ELi16ELi32ELi32ELi8ELi32ELi8ELi8ELi32ELc78ELc84EKPKS2_S5_KPS2_EEvlllT_PT11_llSA_llS8_PT12_llPT13_lli.num_agpr, 0
	.set _ZN12_GLOBAL__N_135rocblas_gemm_batched_general_kernelI19rocblas_complex_numIdELi16ELi16ELi32ELi32ELi8ELi32ELi8ELi8ELi32ELc78ELc84EKPKS2_S5_KPS2_EEvlllT_PT11_llSA_llS8_PT12_llPT13_lli.numbered_sgpr, 52
	.set _ZN12_GLOBAL__N_135rocblas_gemm_batched_general_kernelI19rocblas_complex_numIdELi16ELi16ELi32ELi32ELi8ELi32ELi8ELi8ELi32ELc78ELc84EKPKS2_S5_KPS2_EEvlllT_PT11_llSA_llS8_PT12_llPT13_lli.num_named_barrier, 0
	.set _ZN12_GLOBAL__N_135rocblas_gemm_batched_general_kernelI19rocblas_complex_numIdELi16ELi16ELi32ELi32ELi8ELi32ELi8ELi8ELi32ELc78ELc84EKPKS2_S5_KPS2_EEvlllT_PT11_llSA_llS8_PT12_llPT13_lli.private_seg_size, 0
	.set _ZN12_GLOBAL__N_135rocblas_gemm_batched_general_kernelI19rocblas_complex_numIdELi16ELi16ELi32ELi32ELi8ELi32ELi8ELi8ELi32ELc78ELc84EKPKS2_S5_KPS2_EEvlllT_PT11_llSA_llS8_PT12_llPT13_lli.uses_vcc, 1
	.set _ZN12_GLOBAL__N_135rocblas_gemm_batched_general_kernelI19rocblas_complex_numIdELi16ELi16ELi32ELi32ELi8ELi32ELi8ELi8ELi32ELc78ELc84EKPKS2_S5_KPS2_EEvlllT_PT11_llSA_llS8_PT12_llPT13_lli.uses_flat_scratch, 0
	.set _ZN12_GLOBAL__N_135rocblas_gemm_batched_general_kernelI19rocblas_complex_numIdELi16ELi16ELi32ELi32ELi8ELi32ELi8ELi8ELi32ELc78ELc84EKPKS2_S5_KPS2_EEvlllT_PT11_llSA_llS8_PT12_llPT13_lli.has_dyn_sized_stack, 0
	.set _ZN12_GLOBAL__N_135rocblas_gemm_batched_general_kernelI19rocblas_complex_numIdELi16ELi16ELi32ELi32ELi8ELi32ELi8ELi8ELi32ELc78ELc84EKPKS2_S5_KPS2_EEvlllT_PT11_llSA_llS8_PT12_llPT13_lli.has_recursion, 0
	.set _ZN12_GLOBAL__N_135rocblas_gemm_batched_general_kernelI19rocblas_complex_numIdELi16ELi16ELi32ELi32ELi8ELi32ELi8ELi8ELi32ELc78ELc84EKPKS2_S5_KPS2_EEvlllT_PT11_llSA_llS8_PT12_llPT13_lli.has_indirect_call, 0
	.section	.AMDGPU.csdata,"",@progbits
; Kernel info:
; codeLenInByte = 3852
; TotalNumSgprs: 54
; NumVgprs: 134
; ScratchSize: 0
; MemoryBound: 0
; FloatMode: 240
; IeeeMode: 1
; LDSByteSize: 8192 bytes/workgroup (compile time only)
; SGPRBlocks: 0
; VGPRBlocks: 16
; NumSGPRsForWavesPerEU: 54
; NumVGPRsForWavesPerEU: 134
; Occupancy: 10
; WaveLimiterHint : 1
; COMPUTE_PGM_RSRC2:SCRATCH_EN: 0
; COMPUTE_PGM_RSRC2:USER_SGPR: 2
; COMPUTE_PGM_RSRC2:TRAP_HANDLER: 0
; COMPUTE_PGM_RSRC2:TGID_X_EN: 1
; COMPUTE_PGM_RSRC2:TGID_Y_EN: 1
; COMPUTE_PGM_RSRC2:TGID_Z_EN: 1
; COMPUTE_PGM_RSRC2:TIDIG_COMP_CNT: 1
	.section	.text._ZN12_GLOBAL__N_135rocblas_gemm_batched_general_kernelI19rocblas_complex_numIdELi16ELi16ELi32ELi32ELi8ELi32ELi8ELi8ELi32ELc84ELc84EKPKS2_S5_KPS2_EEvlllT_PT11_llSA_llS8_PT12_llPT13_lli,"axG",@progbits,_ZN12_GLOBAL__N_135rocblas_gemm_batched_general_kernelI19rocblas_complex_numIdELi16ELi16ELi32ELi32ELi8ELi32ELi8ELi8ELi32ELc84ELc84EKPKS2_S5_KPS2_EEvlllT_PT11_llSA_llS8_PT12_llPT13_lli,comdat
	.globl	_ZN12_GLOBAL__N_135rocblas_gemm_batched_general_kernelI19rocblas_complex_numIdELi16ELi16ELi32ELi32ELi8ELi32ELi8ELi8ELi32ELc84ELc84EKPKS2_S5_KPS2_EEvlllT_PT11_llSA_llS8_PT12_llPT13_lli ; -- Begin function _ZN12_GLOBAL__N_135rocblas_gemm_batched_general_kernelI19rocblas_complex_numIdELi16ELi16ELi32ELi32ELi8ELi32ELi8ELi8ELi32ELc84ELc84EKPKS2_S5_KPS2_EEvlllT_PT11_llSA_llS8_PT12_llPT13_lli
	.p2align	8
	.type	_ZN12_GLOBAL__N_135rocblas_gemm_batched_general_kernelI19rocblas_complex_numIdELi16ELi16ELi32ELi32ELi8ELi32ELi8ELi8ELi32ELc84ELc84EKPKS2_S5_KPS2_EEvlllT_PT11_llSA_llS8_PT12_llPT13_lli,@function
_ZN12_GLOBAL__N_135rocblas_gemm_batched_general_kernelI19rocblas_complex_numIdELi16ELi16ELi32ELi32ELi8ELi32ELi8ELi8ELi32ELc84ELc84EKPKS2_S5_KPS2_EEvlllT_PT11_llSA_llS8_PT12_llPT13_lli: ; @_ZN12_GLOBAL__N_135rocblas_gemm_batched_general_kernelI19rocblas_complex_numIdELi16ELi16ELi32ELi32ELi8ELi32ELi8ELi8ELi32ELc84ELc84EKPKS2_S5_KPS2_EEvlllT_PT11_llSA_llS8_PT12_llPT13_lli
; %bb.0:
	s_load_b32 s30, s[0:1], 0x98
	s_lshr_b32 s6, ttmp7, 16
	s_wait_kmcnt 0x0
	s_cmp_ge_i32 s6, s30
	s_cbranch_scc1 .LBB284_39
; %bb.1:
	s_clause 0x3
	s_load_b512 s[8:23], s[0:1], 0x40
	s_load_b512 s[36:51], s[0:1], 0x0
	s_load_b64 s[28:29], s[0:1], 0x90
	s_load_b128 s[24:27], s[0:1], 0x80
	s_mov_b32 s2, ttmp9
	s_ashr_i32 s3, ttmp9, 31
	v_bfe_u32 v2, v0, 10, 10
	s_lshl_b64 s[4:5], s[2:3], 5
	v_dual_mov_b32 v1, 0 :: v_dual_and_b32 v4, 0x3ff, v0
	s_and_b32 s33, ttmp7, 0xffff
	v_dual_mov_b32 v3, s5 :: v_dual_and_b32 v0, 7, v0
	s_lshl_b32 s0, s33, 5
	s_delay_alu instid0(VALU_DEP_2)
	v_lshl_add_u32 v7, v2, 4, v4
	v_add_co_u32 v9, s3, s0, v2
	v_lshlrev_b32_e32 v35, 4, v4
	v_add_co_ci_u32_e64 v10, null, 0, 0, s3
	s_wait_kmcnt 0x0
	v_cmp_eq_f64_e64 s1, s[14:15], 0
	v_cmp_eq_f64_e64 s2, s[16:17], 0
	v_add_co_u32 v5, s3, s4, v4
	v_and_b32_e32 v4, 31, v7
	v_lshrrev_b32_e32 v20, 3, v7
	v_lshlrev_b32_e32 v8, 4, v0
	v_lshl_add_u32 v36, v2, 7, 0x1000
	s_wait_alu 0xf1ff
	v_add_co_ci_u32_e64 v6, null, s5, 0, s3
	v_or_b32_e32 v2, s4, v4
	v_add_co_u32 v13, s0, v20, s0
	v_lshrrev_b32_e32 v37, 5, v7
	v_lshl_or_b32 v16, v20, 7, v8
	v_mad_co_u64_u32 v[7:8], null, v9, s26, 0
	v_add_co_u32 v11, vcc_lo, v5, 16
	s_wait_alu 0xf1ff
	v_add_co_ci_u32_e64 v14, null, 0, 0, s0
	v_add_co_ci_u32_e64 v12, null, 0, v6, vcc_lo
	v_lshlrev_b32_e32 v15, 4, v4
	v_cmp_gt_i64_e32 vcc_lo, s[36:37], v[2:3]
	v_mad_co_u64_u32 v[3:4], null, v9, s20, 0
	v_cmp_gt_i64_e64 s4, s[38:39], v[13:14]
	v_mad_co_u64_u32 v[13:14], null, s10, v0, 0
	v_lshl_or_b32 v38, v37, 9, v15
	v_add_nc_u32_e32 v39, 0x1000, v16
	v_mad_co_u64_u32 v[15:16], null, v9, s27, v[8:9]
	v_cmp_gt_i64_e64 s0, s[38:39], v[9:10]
	s_mov_b32 s7, 0
	v_mov_b32_e32 v8, v14
	s_mul_i32 s5, s48, s5
	s_lshl_b32 s34, s33, 9
	s_and_b32 s31, s1, s2
	v_add_co_u32 v16, s1, v9, 16
	s_wait_alu 0xf1ff
	v_add_co_ci_u32_e64 v17, null, 0, v10, s1
	v_mad_co_u64_u32 v[9:10], null, v9, s21, v[4:5]
	v_cmp_gt_i64_e64 s2, s[36:37], v[11:12]
	s_mov_b32 s35, s7
	s_lshl_b64 s[12:13], s[12:13], 4
	v_cmp_gt_i64_e64 s1, s[36:37], v[5:6]
	s_add_nc_u64 s[12:13], s[12:13], s[34:35]
	v_cmp_gt_i64_e64 s3, s[38:39], v[16:17]
	v_mad_co_u64_u32 v[18:19], null, s11, v0, v[8:9]
	v_mov_b32_e32 v8, v15
	v_mov_b32_e32 v4, v9
	v_mul_lo_u32 v15, s49, v2
	v_mad_co_u64_u32 v[9:10], null, s48, v2, 0
	v_lshlrev_b32_e32 v2, 4, v20
	v_mov_b32_e32 v14, v18
	v_cmp_gt_i64_e64 s33, s[40:41], 0
	s_lshl_b64 s[20:21], s[20:21], 4
	s_lshl_b64 s[26:27], s[26:27], 4
	;; [unrolled: 1-line block ×3, first 2 shown]
	v_lshlrev_b64_e32 v[11:12], 4, v[13:14]
	s_wait_alu 0xfffe
	v_add3_u32 v10, v10, s5, v15
	s_xor_b32 s34, vcc_lo, -1
	s_xor_b32 s35, s4, -1
	s_lshl_b64 s[20:21], s[20:21], 4
	v_add_co_u32 v11, s5, s12, v11
	v_lshlrev_b64_e32 v[9:10], 4, v[9:10]
	s_wait_alu 0xf1ff
	v_add_co_ci_u32_e64 v12, null, s13, v12, s5
	s_delay_alu instid0(VALU_DEP_3)
	v_add_co_u32 v40, s5, v11, v2
	s_lshl_b64 s[12:13], s[50:51], 4
	s_wait_alu 0xf1ff
	v_add_co_ci_u32_e64 v41, null, 0, v12, s5
	v_lshlrev_b32_e32 v2, 4, v37
	s_wait_alu 0xfffe
	v_add_co_u32 v9, s5, v9, s12
	s_wait_alu 0xf1ff
	v_add_co_ci_u32_e64 v10, null, s13, v10, s5
	s_lshl_b64 s[12:13], s[22:23], 4
	v_add_co_u32 v42, s5, v9, v2
	s_wait_alu 0xf1ff
	v_add_co_ci_u32_e64 v43, null, 0, v10, s5
	v_lshlrev_b64_e32 v[9:10], 4, v[3:4]
	s_lshl_b64 s[4:5], s[28:29], 4
	s_branch .LBB284_4
.LBB284_2:                              ;   in Loop: Header=BB284_4 Depth=1
	s_wait_alu 0xfffe
	s_or_b32 exec_lo, exec_lo, s22
.LBB284_3:                              ;   in Loop: Header=BB284_4 Depth=1
	s_add_co_i32 s6, s6, 0x10000
	s_delay_alu instid0(SALU_CYCLE_1)
	s_cmp_lt_i32 s6, s30
	s_cbranch_scc0 .LBB284_39
.LBB284_4:                              ; =>This Loop Header: Depth=1
                                        ;     Child Loop BB284_7 Depth 2
	s_lshl_b64 s[22:23], s[6:7], 3
	s_and_not1_b32 vcc_lo, exec_lo, s33
	s_wait_alu 0xfffe
	s_add_nc_u64 s[28:29], s[18:19], s[22:23]
	s_add_nc_u64 s[36:37], s[24:25], s[22:23]
	s_clause 0x1
	global_load_b64 v[11:12], v1, s[28:29]
	global_load_b64 v[13:14], v1, s[36:37]
	s_cbranch_vccnz .LBB284_15
; %bb.5:                                ;   in Loop: Header=BB284_4 Depth=1
	s_add_nc_u64 s[28:29], s[8:9], s[22:23]
	s_add_nc_u64 s[22:23], s[46:47], s[22:23]
	s_clause 0x1
	global_load_b64 v[2:3], v1, s[28:29]
	global_load_b64 v[17:18], v1, s[22:23]
	v_mov_b32_e32 v21, 0
	v_mov_b32_e32 v25, 0
	;; [unrolled: 1-line block ×3, first 2 shown]
	v_dual_mov_b32 v33, 0 :: v_dual_mov_b32 v22, 0
	v_dual_mov_b32 v19, 0 :: v_dual_mov_b32 v26, 0
	;; [unrolled: 1-line block ×5, first 2 shown]
	v_mov_b32_e32 v24, 0
	v_mov_b32_e32 v28, 0
	;; [unrolled: 1-line block ×3, first 2 shown]
	s_mov_b64 s[22:23], 0
	s_wait_loadcnt 0x1
	v_add_co_u32 v15, vcc_lo, v2, v40
	s_wait_alu 0xfffd
	v_add_co_ci_u32_e64 v16, null, v3, v41, vcc_lo
	s_wait_loadcnt 0x0
	v_add_co_u32 v17, vcc_lo, v17, v42
	s_wait_alu 0xfffd
	v_add_co_ci_u32_e64 v18, null, v18, v43, vcc_lo
	s_branch .LBB284_7
.LBB284_6:                              ;   in Loop: Header=BB284_7 Depth=2
	s_wait_alu 0xfffe
	s_or_b32 exec_lo, exec_lo, s28
	s_wait_dscnt 0x0
	s_barrier_signal -1
	s_barrier_wait -1
	global_inv scope:SCOPE_SE
	ds_load_b128 v[44:47], v36
	ds_load_b128 v[48:51], v35
	ds_load_b128 v[52:55], v35 offset:256
	ds_load_b128 v[56:59], v36 offset:2048
	ds_load_b128 v[60:63], v36 offset:16
	ds_load_b128 v[64:67], v36 offset:2064
	ds_load_b128 v[68:71], v35 offset:512
	ds_load_b128 v[72:75], v35 offset:768
	ds_load_b128 v[76:79], v36 offset:32
	ds_load_b128 v[80:83], v35 offset:1024
	ds_load_b128 v[84:87], v35 offset:1280
	ds_load_b128 v[88:91], v36 offset:2080
	s_add_nc_u64 s[22:23], s[22:23], 8
	v_add_co_u32 v15, vcc_lo, v15, s10
	s_wait_alu 0xfffe
	v_cmp_lt_i64_e64 s28, s[22:23], s[40:41]
	s_wait_alu 0xfffd
	v_add_co_ci_u32_e64 v16, null, s11, v16, vcc_lo
	v_add_co_u32 v17, vcc_lo, 0x80, v17
	s_wait_alu 0xfffd
	v_add_co_ci_u32_e64 v18, null, 0, v18, vcc_lo
	s_and_b32 vcc_lo, exec_lo, s28
	s_wait_dscnt 0xa
	v_mul_f64_e32 v[2:3], v[46:47], v[50:51]
	v_mul_f64_e32 v[92:93], v[44:45], v[50:51]
	s_wait_dscnt 0x9
	v_mul_f64_e32 v[94:95], v[46:47], v[54:55]
	v_mul_f64_e32 v[96:97], v[44:45], v[54:55]
	s_wait_dscnt 0x8
	v_mul_f64_e32 v[98:99], v[58:59], v[50:51]
	v_mul_f64_e32 v[50:51], v[56:57], v[50:51]
	v_mul_f64_e32 v[100:101], v[58:59], v[54:55]
	v_mul_f64_e32 v[54:55], v[56:57], v[54:55]
	s_wait_dscnt 0x5
	v_mul_f64_e32 v[102:103], v[62:63], v[70:71]
	v_mul_f64_e32 v[104:105], v[60:61], v[70:71]
	s_wait_dscnt 0x4
	v_mul_f64_e32 v[106:107], v[62:63], v[74:75]
	v_mul_f64_e32 v[108:109], v[60:61], v[74:75]
	;; [unrolled: 1-line block ×6, first 2 shown]
	s_wait_dscnt 0x2
	v_mul_f64_e32 v[118:119], v[78:79], v[82:83]
	v_mul_f64_e32 v[120:121], v[76:77], v[82:83]
	s_wait_dscnt 0x1
	v_mul_f64_e32 v[122:123], v[78:79], v[86:87]
	v_mul_f64_e32 v[124:125], v[76:77], v[86:87]
	;; [unrolled: 3-line block ×3, first 2 shown]
	v_mul_f64_e32 v[128:129], v[90:91], v[86:87]
	v_mul_f64_e32 v[86:87], v[88:89], v[86:87]
	v_fma_f64 v[2:3], v[44:45], v[48:49], -v[2:3]
	v_fma_f64 v[92:93], v[46:47], v[48:49], v[92:93]
	v_fma_f64 v[94:95], v[44:45], v[52:53], -v[94:95]
	v_fma_f64 v[96:97], v[46:47], v[52:53], v[96:97]
	;; [unrolled: 2-line block ×8, first 2 shown]
	ds_load_b128 v[44:47], v36 offset:48
	ds_load_b128 v[48:51], v36 offset:2096
	ds_load_b128 v[52:55], v35 offset:1536
	ds_load_b128 v[56:59], v35 offset:1792
	v_fma_f64 v[118:119], v[76:77], v[80:81], -v[118:119]
	v_fma_f64 v[120:121], v[78:79], v[80:81], v[120:121]
	v_fma_f64 v[76:77], v[76:77], v[84:85], -v[122:123]
	v_fma_f64 v[78:79], v[78:79], v[84:85], v[124:125]
	v_fma_f64 v[122:123], v[88:89], v[80:81], -v[126:127]
	v_fma_f64 v[80:81], v[90:91], v[80:81], v[82:83]
	v_fma_f64 v[82:83], v[88:89], v[84:85], -v[128:129]
	v_fma_f64 v[84:85], v[90:91], v[84:85], v[86:87]
	s_wait_dscnt 0x1
	v_mul_f64_e32 v[108:109], v[44:45], v[54:55]
	s_wait_dscnt 0x0
	v_mul_f64_e32 v[110:111], v[46:47], v[58:59]
	v_mul_f64_e32 v[112:113], v[44:45], v[58:59]
	v_add_f64_e32 v[2:3], v[31:32], v[2:3]
	v_add_f64_e32 v[70:71], v[92:93], v[33:34]
	;; [unrolled: 1-line block ×8, first 2 shown]
	v_mul_f64_e32 v[100:101], v[46:47], v[54:55]
	v_mul_f64_e32 v[114:115], v[50:51], v[54:55]
	;; [unrolled: 1-line block ×5, first 2 shown]
	ds_load_b128 v[19:22], v36 offset:64
	ds_load_b128 v[23:26], v35 offset:2048
	;; [unrolled: 1-line block ×4, first 2 shown]
	s_wait_dscnt 0x0
	v_mul_f64_e32 v[124:125], v[33:34], v[25:26]
	v_mul_f64_e32 v[126:127], v[33:34], v[29:30]
	v_fma_f64 v[108:109], v[46:47], v[52:53], v[108:109]
	v_fma_f64 v[110:111], v[44:45], v[56:57], -v[110:111]
	v_fma_f64 v[112:113], v[46:47], v[56:57], v[112:113]
	v_add_f64_e32 v[2:3], v[2:3], v[102:103]
	v_add_f64_e32 v[86:87], v[104:105], v[70:71]
	;; [unrolled: 1-line block ×8, first 2 shown]
	v_mul_f64_e32 v[98:99], v[21:22], v[25:26]
	v_mul_f64_e32 v[102:103], v[19:20], v[25:26]
	;; [unrolled: 1-line block ×6, first 2 shown]
	v_fma_f64 v[100:101], v[44:45], v[52:53], -v[100:101]
	v_fma_f64 v[114:115], v[48:49], v[52:53], -v[114:115]
	v_fma_f64 v[128:129], v[50:51], v[52:53], v[54:55]
	v_fma_f64 v[116:117], v[48:49], v[56:57], -v[116:117]
	v_fma_f64 v[56:57], v[50:51], v[56:57], v[130:131]
	ds_load_b128 v[58:61], v36 offset:80
	ds_load_b128 v[62:65], v36 offset:2128
	ds_load_b128 v[66:69], v35 offset:2560
	ds_load_b128 v[70:73], v35 offset:2816
	v_fma_f64 v[124:125], v[31:32], v[23:24], -v[124:125]
	v_fma_f64 v[126:127], v[31:32], v[27:28], -v[126:127]
	v_add_f64_e32 v[2:3], v[2:3], v[118:119]
	v_add_f64_e32 v[86:87], v[120:121], v[86:87]
	;; [unrolled: 1-line block ×8, first 2 shown]
	s_wait_dscnt 0x1
	v_mul_f64_e32 v[92:93], v[60:61], v[68:69]
	v_mul_f64_e32 v[94:95], v[58:59], v[68:69]
	s_wait_dscnt 0x0
	v_mul_f64_e32 v[96:97], v[60:61], v[72:73]
	v_mul_f64_e32 v[118:119], v[58:59], v[72:73]
	;; [unrolled: 1-line block ×6, first 2 shown]
	v_fma_f64 v[98:99], v[19:20], v[23:24], -v[98:99]
	v_fma_f64 v[102:103], v[21:22], v[23:24], v[102:103]
	v_fma_f64 v[104:105], v[19:20], v[27:28], -v[104:105]
	v_fma_f64 v[106:107], v[21:22], v[27:28], v[106:107]
	v_fma_f64 v[130:131], v[33:34], v[23:24], v[25:26]
	;; [unrolled: 1-line block ×3, first 2 shown]
	ds_load_b128 v[44:47], v36 offset:96
	ds_load_b128 v[48:51], v35 offset:3072
	;; [unrolled: 1-line block ×8, first 2 shown]
	s_wait_loadcnt_dscnt 0x0
	s_barrier_signal -1
	s_barrier_wait -1
	global_inv scope:SCOPE_SE
	v_add_f64_e32 v[2:3], v[2:3], v[100:101]
	v_add_f64_e32 v[86:87], v[108:109], v[86:87]
	;; [unrolled: 1-line block ×8, first 2 shown]
	v_mul_f64_e32 v[84:85], v[46:47], v[50:51]
	v_mul_f64_e32 v[100:101], v[44:45], v[50:51]
	;; [unrolled: 1-line block ×8, first 2 shown]
	v_fma_f64 v[92:93], v[58:59], v[66:67], -v[92:93]
	v_fma_f64 v[94:95], v[60:61], v[66:67], v[94:95]
	v_fma_f64 v[58:59], v[58:59], v[70:71], -v[96:97]
	v_fma_f64 v[60:61], v[60:61], v[70:71], v[118:119]
	;; [unrolled: 2-line block ×4, first 2 shown]
	v_add_f64_e32 v[2:3], v[2:3], v[98:99]
	v_add_f64_e32 v[68:69], v[102:103], v[86:87]
	;; [unrolled: 1-line block ×8, first 2 shown]
	v_mul_f64_e32 v[86:87], v[21:22], v[29:30]
	v_mul_f64_e32 v[88:89], v[19:20], v[29:30]
	;; [unrolled: 1-line block ×8, first 2 shown]
	v_fma_f64 v[84:85], v[44:45], v[48:49], -v[84:85]
	v_fma_f64 v[100:101], v[46:47], v[48:49], v[100:101]
	v_fma_f64 v[44:45], v[44:45], v[52:53], -v[108:109]
	v_fma_f64 v[46:47], v[46:47], v[52:53], v[110:111]
	;; [unrolled: 2-line block ×4, first 2 shown]
	v_add_f64_e32 v[2:3], v[2:3], v[92:93]
	v_add_f64_e32 v[54:55], v[94:95], v[68:69]
	;; [unrolled: 1-line block ×8, first 2 shown]
	v_fma_f64 v[64:65], v[19:20], v[27:28], -v[86:87]
	v_fma_f64 v[70:71], v[21:22], v[27:28], v[88:89]
	v_fma_f64 v[19:20], v[19:20], v[31:32], -v[90:91]
	v_fma_f64 v[21:22], v[21:22], v[31:32], v[98:99]
	v_fma_f64 v[72:73], v[23:24], v[27:28], -v[102:103]
	v_fma_f64 v[74:75], v[25:26], v[27:28], v[29:30]
	v_fma_f64 v[76:77], v[23:24], v[31:32], -v[104:105]
	v_fma_f64 v[78:79], v[25:26], v[31:32], v[33:34]
	v_add_f64_e32 v[2:3], v[2:3], v[84:85]
	v_add_f64_e32 v[23:24], v[100:101], v[54:55]
	;; [unrolled: 1-line block ×16, first 2 shown]
	s_wait_alu 0xfffe
	s_cbranch_vccz .LBB284_16
.LBB284_7:                              ;   Parent Loop BB284_4 Depth=1
                                        ; =>  This Inner Loop Header: Depth=2
	s_wait_alu 0xfffe
	v_add_co_u32 v2, s28, v37, s22
	s_wait_alu 0xf1ff
	v_add_co_ci_u32_e64 v3, null, 0, s23, s28
	s_delay_alu instid0(VALU_DEP_1)
	v_cmp_le_i64_e32 vcc_lo, s[40:41], v[2:3]
	s_or_b32 s28, s34, vcc_lo
	s_wait_alu 0xfffe
	s_and_saveexec_b32 s29, s28
	s_wait_alu 0xfffe
	s_xor_b32 s28, exec_lo, s29
; %bb.8:                                ;   in Loop: Header=BB284_7 Depth=2
	v_dual_mov_b32 v2, v1 :: v_dual_mov_b32 v3, v1
	v_mov_b32_e32 v4, v1
	ds_store_b128 v38, v[1:4]
; %bb.9:                                ;   in Loop: Header=BB284_7 Depth=2
	s_wait_alu 0xfffe
	s_and_not1_saveexec_b32 s28, s28
	s_cbranch_execz .LBB284_11
; %bb.10:                               ;   in Loop: Header=BB284_7 Depth=2
	flat_load_b128 v[44:47], v[17:18]
	s_wait_loadcnt_dscnt 0x0
	ds_store_2addr_b64 v38, v[44:45], v[46:47] offset1:1
.LBB284_11:                             ;   in Loop: Header=BB284_7 Depth=2
	s_wait_alu 0xfffe
	s_or_b32 exec_lo, exec_lo, s28
	v_add_co_u32 v2, s28, v0, s22
	s_wait_alu 0xf1ff
	v_add_co_ci_u32_e64 v3, null, 0, s23, s28
	s_delay_alu instid0(VALU_DEP_1)
	v_cmp_le_i64_e32 vcc_lo, s[40:41], v[2:3]
	s_or_b32 s28, vcc_lo, s35
	s_wait_alu 0xfffe
	s_and_saveexec_b32 s29, s28
	s_wait_alu 0xfffe
	s_xor_b32 s28, exec_lo, s29
; %bb.12:                               ;   in Loop: Header=BB284_7 Depth=2
	v_dual_mov_b32 v2, v1 :: v_dual_mov_b32 v3, v1
	v_mov_b32_e32 v4, v1
	ds_store_b128 v39, v[1:4]
; %bb.13:                               ;   in Loop: Header=BB284_7 Depth=2
	s_wait_alu 0xfffe
	s_and_not1_saveexec_b32 s28, s28
	s_cbranch_execz .LBB284_6
; %bb.14:                               ;   in Loop: Header=BB284_7 Depth=2
	flat_load_b128 v[44:47], v[15:16]
	s_wait_loadcnt_dscnt 0x0
	ds_store_2addr_b64 v39, v[44:45], v[46:47] offset1:1
	s_branch .LBB284_6
.LBB284_15:                             ;   in Loop: Header=BB284_4 Depth=1
	v_mov_b32_e32 v31, 0
	v_mov_b32_e32 v27, 0
	;; [unrolled: 1-line block ×3, first 2 shown]
	v_dual_mov_b32 v19, 0 :: v_dual_mov_b32 v32, 0
	v_dual_mov_b32 v33, 0 :: v_dual_mov_b32 v28, 0
	;; [unrolled: 1-line block ×5, first 2 shown]
	v_mov_b32_e32 v30, 0
	v_mov_b32_e32 v26, 0
	;; [unrolled: 1-line block ×3, first 2 shown]
.LBB284_16:                             ;   in Loop: Header=BB284_4 Depth=1
	s_wait_loadcnt 0x0
	v_add_co_u32 v4, vcc_lo, v13, s4
	s_wait_alu 0xfffd
	v_add_co_ci_u32_e64 v13, null, s5, v14, vcc_lo
	s_and_not1_b32 vcc_lo, exec_lo, s31
	s_mov_b32 s22, -1
	s_wait_alu 0xfffe
	s_cbranch_vccz .LBB284_18
; %bb.17:                               ;   in Loop: Header=BB284_4 Depth=1
	s_and_not1_b32 vcc_lo, exec_lo, s22
	s_wait_alu 0xfffe
	s_cbranch_vccnz .LBB284_3
	s_branch .LBB284_29
.LBB284_18:                             ;   in Loop: Header=BB284_4 Depth=1
	s_and_saveexec_b32 s22, s0
	s_cbranch_execz .LBB284_28
; %bb.19:                               ;   in Loop: Header=BB284_4 Depth=1
	v_lshlrev_b64_e32 v[2:3], 4, v[7:8]
	s_delay_alu instid0(VALU_DEP_1) | instskip(SKIP_1) | instid1(VALU_DEP_2)
	v_add_co_u32 v2, vcc_lo, v4, v2
	s_wait_alu 0xfffd
	v_add_co_ci_u32_e64 v3, null, v13, v3, vcc_lo
	s_and_saveexec_b32 s23, s1
	s_cbranch_execnz .LBB284_22
; %bb.20:                               ;   in Loop: Header=BB284_4 Depth=1
	s_wait_alu 0xfffe
	s_or_b32 exec_lo, exec_lo, s23
	s_and_saveexec_b32 s23, s2
	s_cbranch_execnz .LBB284_23
.LBB284_21:                             ;   in Loop: Header=BB284_4 Depth=1
	s_wait_alu 0xfffe
	s_or_b32 exec_lo, exec_lo, s23
	s_delay_alu instid0(SALU_CYCLE_1)
	s_and_b32 exec_lo, exec_lo, s3
	s_cbranch_execnz .LBB284_24
	s_branch .LBB284_28
.LBB284_22:                             ;   in Loop: Header=BB284_4 Depth=1
	v_mul_f64_e32 v[14:15], s[44:45], v[33:34]
	v_mul_f64_e32 v[16:17], s[42:43], v[33:34]
	v_lshlrev_b64_e32 v[44:45], 4, v[5:6]
	s_delay_alu instid0(VALU_DEP_1) | instskip(SKIP_1) | instid1(VALU_DEP_2)
	v_add_co_u32 v44, vcc_lo, v2, v44
	s_wait_alu 0xfffd
	v_add_co_ci_u32_e64 v45, null, v3, v45, vcc_lo
	v_fma_f64 v[14:15], s[42:43], v[31:32], -v[14:15]
	v_fma_f64 v[16:17], s[44:45], v[31:32], v[16:17]
	flat_store_b128 v[44:45], v[14:17]
	s_wait_alu 0xfffe
	s_or_b32 exec_lo, exec_lo, s23
	s_and_saveexec_b32 s23, s2
	s_cbranch_execz .LBB284_21
.LBB284_23:                             ;   in Loop: Header=BB284_4 Depth=1
	v_mul_f64_e32 v[14:15], s[44:45], v[29:30]
	v_mul_f64_e32 v[16:17], s[42:43], v[29:30]
	v_lshlrev_b64_e32 v[44:45], 4, v[5:6]
	s_delay_alu instid0(VALU_DEP_1) | instskip(SKIP_1) | instid1(VALU_DEP_2)
	v_add_co_u32 v44, vcc_lo, v2, v44
	s_wait_alu 0xfffd
	v_add_co_ci_u32_e64 v45, null, v3, v45, vcc_lo
	v_fma_f64 v[14:15], s[42:43], v[27:28], -v[14:15]
	v_fma_f64 v[16:17], s[44:45], v[27:28], v[16:17]
	flat_store_b128 v[44:45], v[14:17] offset:256
	s_wait_alu 0xfffe
	s_or_b32 exec_lo, exec_lo, s23
	s_delay_alu instid0(SALU_CYCLE_1)
	s_and_b32 exec_lo, exec_lo, s3
	s_cbranch_execz .LBB284_28
.LBB284_24:                             ;   in Loop: Header=BB284_4 Depth=1
	s_lshl_b64 s[28:29], s[26:27], 4
	v_lshlrev_b64_e32 v[14:15], 4, v[5:6]
	s_wait_alu 0xfffe
	v_add_co_u32 v2, vcc_lo, v2, s28
	s_wait_alu 0xfffd
	v_add_co_ci_u32_e64 v3, null, s29, v3, vcc_lo
	s_delay_alu instid0(VALU_DEP_2) | instskip(SKIP_1) | instid1(VALU_DEP_2)
	v_add_co_u32 v2, vcc_lo, v2, v14
	s_wait_alu 0xfffd
	v_add_co_ci_u32_e64 v3, null, v3, v15, vcc_lo
	s_and_saveexec_b32 s23, s1
	s_cbranch_execz .LBB284_26
; %bb.25:                               ;   in Loop: Header=BB284_4 Depth=1
	v_mul_f64_e32 v[14:15], s[44:45], v[25:26]
	v_mul_f64_e32 v[16:17], s[42:43], v[25:26]
	s_delay_alu instid0(VALU_DEP_2) | instskip(NEXT) | instid1(VALU_DEP_2)
	v_fma_f64 v[14:15], s[42:43], v[23:24], -v[14:15]
	v_fma_f64 v[16:17], s[44:45], v[23:24], v[16:17]
	flat_store_b128 v[2:3], v[14:17]
.LBB284_26:                             ;   in Loop: Header=BB284_4 Depth=1
	s_wait_alu 0xfffe
	s_or_b32 exec_lo, exec_lo, s23
	s_delay_alu instid0(SALU_CYCLE_1)
	s_and_b32 exec_lo, exec_lo, s2
	s_cbranch_execz .LBB284_28
; %bb.27:                               ;   in Loop: Header=BB284_4 Depth=1
	v_mul_f64_e32 v[14:15], s[44:45], v[21:22]
	v_mul_f64_e32 v[16:17], s[42:43], v[21:22]
	s_delay_alu instid0(VALU_DEP_2) | instskip(NEXT) | instid1(VALU_DEP_2)
	v_fma_f64 v[14:15], s[42:43], v[19:20], -v[14:15]
	v_fma_f64 v[16:17], s[44:45], v[19:20], v[16:17]
	flat_store_b128 v[2:3], v[14:17] offset:256
.LBB284_28:                             ;   in Loop: Header=BB284_4 Depth=1
	s_wait_alu 0xfffe
	s_or_b32 exec_lo, exec_lo, s22
	s_cbranch_execnz .LBB284_3
.LBB284_29:                             ;   in Loop: Header=BB284_4 Depth=1
	s_and_saveexec_b32 s22, s0
	s_cbranch_execz .LBB284_2
; %bb.30:                               ;   in Loop: Header=BB284_4 Depth=1
	v_add_co_u32 v2, vcc_lo, v11, s12
	v_lshlrev_b64_e32 v[14:15], 4, v[7:8]
	s_wait_alu 0xfffd
	v_add_co_ci_u32_e64 v3, null, s13, v12, vcc_lo
	s_delay_alu instid0(VALU_DEP_3) | instskip(SKIP_1) | instid1(VALU_DEP_2)
	v_add_co_u32 v11, vcc_lo, v2, v9
	s_wait_alu 0xfffd
	v_add_co_ci_u32_e64 v12, null, v3, v10, vcc_lo
	v_add_co_u32 v4, vcc_lo, v4, v14
	v_lshlrev_b64_e32 v[2:3], 4, v[5:6]
	s_wait_alu 0xfffd
	v_add_co_ci_u32_e64 v13, null, v13, v15, vcc_lo
	s_and_saveexec_b32 s23, s1
	s_cbranch_execnz .LBB284_33
; %bb.31:                               ;   in Loop: Header=BB284_4 Depth=1
	s_wait_alu 0xfffe
	s_or_b32 exec_lo, exec_lo, s23
	s_and_saveexec_b32 s23, s2
	s_cbranch_execnz .LBB284_34
.LBB284_32:                             ;   in Loop: Header=BB284_4 Depth=1
	s_wait_alu 0xfffe
	s_or_b32 exec_lo, exec_lo, s23
	s_delay_alu instid0(SALU_CYCLE_1)
	s_and_b32 exec_lo, exec_lo, s3
	s_cbranch_execz .LBB284_2
	s_branch .LBB284_35
.LBB284_33:                             ;   in Loop: Header=BB284_4 Depth=1
	v_add_co_u32 v14, vcc_lo, v11, v2
	s_wait_alu 0xfffd
	v_add_co_ci_u32_e64 v15, null, v12, v3, vcc_lo
	v_mul_f64_e32 v[44:45], s[44:45], v[33:34]
	v_mul_f64_e32 v[33:34], s[42:43], v[33:34]
	flat_load_b128 v[14:17], v[14:15]
	v_fma_f64 v[44:45], s[42:43], v[31:32], -v[44:45]
	v_fma_f64 v[31:32], s[44:45], v[31:32], v[33:34]
	s_wait_loadcnt_dscnt 0x0
	v_mul_f64_e32 v[46:47], s[16:17], v[16:17]
	v_mul_f64_e32 v[16:17], s[14:15], v[16:17]
	s_delay_alu instid0(VALU_DEP_2) | instskip(NEXT) | instid1(VALU_DEP_2)
	v_fma_f64 v[33:34], s[14:15], v[14:15], -v[46:47]
	v_fma_f64 v[16:17], s[16:17], v[14:15], v[16:17]
	s_delay_alu instid0(VALU_DEP_2) | instskip(NEXT) | instid1(VALU_DEP_2)
	v_add_f64_e32 v[14:15], v[44:45], v[33:34]
	v_add_f64_e32 v[16:17], v[31:32], v[16:17]
	v_add_co_u32 v31, vcc_lo, v4, v2
	s_wait_alu 0xfffd
	v_add_co_ci_u32_e64 v32, null, v13, v3, vcc_lo
	flat_store_b128 v[31:32], v[14:17]
	s_wait_alu 0xfffe
	s_or_b32 exec_lo, exec_lo, s23
	s_and_saveexec_b32 s23, s2
	s_cbranch_execz .LBB284_32
.LBB284_34:                             ;   in Loop: Header=BB284_4 Depth=1
	v_add_co_u32 v14, vcc_lo, v11, v2
	s_wait_alu 0xfffd
	v_add_co_ci_u32_e64 v15, null, v12, v3, vcc_lo
	v_mul_f64_e32 v[31:32], s[44:45], v[29:30]
	v_mul_f64_e32 v[29:30], s[42:43], v[29:30]
	flat_load_b128 v[14:17], v[14:15] offset:256
	v_fma_f64 v[31:32], s[42:43], v[27:28], -v[31:32]
	v_fma_f64 v[27:28], s[44:45], v[27:28], v[29:30]
	s_wait_loadcnt_dscnt 0x0
	v_mul_f64_e32 v[33:34], s[16:17], v[16:17]
	v_mul_f64_e32 v[16:17], s[14:15], v[16:17]
	s_delay_alu instid0(VALU_DEP_2) | instskip(NEXT) | instid1(VALU_DEP_2)
	v_fma_f64 v[29:30], s[14:15], v[14:15], -v[33:34]
	v_fma_f64 v[16:17], s[16:17], v[14:15], v[16:17]
	s_delay_alu instid0(VALU_DEP_2) | instskip(NEXT) | instid1(VALU_DEP_2)
	v_add_f64_e32 v[14:15], v[31:32], v[29:30]
	v_add_f64_e32 v[16:17], v[27:28], v[16:17]
	v_add_co_u32 v27, vcc_lo, v4, v2
	s_wait_alu 0xfffd
	v_add_co_ci_u32_e64 v28, null, v13, v3, vcc_lo
	flat_store_b128 v[27:28], v[14:17] offset:256
	s_wait_alu 0xfffe
	s_or_b32 exec_lo, exec_lo, s23
	s_delay_alu instid0(SALU_CYCLE_1)
	s_and_b32 exec_lo, exec_lo, s3
	s_cbranch_execz .LBB284_2
.LBB284_35:                             ;   in Loop: Header=BB284_4 Depth=1
	v_add_co_u32 v11, vcc_lo, v11, s20
	s_lshl_b64 s[28:29], s[26:27], 4
	s_wait_alu 0xfffd
	v_add_co_ci_u32_e64 v12, null, s21, v12, vcc_lo
	s_wait_alu 0xfffe
	v_add_co_u32 v4, vcc_lo, v4, s28
	s_wait_alu 0xfffd
	v_add_co_ci_u32_e64 v13, null, s29, v13, vcc_lo
	v_add_co_u32 v11, vcc_lo, v11, v2
	s_wait_alu 0xfffd
	v_add_co_ci_u32_e64 v12, null, v12, v3, vcc_lo
	;; [unrolled: 3-line block ×3, first 2 shown]
	s_and_saveexec_b32 s23, s1
	s_cbranch_execz .LBB284_37
; %bb.36:                               ;   in Loop: Header=BB284_4 Depth=1
	flat_load_b128 v[13:16], v[11:12]
	v_mul_f64_e32 v[17:18], s[44:45], v[25:26]
	v_mul_f64_e32 v[25:26], s[42:43], v[25:26]
	s_delay_alu instid0(VALU_DEP_2) | instskip(NEXT) | instid1(VALU_DEP_2)
	v_fma_f64 v[17:18], s[42:43], v[23:24], -v[17:18]
	v_fma_f64 v[23:24], s[44:45], v[23:24], v[25:26]
	s_wait_loadcnt_dscnt 0x0
	v_mul_f64_e32 v[27:28], s[16:17], v[15:16]
	v_mul_f64_e32 v[15:16], s[14:15], v[15:16]
	s_delay_alu instid0(VALU_DEP_2) | instskip(NEXT) | instid1(VALU_DEP_2)
	v_fma_f64 v[25:26], s[14:15], v[13:14], -v[27:28]
	v_fma_f64 v[15:16], s[16:17], v[13:14], v[15:16]
	s_delay_alu instid0(VALU_DEP_2) | instskip(NEXT) | instid1(VALU_DEP_2)
	v_add_f64_e32 v[13:14], v[17:18], v[25:26]
	v_add_f64_e32 v[15:16], v[23:24], v[15:16]
	flat_store_b128 v[2:3], v[13:16]
.LBB284_37:                             ;   in Loop: Header=BB284_4 Depth=1
	s_wait_alu 0xfffe
	s_or_b32 exec_lo, exec_lo, s23
	s_delay_alu instid0(SALU_CYCLE_1)
	s_and_b32 exec_lo, exec_lo, s2
	s_cbranch_execz .LBB284_2
; %bb.38:                               ;   in Loop: Header=BB284_4 Depth=1
	flat_load_b128 v[11:14], v[11:12] offset:256
	v_mul_f64_e32 v[15:16], s[44:45], v[21:22]
	v_mul_f64_e32 v[17:18], s[42:43], v[21:22]
	s_delay_alu instid0(VALU_DEP_2) | instskip(NEXT) | instid1(VALU_DEP_2)
	v_fma_f64 v[15:16], s[42:43], v[19:20], -v[15:16]
	v_fma_f64 v[17:18], s[44:45], v[19:20], v[17:18]
	s_wait_loadcnt_dscnt 0x0
	v_mul_f64_e32 v[21:22], s[16:17], v[13:14]
	v_mul_f64_e32 v[13:14], s[14:15], v[13:14]
	s_delay_alu instid0(VALU_DEP_2) | instskip(NEXT) | instid1(VALU_DEP_2)
	v_fma_f64 v[19:20], s[14:15], v[11:12], -v[21:22]
	v_fma_f64 v[13:14], s[16:17], v[11:12], v[13:14]
	s_delay_alu instid0(VALU_DEP_2) | instskip(NEXT) | instid1(VALU_DEP_2)
	v_add_f64_e32 v[11:12], v[15:16], v[19:20]
	v_add_f64_e32 v[13:14], v[17:18], v[13:14]
	flat_store_b128 v[2:3], v[11:14] offset:256
	s_branch .LBB284_2
.LBB284_39:
	s_nop 0
	s_sendmsg sendmsg(MSG_DEALLOC_VGPRS)
	s_endpgm
	.section	.rodata,"a",@progbits
	.p2align	6, 0x0
	.amdhsa_kernel _ZN12_GLOBAL__N_135rocblas_gemm_batched_general_kernelI19rocblas_complex_numIdELi16ELi16ELi32ELi32ELi8ELi32ELi8ELi8ELi32ELc84ELc84EKPKS2_S5_KPS2_EEvlllT_PT11_llSA_llS8_PT12_llPT13_lli
		.amdhsa_group_segment_fixed_size 8192
		.amdhsa_private_segment_fixed_size 0
		.amdhsa_kernarg_size 156
		.amdhsa_user_sgpr_count 2
		.amdhsa_user_sgpr_dispatch_ptr 0
		.amdhsa_user_sgpr_queue_ptr 0
		.amdhsa_user_sgpr_kernarg_segment_ptr 1
		.amdhsa_user_sgpr_dispatch_id 0
		.amdhsa_user_sgpr_private_segment_size 0
		.amdhsa_wavefront_size32 1
		.amdhsa_uses_dynamic_stack 0
		.amdhsa_enable_private_segment 0
		.amdhsa_system_sgpr_workgroup_id_x 1
		.amdhsa_system_sgpr_workgroup_id_y 1
		.amdhsa_system_sgpr_workgroup_id_z 1
		.amdhsa_system_sgpr_workgroup_info 0
		.amdhsa_system_vgpr_workitem_id 1
		.amdhsa_next_free_vgpr 134
		.amdhsa_next_free_sgpr 52
		.amdhsa_reserve_vcc 1
		.amdhsa_float_round_mode_32 0
		.amdhsa_float_round_mode_16_64 0
		.amdhsa_float_denorm_mode_32 3
		.amdhsa_float_denorm_mode_16_64 3
		.amdhsa_fp16_overflow 0
		.amdhsa_workgroup_processor_mode 1
		.amdhsa_memory_ordered 1
		.amdhsa_forward_progress 1
		.amdhsa_inst_pref_size 30
		.amdhsa_round_robin_scheduling 0
		.amdhsa_exception_fp_ieee_invalid_op 0
		.amdhsa_exception_fp_denorm_src 0
		.amdhsa_exception_fp_ieee_div_zero 0
		.amdhsa_exception_fp_ieee_overflow 0
		.amdhsa_exception_fp_ieee_underflow 0
		.amdhsa_exception_fp_ieee_inexact 0
		.amdhsa_exception_int_div_zero 0
	.end_amdhsa_kernel
	.section	.text._ZN12_GLOBAL__N_135rocblas_gemm_batched_general_kernelI19rocblas_complex_numIdELi16ELi16ELi32ELi32ELi8ELi32ELi8ELi8ELi32ELc84ELc84EKPKS2_S5_KPS2_EEvlllT_PT11_llSA_llS8_PT12_llPT13_lli,"axG",@progbits,_ZN12_GLOBAL__N_135rocblas_gemm_batched_general_kernelI19rocblas_complex_numIdELi16ELi16ELi32ELi32ELi8ELi32ELi8ELi8ELi32ELc84ELc84EKPKS2_S5_KPS2_EEvlllT_PT11_llSA_llS8_PT12_llPT13_lli,comdat
.Lfunc_end284:
	.size	_ZN12_GLOBAL__N_135rocblas_gemm_batched_general_kernelI19rocblas_complex_numIdELi16ELi16ELi32ELi32ELi8ELi32ELi8ELi8ELi32ELc84ELc84EKPKS2_S5_KPS2_EEvlllT_PT11_llSA_llS8_PT12_llPT13_lli, .Lfunc_end284-_ZN12_GLOBAL__N_135rocblas_gemm_batched_general_kernelI19rocblas_complex_numIdELi16ELi16ELi32ELi32ELi8ELi32ELi8ELi8ELi32ELc84ELc84EKPKS2_S5_KPS2_EEvlllT_PT11_llSA_llS8_PT12_llPT13_lli
                                        ; -- End function
	.set _ZN12_GLOBAL__N_135rocblas_gemm_batched_general_kernelI19rocblas_complex_numIdELi16ELi16ELi32ELi32ELi8ELi32ELi8ELi8ELi32ELc84ELc84EKPKS2_S5_KPS2_EEvlllT_PT11_llSA_llS8_PT12_llPT13_lli.num_vgpr, 134
	.set _ZN12_GLOBAL__N_135rocblas_gemm_batched_general_kernelI19rocblas_complex_numIdELi16ELi16ELi32ELi32ELi8ELi32ELi8ELi8ELi32ELc84ELc84EKPKS2_S5_KPS2_EEvlllT_PT11_llSA_llS8_PT12_llPT13_lli.num_agpr, 0
	.set _ZN12_GLOBAL__N_135rocblas_gemm_batched_general_kernelI19rocblas_complex_numIdELi16ELi16ELi32ELi32ELi8ELi32ELi8ELi8ELi32ELc84ELc84EKPKS2_S5_KPS2_EEvlllT_PT11_llSA_llS8_PT12_llPT13_lli.numbered_sgpr, 52
	.set _ZN12_GLOBAL__N_135rocblas_gemm_batched_general_kernelI19rocblas_complex_numIdELi16ELi16ELi32ELi32ELi8ELi32ELi8ELi8ELi32ELc84ELc84EKPKS2_S5_KPS2_EEvlllT_PT11_llSA_llS8_PT12_llPT13_lli.num_named_barrier, 0
	.set _ZN12_GLOBAL__N_135rocblas_gemm_batched_general_kernelI19rocblas_complex_numIdELi16ELi16ELi32ELi32ELi8ELi32ELi8ELi8ELi32ELc84ELc84EKPKS2_S5_KPS2_EEvlllT_PT11_llSA_llS8_PT12_llPT13_lli.private_seg_size, 0
	.set _ZN12_GLOBAL__N_135rocblas_gemm_batched_general_kernelI19rocblas_complex_numIdELi16ELi16ELi32ELi32ELi8ELi32ELi8ELi8ELi32ELc84ELc84EKPKS2_S5_KPS2_EEvlllT_PT11_llSA_llS8_PT12_llPT13_lli.uses_vcc, 1
	.set _ZN12_GLOBAL__N_135rocblas_gemm_batched_general_kernelI19rocblas_complex_numIdELi16ELi16ELi32ELi32ELi8ELi32ELi8ELi8ELi32ELc84ELc84EKPKS2_S5_KPS2_EEvlllT_PT11_llSA_llS8_PT12_llPT13_lli.uses_flat_scratch, 0
	.set _ZN12_GLOBAL__N_135rocblas_gemm_batched_general_kernelI19rocblas_complex_numIdELi16ELi16ELi32ELi32ELi8ELi32ELi8ELi8ELi32ELc84ELc84EKPKS2_S5_KPS2_EEvlllT_PT11_llSA_llS8_PT12_llPT13_lli.has_dyn_sized_stack, 0
	.set _ZN12_GLOBAL__N_135rocblas_gemm_batched_general_kernelI19rocblas_complex_numIdELi16ELi16ELi32ELi32ELi8ELi32ELi8ELi8ELi32ELc84ELc84EKPKS2_S5_KPS2_EEvlllT_PT11_llSA_llS8_PT12_llPT13_lli.has_recursion, 0
	.set _ZN12_GLOBAL__N_135rocblas_gemm_batched_general_kernelI19rocblas_complex_numIdELi16ELi16ELi32ELi32ELi8ELi32ELi8ELi8ELi32ELc84ELc84EKPKS2_S5_KPS2_EEvlllT_PT11_llSA_llS8_PT12_llPT13_lli.has_indirect_call, 0
	.section	.AMDGPU.csdata,"",@progbits
; Kernel info:
; codeLenInByte = 3836
; TotalNumSgprs: 54
; NumVgprs: 134
; ScratchSize: 0
; MemoryBound: 0
; FloatMode: 240
; IeeeMode: 1
; LDSByteSize: 8192 bytes/workgroup (compile time only)
; SGPRBlocks: 0
; VGPRBlocks: 16
; NumSGPRsForWavesPerEU: 54
; NumVGPRsForWavesPerEU: 134
; Occupancy: 10
; WaveLimiterHint : 1
; COMPUTE_PGM_RSRC2:SCRATCH_EN: 0
; COMPUTE_PGM_RSRC2:USER_SGPR: 2
; COMPUTE_PGM_RSRC2:TRAP_HANDLER: 0
; COMPUTE_PGM_RSRC2:TGID_X_EN: 1
; COMPUTE_PGM_RSRC2:TGID_Y_EN: 1
; COMPUTE_PGM_RSRC2:TGID_Z_EN: 1
; COMPUTE_PGM_RSRC2:TIDIG_COMP_CNT: 1
	.section	.text._ZN12_GLOBAL__N_135rocblas_gemm_batched_general_kernelI19rocblas_complex_numIdELi16ELi16ELi32ELi32ELi8ELi32ELi8ELi8ELi32ELc67ELc67EKPKS2_S5_KPS2_EEvlllT_PT11_llSA_llS8_PT12_llPT13_lli,"axG",@progbits,_ZN12_GLOBAL__N_135rocblas_gemm_batched_general_kernelI19rocblas_complex_numIdELi16ELi16ELi32ELi32ELi8ELi32ELi8ELi8ELi32ELc67ELc67EKPKS2_S5_KPS2_EEvlllT_PT11_llSA_llS8_PT12_llPT13_lli,comdat
	.globl	_ZN12_GLOBAL__N_135rocblas_gemm_batched_general_kernelI19rocblas_complex_numIdELi16ELi16ELi32ELi32ELi8ELi32ELi8ELi8ELi32ELc67ELc67EKPKS2_S5_KPS2_EEvlllT_PT11_llSA_llS8_PT12_llPT13_lli ; -- Begin function _ZN12_GLOBAL__N_135rocblas_gemm_batched_general_kernelI19rocblas_complex_numIdELi16ELi16ELi32ELi32ELi8ELi32ELi8ELi8ELi32ELc67ELc67EKPKS2_S5_KPS2_EEvlllT_PT11_llSA_llS8_PT12_llPT13_lli
	.p2align	8
	.type	_ZN12_GLOBAL__N_135rocblas_gemm_batched_general_kernelI19rocblas_complex_numIdELi16ELi16ELi32ELi32ELi8ELi32ELi8ELi8ELi32ELc67ELc67EKPKS2_S5_KPS2_EEvlllT_PT11_llSA_llS8_PT12_llPT13_lli,@function
_ZN12_GLOBAL__N_135rocblas_gemm_batched_general_kernelI19rocblas_complex_numIdELi16ELi16ELi32ELi32ELi8ELi32ELi8ELi8ELi32ELc67ELc67EKPKS2_S5_KPS2_EEvlllT_PT11_llSA_llS8_PT12_llPT13_lli: ; @_ZN12_GLOBAL__N_135rocblas_gemm_batched_general_kernelI19rocblas_complex_numIdELi16ELi16ELi32ELi32ELi8ELi32ELi8ELi8ELi32ELc67ELc67EKPKS2_S5_KPS2_EEvlllT_PT11_llSA_llS8_PT12_llPT13_lli
; %bb.0:
	s_load_b32 s33, s[0:1], 0x98
	s_lshr_b32 s28, ttmp7, 16
	s_wait_kmcnt 0x0
	s_cmp_ge_i32 s28, s33
	s_cbranch_scc1 .LBB285_35
; %bb.1:
	s_mov_b32 s2, ttmp9
	s_ashr_i32 s3, ttmp9, 31
	s_clause 0x3
	s_load_b512 s[8:23], s[0:1], 0x40
	s_load_b512 s[36:51], s[0:1], 0x0
	s_load_b64 s[30:31], s[0:1], 0x90
	s_load_b128 s[24:27], s[0:1], 0x80
	v_bfe_u32 v2, v0, 10, 10
	s_lshl_b64 s[6:7], s[2:3], 5
	s_delay_alu instid0(SALU_CYCLE_1) | instskip(SKIP_2) | instid1(VALU_DEP_2)
	v_dual_mov_b32 v1, s7 :: v_dual_and_b32 v4, 0x3ff, v0
	v_dual_mov_b32 v38, 0 :: v_dual_and_b32 v39, 7, v0
	s_and_b32 s35, ttmp7, 0xffff
	v_lshl_add_u32 v0, v2, 4, v4
	s_lshl_b32 s0, s35, 5
	v_lshl_add_u32 v41, v2, 7, 0x1000
	v_lshlrev_b32_e32 v10, 4, v39
	v_add_co_u32 v2, s1, s0, v2
	v_and_b32_e32 v6, 31, v0
	v_lshrrev_b32_e32 v17, 3, v0
	v_lshrrev_b32_e32 v42, 5, v0
	s_wait_alu 0xf1ff
	v_add_co_ci_u32_e64 v3, null, 0, 0, s1
	v_lshlrev_b32_e32 v11, 4, v6
	v_lshl_or_b32 v12, v17, 7, v10
	v_add_co_u32 v8, s1, s6, v4
	s_wait_alu 0xf1ff
	v_add_co_ci_u32_e64 v9, null, s7, 0, s1
	v_lshl_or_b32 v43, v42, 9, v11
	s_wait_kmcnt 0x0
	v_mad_co_u64_u32 v[10:11], null, v2, s26, 0
	v_or_b32_e32 v0, s6, v6
	v_add_co_u32 v6, vcc_lo, v8, 16
	v_add_nc_u32_e32 v44, 0x1000, v12
	v_mad_co_u64_u32 v[12:13], null, v2, s20, 0
	v_lshlrev_b32_e32 v40, 4, v4
	v_add_co_u32 v4, s0, v17, s0
	s_wait_alu 0xf1ff
	v_add_co_ci_u32_e64 v5, null, 0, 0, s0
	v_add_co_ci_u32_e64 v7, null, 0, v9, vcc_lo
	v_cmp_gt_i64_e64 s0, s[36:37], v[0:1]
	v_mov_b32_e32 v1, v11
	s_delay_alu instid0(VALU_DEP_4) | instskip(SKIP_2) | instid1(VALU_DEP_4)
	v_cmp_gt_i64_e64 s1, s[38:39], v[4:5]
	v_mad_co_u64_u32 v[4:5], null, s10, v39, 0
	v_cmp_gt_i64_e64 s4, s[36:37], v[6:7]
	v_mad_co_u64_u32 v[6:7], null, v2, s27, v[1:2]
	v_cmp_eq_f64_e64 s5, s[14:15], 0
	v_cmp_eq_f64_e64 s34, s[16:17], 0
	v_mov_b32_e32 v1, v13
	v_cmp_gt_i64_e64 s2, s[38:39], v[2:3]
	v_mul_lo_u32 v7, s49, v0
	s_mul_i32 s7, s48, s7
	v_mad_co_u64_u32 v[14:15], null, s11, v39, v[5:6]
	v_add_co_u32 v15, vcc_lo, v2, 16
	v_mad_co_u64_u32 v[1:2], null, v2, s21, v[1:2]
	s_wait_alu 0xfffd
	v_add_co_ci_u32_e64 v16, null, 0, v3, vcc_lo
	v_mad_co_u64_u32 v[2:3], null, s48, v0, 0
	v_mov_b32_e32 v5, v14
	s_mov_b32 s29, 0
	s_delay_alu instid0(VALU_DEP_4)
	v_mov_b32_e32 v13, v1
	s_lshl_b32 s6, s35, 9
	s_lshl_b64 s[12:13], s[12:13], 4
	v_lshlrev_b64_e32 v[0:1], 4, v[4:5]
	s_wait_alu 0xfffe
	v_add3_u32 v3, v3, s7, v7
	s_mov_b32 s7, s29
	v_lshlrev_b32_e32 v4, 4, v17
	s_wait_alu 0xfffe
	s_add_nc_u64 s[6:7], s[12:13], s[6:7]
	v_lshlrev_b32_e32 v5, 4, v42
	v_lshlrev_b64_e32 v[2:3], 4, v[2:3]
	s_wait_alu 0xfffe
	v_add_co_u32 v0, vcc_lo, s6, v0
	s_wait_alu 0xfffd
	v_add_co_ci_u32_e64 v1, null, s7, v1, vcc_lo
	s_lshl_b64 s[6:7], s[50:51], 4
	v_cmp_gt_i64_e64 s3, s[36:37], v[8:9]
	s_wait_alu 0xfffe
	v_add_co_u32 v2, vcc_lo, v2, s6
	v_add_co_u32 v0, s6, v0, v4
	s_wait_alu 0xf1ff
	v_add_co_ci_u32_e64 v45, null, 0, v1, s6
	s_wait_alu 0xfffd
	v_add_co_ci_u32_e64 v1, null, s7, v3, vcc_lo
	v_add_co_u32 v2, vcc_lo, v2, v5
	s_and_b32 s34, s5, s34
	v_cmp_gt_i64_e64 s5, s[38:39], v[15:16]
	v_lshlrev_b64_e32 v[12:13], 4, v[12:13]
	v_cmp_gt_i64_e64 s35, s[40:41], 0
	v_mov_b32_e32 v11, v6
	v_or_b32_e32 v46, 8, v0
	s_wait_alu 0xfffd
	v_add_co_ci_u32_e64 v47, null, 0, v1, vcc_lo
	v_or_b32_e32 v48, 8, v2
	s_lshl_b64 s[20:21], s[20:21], 4
	s_lshl_b64 s[26:27], s[26:27], 4
	;; [unrolled: 1-line block ×5, first 2 shown]
	s_wait_alu 0xfffe
	s_lshl_b64 s[20:21], s[20:21], 4
	s_branch .LBB285_4
.LBB285_2:                              ;   in Loop: Header=BB285_4 Depth=1
	s_wait_alu 0xfffe
	s_or_b32 exec_lo, exec_lo, s22
.LBB285_3:                              ;   in Loop: Header=BB285_4 Depth=1
	s_add_co_i32 s28, s28, 0x10000
	s_delay_alu instid0(SALU_CYCLE_1)
	s_cmp_lt_i32 s28, s33
	s_cbranch_scc0 .LBB285_35
.LBB285_4:                              ; =>This Loop Header: Depth=1
                                        ;     Child Loop BB285_7 Depth 2
	s_lshl_b64 s[22:23], s[28:29], 3
	s_and_not1_b32 vcc_lo, exec_lo, s35
	s_wait_alu 0xfffe
	s_add_nc_u64 s[30:31], s[18:19], s[22:23]
	s_add_nc_u64 s[36:37], s[24:25], s[22:23]
	s_clause 0x1
	global_load_b64 v[14:15], v38, s[30:31]
	global_load_b64 v[16:17], v38, s[36:37]
	s_cbranch_vccnz .LBB285_11
; %bb.5:                                ;   in Loop: Header=BB285_4 Depth=1
	s_add_nc_u64 s[30:31], s[8:9], s[22:23]
	s_add_nc_u64 s[22:23], s[46:47], s[22:23]
	s_clause 0x1
	global_load_b64 v[0:1], v38, s[30:31]
	global_load_b64 v[2:3], v38, s[22:23]
	v_mov_b32_e32 v24, 0
	v_mov_b32_e32 v28, 0
	v_mov_b32_e32 v32, 0
	v_dual_mov_b32 v36, 0 :: v_dual_mov_b32 v25, 0
	v_dual_mov_b32 v22, 0 :: v_dual_mov_b32 v29, 0
	;; [unrolled: 1-line block ×5, first 2 shown]
	v_mov_b32_e32 v27, 0
	v_mov_b32_e32 v31, 0
	;; [unrolled: 1-line block ×3, first 2 shown]
	s_mov_b64 s[22:23], 0
	s_wait_loadcnt 0x1
	v_add_co_u32 v18, vcc_lo, v0, v46
	s_wait_alu 0xfffd
	v_add_co_ci_u32_e64 v19, null, v1, v45, vcc_lo
	s_wait_loadcnt 0x0
	v_add_co_u32 v20, vcc_lo, v2, v48
	s_wait_alu 0xfffd
	v_add_co_ci_u32_e64 v21, null, v3, v47, vcc_lo
	s_branch .LBB285_7
.LBB285_6:                              ;   in Loop: Header=BB285_7 Depth=2
	s_wait_alu 0xfffe
	s_or_b32 exec_lo, exec_lo, s30
	ds_store_b128 v44, v[4:7]
	s_wait_dscnt 0x0
	s_barrier_signal -1
	s_barrier_wait -1
	global_inv scope:SCOPE_SE
	ds_load_b128 v[0:3], v41
	ds_load_b128 v[4:7], v40
	ds_load_b128 v[49:52], v40 offset:256
	ds_load_b128 v[53:56], v41 offset:2048
	;; [unrolled: 1-line block ×10, first 2 shown]
	s_add_nc_u64 s[22:23], s[22:23], 8
	v_add_co_u32 v18, vcc_lo, v18, s6
	s_wait_alu 0xfffe
	v_cmp_lt_i64_e64 s30, s[22:23], s[40:41]
	s_wait_alu 0xfffd
	v_add_co_ci_u32_e64 v19, null, s7, v19, vcc_lo
	v_add_co_u32 v20, vcc_lo, 0x80, v20
	s_wait_alu 0xfffd
	v_add_co_ci_u32_e64 v21, null, 0, v21, vcc_lo
	s_and_b32 vcc_lo, exec_lo, s30
	s_wait_dscnt 0xa
	v_mul_f64_e32 v[89:90], v[2:3], v[6:7]
	v_mul_f64_e32 v[91:92], v[0:1], v[6:7]
	s_wait_dscnt 0x9
	v_mul_f64_e32 v[93:94], v[2:3], v[51:52]
	v_mul_f64_e32 v[95:96], v[0:1], v[51:52]
	;; [unrolled: 3-line block ×3, first 2 shown]
	v_mul_f64_e32 v[99:100], v[55:56], v[51:52]
	v_mul_f64_e32 v[51:52], v[53:54], v[51:52]
	s_wait_dscnt 0x5
	v_mul_f64_e32 v[101:102], v[59:60], v[67:68]
	v_mul_f64_e32 v[103:104], v[57:58], v[67:68]
	s_wait_dscnt 0x4
	v_mul_f64_e32 v[105:106], v[59:60], v[71:72]
	v_mul_f64_e32 v[107:108], v[57:58], v[71:72]
	;; [unrolled: 1-line block ×6, first 2 shown]
	s_wait_dscnt 0x2
	v_mul_f64_e32 v[117:118], v[75:76], v[79:80]
	v_mul_f64_e32 v[119:120], v[73:74], v[79:80]
	s_wait_dscnt 0x1
	v_mul_f64_e32 v[121:122], v[75:76], v[83:84]
	v_mul_f64_e32 v[123:124], v[73:74], v[83:84]
	;; [unrolled: 3-line block ×3, first 2 shown]
	v_mul_f64_e32 v[127:128], v[87:88], v[83:84]
	v_mul_f64_e32 v[83:84], v[85:86], v[83:84]
	v_fma_f64 v[89:90], v[0:1], v[4:5], -v[89:90]
	v_fma_f64 v[91:92], v[2:3], v[4:5], v[91:92]
	v_fma_f64 v[93:94], v[0:1], v[49:50], -v[93:94]
	v_fma_f64 v[95:96], v[2:3], v[49:50], v[95:96]
	;; [unrolled: 2-line block ×8, first 2 shown]
	ds_load_b128 v[0:3], v41 offset:48
	ds_load_b128 v[4:7], v41 offset:2096
	ds_load_b128 v[49:52], v40 offset:1536
	ds_load_b128 v[53:56], v40 offset:1792
	v_fma_f64 v[117:118], v[73:74], v[77:78], -v[117:118]
	v_fma_f64 v[119:120], v[75:76], v[77:78], v[119:120]
	v_fma_f64 v[73:74], v[73:74], v[81:82], -v[121:122]
	v_fma_f64 v[75:76], v[75:76], v[81:82], v[123:124]
	;; [unrolled: 2-line block ×4, first 2 shown]
	s_wait_dscnt 0x1
	v_mul_f64_e32 v[107:108], v[0:1], v[51:52]
	s_wait_dscnt 0x0
	v_mul_f64_e32 v[109:110], v[2:3], v[55:56]
	v_mul_f64_e32 v[111:112], v[0:1], v[55:56]
	v_add_f64_e32 v[67:68], v[34:35], v[89:90]
	v_add_f64_e32 v[69:70], v[91:92], v[36:37]
	;; [unrolled: 1-line block ×8, first 2 shown]
	v_mul_f64_e32 v[99:100], v[2:3], v[51:52]
	v_mul_f64_e32 v[113:114], v[6:7], v[51:52]
	;; [unrolled: 1-line block ×5, first 2 shown]
	ds_load_b128 v[22:25], v41 offset:64
	ds_load_b128 v[26:29], v40 offset:2048
	;; [unrolled: 1-line block ×4, first 2 shown]
	s_wait_dscnt 0x0
	v_mul_f64_e32 v[123:124], v[36:37], v[28:29]
	v_mul_f64_e32 v[125:126], v[36:37], v[32:33]
	v_fma_f64 v[107:108], v[2:3], v[49:50], v[107:108]
	v_fma_f64 v[109:110], v[0:1], v[53:54], -v[109:110]
	v_fma_f64 v[111:112], v[2:3], v[53:54], v[111:112]
	v_add_f64_e32 v[83:84], v[67:68], v[101:102]
	v_add_f64_e32 v[85:86], v[103:104], v[69:70]
	;; [unrolled: 1-line block ×8, first 2 shown]
	v_mul_f64_e32 v[97:98], v[24:25], v[28:29]
	v_mul_f64_e32 v[101:102], v[22:23], v[28:29]
	;; [unrolled: 1-line block ×6, first 2 shown]
	v_fma_f64 v[99:100], v[0:1], v[49:50], -v[99:100]
	v_fma_f64 v[113:114], v[4:5], v[49:50], -v[113:114]
	v_fma_f64 v[127:128], v[6:7], v[49:50], v[51:52]
	v_fma_f64 v[115:116], v[4:5], v[53:54], -v[115:116]
	v_fma_f64 v[53:54], v[6:7], v[53:54], v[129:130]
	ds_load_b128 v[55:58], v41 offset:80
	ds_load_b128 v[59:62], v41 offset:2128
	;; [unrolled: 1-line block ×4, first 2 shown]
	v_fma_f64 v[123:124], v[34:35], v[26:27], -v[123:124]
	v_fma_f64 v[125:126], v[34:35], v[30:31], -v[125:126]
	v_add_f64_e32 v[83:84], v[83:84], v[117:118]
	v_add_f64_e32 v[85:86], v[119:120], v[85:86]
	v_add_f64_e32 v[117:118], v[71:72], v[73:74]
	v_add_f64_e32 v[75:76], v[75:76], v[87:88]
	v_add_f64_e32 v[87:88], v[89:90], v[121:122]
	v_add_f64_e32 v[77:78], v[77:78], v[91:92]
	v_add_f64_e32 v[79:80], v[93:94], v[79:80]
	v_add_f64_e32 v[81:82], v[81:82], v[95:96]
	s_wait_dscnt 0x1
	v_mul_f64_e32 v[89:90], v[57:58], v[65:66]
	v_mul_f64_e32 v[91:92], v[55:56], v[65:66]
	s_wait_dscnt 0x0
	v_mul_f64_e32 v[93:94], v[57:58], v[69:70]
	v_mul_f64_e32 v[95:96], v[55:56], v[69:70]
	;; [unrolled: 1-line block ×6, first 2 shown]
	v_fma_f64 v[97:98], v[22:23], v[26:27], -v[97:98]
	v_fma_f64 v[101:102], v[24:25], v[26:27], v[101:102]
	v_fma_f64 v[103:104], v[22:23], v[30:31], -v[103:104]
	v_fma_f64 v[105:106], v[24:25], v[30:31], v[105:106]
	v_fma_f64 v[129:130], v[36:37], v[26:27], v[28:29]
	;; [unrolled: 1-line block ×3, first 2 shown]
	ds_load_b128 v[0:3], v41 offset:96
	ds_load_b128 v[4:7], v40 offset:3072
	;; [unrolled: 1-line block ×8, first 2 shown]
	s_wait_loadcnt_dscnt 0x0
	s_barrier_signal -1
	s_barrier_wait -1
	global_inv scope:SCOPE_SE
	v_add_f64_e32 v[83:84], v[83:84], v[99:100]
	v_add_f64_e32 v[85:86], v[107:108], v[85:86]
	;; [unrolled: 1-line block ×8, first 2 shown]
	v_mul_f64_e32 v[81:82], v[2:3], v[6:7]
	v_mul_f64_e32 v[107:108], v[0:1], v[6:7]
	v_mul_f64_e32 v[109:110], v[2:3], v[51:52]
	v_mul_f64_e32 v[111:112], v[0:1], v[51:52]
	v_mul_f64_e32 v[113:114], v[73:74], v[6:7]
	v_mul_f64_e32 v[6:7], v[71:72], v[6:7]
	v_mul_f64_e32 v[115:116], v[73:74], v[51:52]
	v_mul_f64_e32 v[51:52], v[71:72], v[51:52]
	v_fma_f64 v[89:90], v[55:56], v[63:64], -v[89:90]
	v_fma_f64 v[91:92], v[57:58], v[63:64], v[91:92]
	v_fma_f64 v[55:56], v[55:56], v[67:68], -v[93:94]
	v_fma_f64 v[57:58], v[57:58], v[67:68], v[95:96]
	;; [unrolled: 2-line block ×4, first 2 shown]
	v_mul_f64_e32 v[95:96], v[24:25], v[36:37]
	v_add_f64_e32 v[65:66], v[83:84], v[97:98]
	v_add_f64_e32 v[67:68], v[101:102], v[85:86]
	;; [unrolled: 1-line block ×8, first 2 shown]
	v_mul_f64_e32 v[85:86], v[24:25], v[32:33]
	v_mul_f64_e32 v[87:88], v[22:23], v[32:33]
	;; [unrolled: 1-line block ×7, first 2 shown]
	v_fma_f64 v[81:82], v[0:1], v[4:5], -v[81:82]
	v_fma_f64 v[103:104], v[2:3], v[4:5], v[107:108]
	v_fma_f64 v[0:1], v[0:1], v[49:50], -v[109:110]
	v_fma_f64 v[2:3], v[2:3], v[49:50], v[111:112]
	;; [unrolled: 2-line block ×4, first 2 shown]
	v_add_f64_e32 v[51:52], v[65:66], v[89:90]
	v_add_f64_e32 v[65:66], v[91:92], v[67:68]
	;; [unrolled: 1-line block ×8, first 2 shown]
	v_fma_f64 v[61:62], v[22:23], v[30:31], -v[85:86]
	v_fma_f64 v[69:70], v[24:25], v[30:31], v[87:88]
	v_fma_f64 v[22:23], v[22:23], v[34:35], -v[95:96]
	v_fma_f64 v[24:25], v[24:25], v[34:35], v[97:98]
	;; [unrolled: 2-line block ×4, first 2 shown]
	v_add_f64_e32 v[26:27], v[51:52], v[81:82]
	v_add_f64_e32 v[28:29], v[103:104], v[65:66]
	;; [unrolled: 1-line block ×16, first 2 shown]
	s_wait_alu 0xfffe
	s_cbranch_vccz .LBB285_12
.LBB285_7:                              ;   Parent Loop BB285_4 Depth=1
                                        ; =>  This Inner Loop Header: Depth=2
	s_wait_alu 0xfffe
	v_add_co_u32 v0, s30, v42, s22
	s_wait_alu 0xf1ff
	v_add_co_ci_u32_e64 v1, null, 0, s23, s30
	v_mov_b32_e32 v2, 0
	v_mov_b32_e32 v3, 0
	s_delay_alu instid0(VALU_DEP_3)
	v_cmp_gt_i64_e32 vcc_lo, s[40:41], v[0:1]
	v_mov_b32_e32 v0, 0
	v_mov_b32_e32 v1, 0
	s_and_b32 s31, s0, vcc_lo
	s_wait_alu 0xfffe
	s_and_saveexec_b32 s30, s31
	s_cbranch_execz .LBB285_9
; %bb.8:                                ;   in Loop: Header=BB285_7 Depth=2
	flat_load_b128 v[0:3], v[20:21] offset:-8
	s_wait_loadcnt_dscnt 0x0
	v_xor_b32_e32 v3, 0x80000000, v3
.LBB285_9:                              ;   in Loop: Header=BB285_7 Depth=2
	s_wait_alu 0xfffe
	s_or_b32 exec_lo, exec_lo, s30
	v_add_co_u32 v4, s30, v39, s22
	s_wait_alu 0xf1ff
	v_add_co_ci_u32_e64 v5, null, 0, s23, s30
	ds_store_b128 v43, v[0:3]
	v_mov_b32_e32 v6, 0
	v_mov_b32_e32 v7, 0
	v_cmp_gt_i64_e32 vcc_lo, s[40:41], v[4:5]
	v_mov_b32_e32 v4, 0
	v_mov_b32_e32 v5, 0
	s_and_b32 s31, vcc_lo, s1
	s_wait_alu 0xfffe
	s_and_saveexec_b32 s30, s31
	s_cbranch_execz .LBB285_6
; %bb.10:                               ;   in Loop: Header=BB285_7 Depth=2
	flat_load_b128 v[4:7], v[18:19] offset:-8
	s_wait_loadcnt_dscnt 0x0
	v_xor_b32_e32 v7, 0x80000000, v7
	s_branch .LBB285_6
.LBB285_11:                             ;   in Loop: Header=BB285_4 Depth=1
	v_mov_b32_e32 v34, 0
	v_mov_b32_e32 v30, 0
	;; [unrolled: 1-line block ×3, first 2 shown]
	v_dual_mov_b32 v22, 0 :: v_dual_mov_b32 v35, 0
	v_dual_mov_b32 v36, 0 :: v_dual_mov_b32 v31, 0
	;; [unrolled: 1-line block ×5, first 2 shown]
	v_mov_b32_e32 v33, 0
	v_mov_b32_e32 v29, 0
	v_mov_b32_e32 v25, 0
.LBB285_12:                             ;   in Loop: Header=BB285_4 Depth=1
	s_wait_loadcnt 0x0
	v_add_co_u32 v2, vcc_lo, v16, s10
	s_wait_alu 0xfffd
	v_add_co_ci_u32_e64 v3, null, s11, v17, vcc_lo
	s_and_not1_b32 vcc_lo, exec_lo, s34
	s_mov_b32 s22, -1
	s_wait_alu 0xfffe
	s_cbranch_vccz .LBB285_14
; %bb.13:                               ;   in Loop: Header=BB285_4 Depth=1
	s_and_not1_b32 vcc_lo, exec_lo, s22
	s_wait_alu 0xfffe
	s_cbranch_vccnz .LBB285_3
	s_branch .LBB285_25
.LBB285_14:                             ;   in Loop: Header=BB285_4 Depth=1
	s_and_saveexec_b32 s22, s2
	s_cbranch_execz .LBB285_24
; %bb.15:                               ;   in Loop: Header=BB285_4 Depth=1
	v_lshlrev_b64_e32 v[0:1], 4, v[10:11]
	s_delay_alu instid0(VALU_DEP_1) | instskip(SKIP_1) | instid1(VALU_DEP_2)
	v_add_co_u32 v0, vcc_lo, v2, v0
	s_wait_alu 0xfffd
	v_add_co_ci_u32_e64 v1, null, v3, v1, vcc_lo
	s_and_saveexec_b32 s23, s3
	s_cbranch_execnz .LBB285_18
; %bb.16:                               ;   in Loop: Header=BB285_4 Depth=1
	s_wait_alu 0xfffe
	s_or_b32 exec_lo, exec_lo, s23
	s_and_saveexec_b32 s23, s4
	s_cbranch_execnz .LBB285_19
.LBB285_17:                             ;   in Loop: Header=BB285_4 Depth=1
	s_wait_alu 0xfffe
	s_or_b32 exec_lo, exec_lo, s23
	s_delay_alu instid0(SALU_CYCLE_1)
	s_and_b32 exec_lo, exec_lo, s5
	s_cbranch_execnz .LBB285_20
	s_branch .LBB285_24
.LBB285_18:                             ;   in Loop: Header=BB285_4 Depth=1
	v_mul_f64_e32 v[4:5], s[44:45], v[36:37]
	v_mul_f64_e32 v[6:7], s[42:43], v[36:37]
	v_lshlrev_b64_e32 v[16:17], 4, v[8:9]
	s_delay_alu instid0(VALU_DEP_1) | instskip(SKIP_1) | instid1(VALU_DEP_2)
	v_add_co_u32 v16, vcc_lo, v0, v16
	s_wait_alu 0xfffd
	v_add_co_ci_u32_e64 v17, null, v1, v17, vcc_lo
	v_fma_f64 v[4:5], s[42:43], v[34:35], -v[4:5]
	v_fma_f64 v[6:7], s[44:45], v[34:35], v[6:7]
	flat_store_b128 v[16:17], v[4:7]
	s_wait_alu 0xfffe
	s_or_b32 exec_lo, exec_lo, s23
	s_and_saveexec_b32 s23, s4
	s_cbranch_execz .LBB285_17
.LBB285_19:                             ;   in Loop: Header=BB285_4 Depth=1
	v_mul_f64_e32 v[4:5], s[44:45], v[32:33]
	v_mul_f64_e32 v[6:7], s[42:43], v[32:33]
	v_lshlrev_b64_e32 v[16:17], 4, v[8:9]
	s_delay_alu instid0(VALU_DEP_1) | instskip(SKIP_1) | instid1(VALU_DEP_2)
	v_add_co_u32 v16, vcc_lo, v0, v16
	s_wait_alu 0xfffd
	v_add_co_ci_u32_e64 v17, null, v1, v17, vcc_lo
	v_fma_f64 v[4:5], s[42:43], v[30:31], -v[4:5]
	v_fma_f64 v[6:7], s[44:45], v[30:31], v[6:7]
	flat_store_b128 v[16:17], v[4:7] offset:256
	s_wait_alu 0xfffe
	s_or_b32 exec_lo, exec_lo, s23
	s_delay_alu instid0(SALU_CYCLE_1)
	s_and_b32 exec_lo, exec_lo, s5
	s_cbranch_execz .LBB285_24
.LBB285_20:                             ;   in Loop: Header=BB285_4 Depth=1
	s_lshl_b64 s[30:31], s[26:27], 4
	v_lshlrev_b64_e32 v[4:5], 4, v[8:9]
	s_wait_alu 0xfffe
	v_add_co_u32 v0, vcc_lo, v0, s30
	s_wait_alu 0xfffd
	v_add_co_ci_u32_e64 v1, null, s31, v1, vcc_lo
	s_delay_alu instid0(VALU_DEP_2) | instskip(SKIP_1) | instid1(VALU_DEP_2)
	v_add_co_u32 v0, vcc_lo, v0, v4
	s_wait_alu 0xfffd
	v_add_co_ci_u32_e64 v1, null, v1, v5, vcc_lo
	s_and_saveexec_b32 s23, s3
	s_cbranch_execz .LBB285_22
; %bb.21:                               ;   in Loop: Header=BB285_4 Depth=1
	v_mul_f64_e32 v[4:5], s[44:45], v[28:29]
	v_mul_f64_e32 v[6:7], s[42:43], v[28:29]
	s_delay_alu instid0(VALU_DEP_2) | instskip(NEXT) | instid1(VALU_DEP_2)
	v_fma_f64 v[4:5], s[42:43], v[26:27], -v[4:5]
	v_fma_f64 v[6:7], s[44:45], v[26:27], v[6:7]
	flat_store_b128 v[0:1], v[4:7]
.LBB285_22:                             ;   in Loop: Header=BB285_4 Depth=1
	s_wait_alu 0xfffe
	s_or_b32 exec_lo, exec_lo, s23
	s_delay_alu instid0(SALU_CYCLE_1)
	s_and_b32 exec_lo, exec_lo, s4
	s_cbranch_execz .LBB285_24
; %bb.23:                               ;   in Loop: Header=BB285_4 Depth=1
	v_mul_f64_e32 v[4:5], s[44:45], v[24:25]
	v_mul_f64_e32 v[6:7], s[42:43], v[24:25]
	s_delay_alu instid0(VALU_DEP_2) | instskip(NEXT) | instid1(VALU_DEP_2)
	v_fma_f64 v[4:5], s[42:43], v[22:23], -v[4:5]
	v_fma_f64 v[6:7], s[44:45], v[22:23], v[6:7]
	flat_store_b128 v[0:1], v[4:7] offset:256
.LBB285_24:                             ;   in Loop: Header=BB285_4 Depth=1
	s_wait_alu 0xfffe
	s_or_b32 exec_lo, exec_lo, s22
	s_cbranch_execnz .LBB285_3
.LBB285_25:                             ;   in Loop: Header=BB285_4 Depth=1
	s_and_saveexec_b32 s22, s2
	s_cbranch_execz .LBB285_2
; %bb.26:                               ;   in Loop: Header=BB285_4 Depth=1
	v_add_co_u32 v0, vcc_lo, v14, s12
	v_lshlrev_b64_e32 v[6:7], 4, v[10:11]
	s_wait_alu 0xfffd
	v_add_co_ci_u32_e64 v1, null, s13, v15, vcc_lo
	s_delay_alu instid0(VALU_DEP_3) | instskip(SKIP_1) | instid1(VALU_DEP_2)
	v_add_co_u32 v4, vcc_lo, v0, v12
	s_wait_alu 0xfffd
	v_add_co_ci_u32_e64 v5, null, v1, v13, vcc_lo
	v_add_co_u32 v2, vcc_lo, v2, v6
	v_lshlrev_b64_e32 v[0:1], 4, v[8:9]
	s_wait_alu 0xfffd
	v_add_co_ci_u32_e64 v3, null, v3, v7, vcc_lo
	s_and_saveexec_b32 s23, s3
	s_cbranch_execnz .LBB285_29
; %bb.27:                               ;   in Loop: Header=BB285_4 Depth=1
	s_wait_alu 0xfffe
	s_or_b32 exec_lo, exec_lo, s23
	s_and_saveexec_b32 s23, s4
	s_cbranch_execnz .LBB285_30
.LBB285_28:                             ;   in Loop: Header=BB285_4 Depth=1
	s_wait_alu 0xfffe
	s_or_b32 exec_lo, exec_lo, s23
	s_delay_alu instid0(SALU_CYCLE_1)
	s_and_b32 exec_lo, exec_lo, s5
	s_cbranch_execz .LBB285_2
	s_branch .LBB285_31
.LBB285_29:                             ;   in Loop: Header=BB285_4 Depth=1
	v_add_co_u32 v6, vcc_lo, v4, v0
	s_wait_alu 0xfffd
	v_add_co_ci_u32_e64 v7, null, v5, v1, vcc_lo
	v_mul_f64_e32 v[18:19], s[42:43], v[36:37]
	flat_load_b128 v[14:17], v[6:7]
	v_mul_f64_e32 v[6:7], s[44:45], v[36:37]
	v_fma_f64 v[18:19], s[44:45], v[34:35], v[18:19]
	s_delay_alu instid0(VALU_DEP_2) | instskip(SKIP_3) | instid1(VALU_DEP_2)
	v_fma_f64 v[6:7], s[42:43], v[34:35], -v[6:7]
	s_wait_loadcnt_dscnt 0x0
	v_mul_f64_e32 v[20:21], s[16:17], v[16:17]
	v_mul_f64_e32 v[16:17], s[14:15], v[16:17]
	v_fma_f64 v[20:21], s[14:15], v[14:15], -v[20:21]
	s_delay_alu instid0(VALU_DEP_2) | instskip(NEXT) | instid1(VALU_DEP_2)
	v_fma_f64 v[16:17], s[16:17], v[14:15], v[16:17]
	v_add_f64_e32 v[14:15], v[6:7], v[20:21]
	s_delay_alu instid0(VALU_DEP_2)
	v_add_f64_e32 v[16:17], v[18:19], v[16:17]
	v_add_co_u32 v6, vcc_lo, v2, v0
	s_wait_alu 0xfffd
	v_add_co_ci_u32_e64 v7, null, v3, v1, vcc_lo
	flat_store_b128 v[6:7], v[14:17]
	s_wait_alu 0xfffe
	s_or_b32 exec_lo, exec_lo, s23
	s_and_saveexec_b32 s23, s4
	s_cbranch_execz .LBB285_28
.LBB285_30:                             ;   in Loop: Header=BB285_4 Depth=1
	v_add_co_u32 v6, vcc_lo, v4, v0
	s_wait_alu 0xfffd
	v_add_co_ci_u32_e64 v7, null, v5, v1, vcc_lo
	v_mul_f64_e32 v[18:19], s[42:43], v[32:33]
	flat_load_b128 v[14:17], v[6:7] offset:256
	v_mul_f64_e32 v[6:7], s[44:45], v[32:33]
	v_fma_f64 v[18:19], s[44:45], v[30:31], v[18:19]
	s_delay_alu instid0(VALU_DEP_2) | instskip(SKIP_3) | instid1(VALU_DEP_2)
	v_fma_f64 v[6:7], s[42:43], v[30:31], -v[6:7]
	s_wait_loadcnt_dscnt 0x0
	v_mul_f64_e32 v[20:21], s[16:17], v[16:17]
	v_mul_f64_e32 v[16:17], s[14:15], v[16:17]
	v_fma_f64 v[20:21], s[14:15], v[14:15], -v[20:21]
	s_delay_alu instid0(VALU_DEP_2) | instskip(NEXT) | instid1(VALU_DEP_2)
	v_fma_f64 v[16:17], s[16:17], v[14:15], v[16:17]
	v_add_f64_e32 v[14:15], v[6:7], v[20:21]
	s_delay_alu instid0(VALU_DEP_2)
	v_add_f64_e32 v[16:17], v[18:19], v[16:17]
	v_add_co_u32 v6, vcc_lo, v2, v0
	s_wait_alu 0xfffd
	v_add_co_ci_u32_e64 v7, null, v3, v1, vcc_lo
	flat_store_b128 v[6:7], v[14:17] offset:256
	s_wait_alu 0xfffe
	s_or_b32 exec_lo, exec_lo, s23
	s_delay_alu instid0(SALU_CYCLE_1)
	s_and_b32 exec_lo, exec_lo, s5
	s_cbranch_execz .LBB285_2
.LBB285_31:                             ;   in Loop: Header=BB285_4 Depth=1
	v_add_co_u32 v4, vcc_lo, v4, s20
	s_lshl_b64 s[30:31], s[26:27], 4
	s_wait_alu 0xfffd
	v_add_co_ci_u32_e64 v5, null, s21, v5, vcc_lo
	s_wait_alu 0xfffe
	v_add_co_u32 v6, vcc_lo, v2, s30
	s_wait_alu 0xfffd
	v_add_co_ci_u32_e64 v7, null, s31, v3, vcc_lo
	v_add_co_u32 v2, vcc_lo, v4, v0
	s_wait_alu 0xfffd
	v_add_co_ci_u32_e64 v3, null, v5, v1, vcc_lo
	;; [unrolled: 3-line block ×3, first 2 shown]
	s_and_saveexec_b32 s23, s3
	s_cbranch_execz .LBB285_33
; %bb.32:                               ;   in Loop: Header=BB285_4 Depth=1
	flat_load_b128 v[4:7], v[2:3]
	v_mul_f64_e32 v[14:15], s[44:45], v[28:29]
	v_mul_f64_e32 v[16:17], s[42:43], v[28:29]
	s_delay_alu instid0(VALU_DEP_2) | instskip(NEXT) | instid1(VALU_DEP_2)
	v_fma_f64 v[14:15], s[42:43], v[26:27], -v[14:15]
	v_fma_f64 v[16:17], s[44:45], v[26:27], v[16:17]
	s_wait_loadcnt_dscnt 0x0
	v_mul_f64_e32 v[18:19], s[16:17], v[6:7]
	v_mul_f64_e32 v[6:7], s[14:15], v[6:7]
	s_delay_alu instid0(VALU_DEP_2) | instskip(NEXT) | instid1(VALU_DEP_2)
	v_fma_f64 v[18:19], s[14:15], v[4:5], -v[18:19]
	v_fma_f64 v[6:7], s[16:17], v[4:5], v[6:7]
	s_delay_alu instid0(VALU_DEP_2) | instskip(NEXT) | instid1(VALU_DEP_2)
	v_add_f64_e32 v[4:5], v[14:15], v[18:19]
	v_add_f64_e32 v[6:7], v[16:17], v[6:7]
	flat_store_b128 v[0:1], v[4:7]
.LBB285_33:                             ;   in Loop: Header=BB285_4 Depth=1
	s_wait_alu 0xfffe
	s_or_b32 exec_lo, exec_lo, s23
	s_delay_alu instid0(SALU_CYCLE_1)
	s_and_b32 exec_lo, exec_lo, s4
	s_cbranch_execz .LBB285_2
; %bb.34:                               ;   in Loop: Header=BB285_4 Depth=1
	flat_load_b128 v[2:5], v[2:3] offset:256
	v_mul_f64_e32 v[6:7], s[44:45], v[24:25]
	v_mul_f64_e32 v[14:15], s[42:43], v[24:25]
	s_delay_alu instid0(VALU_DEP_2) | instskip(NEXT) | instid1(VALU_DEP_2)
	v_fma_f64 v[6:7], s[42:43], v[22:23], -v[6:7]
	v_fma_f64 v[14:15], s[44:45], v[22:23], v[14:15]
	s_wait_loadcnt_dscnt 0x0
	v_mul_f64_e32 v[16:17], s[16:17], v[4:5]
	v_mul_f64_e32 v[4:5], s[14:15], v[4:5]
	s_delay_alu instid0(VALU_DEP_2) | instskip(NEXT) | instid1(VALU_DEP_2)
	v_fma_f64 v[16:17], s[14:15], v[2:3], -v[16:17]
	v_fma_f64 v[4:5], s[16:17], v[2:3], v[4:5]
	s_delay_alu instid0(VALU_DEP_2) | instskip(NEXT) | instid1(VALU_DEP_2)
	v_add_f64_e32 v[2:3], v[6:7], v[16:17]
	v_add_f64_e32 v[4:5], v[14:15], v[4:5]
	flat_store_b128 v[0:1], v[2:5] offset:256
	s_branch .LBB285_2
.LBB285_35:
	s_nop 0
	s_sendmsg sendmsg(MSG_DEALLOC_VGPRS)
	s_endpgm
	.section	.rodata,"a",@progbits
	.p2align	6, 0x0
	.amdhsa_kernel _ZN12_GLOBAL__N_135rocblas_gemm_batched_general_kernelI19rocblas_complex_numIdELi16ELi16ELi32ELi32ELi8ELi32ELi8ELi8ELi32ELc67ELc67EKPKS2_S5_KPS2_EEvlllT_PT11_llSA_llS8_PT12_llPT13_lli
		.amdhsa_group_segment_fixed_size 8192
		.amdhsa_private_segment_fixed_size 0
		.amdhsa_kernarg_size 156
		.amdhsa_user_sgpr_count 2
		.amdhsa_user_sgpr_dispatch_ptr 0
		.amdhsa_user_sgpr_queue_ptr 0
		.amdhsa_user_sgpr_kernarg_segment_ptr 1
		.amdhsa_user_sgpr_dispatch_id 0
		.amdhsa_user_sgpr_private_segment_size 0
		.amdhsa_wavefront_size32 1
		.amdhsa_uses_dynamic_stack 0
		.amdhsa_enable_private_segment 0
		.amdhsa_system_sgpr_workgroup_id_x 1
		.amdhsa_system_sgpr_workgroup_id_y 1
		.amdhsa_system_sgpr_workgroup_id_z 1
		.amdhsa_system_sgpr_workgroup_info 0
		.amdhsa_system_vgpr_workitem_id 1
		.amdhsa_next_free_vgpr 133
		.amdhsa_next_free_sgpr 52
		.amdhsa_reserve_vcc 1
		.amdhsa_float_round_mode_32 0
		.amdhsa_float_round_mode_16_64 0
		.amdhsa_float_denorm_mode_32 3
		.amdhsa_float_denorm_mode_16_64 3
		.amdhsa_fp16_overflow 0
		.amdhsa_workgroup_processor_mode 1
		.amdhsa_memory_ordered 1
		.amdhsa_forward_progress 1
		.amdhsa_inst_pref_size 31
		.amdhsa_round_robin_scheduling 0
		.amdhsa_exception_fp_ieee_invalid_op 0
		.amdhsa_exception_fp_denorm_src 0
		.amdhsa_exception_fp_ieee_div_zero 0
		.amdhsa_exception_fp_ieee_overflow 0
		.amdhsa_exception_fp_ieee_underflow 0
		.amdhsa_exception_fp_ieee_inexact 0
		.amdhsa_exception_int_div_zero 0
	.end_amdhsa_kernel
	.section	.text._ZN12_GLOBAL__N_135rocblas_gemm_batched_general_kernelI19rocblas_complex_numIdELi16ELi16ELi32ELi32ELi8ELi32ELi8ELi8ELi32ELc67ELc67EKPKS2_S5_KPS2_EEvlllT_PT11_llSA_llS8_PT12_llPT13_lli,"axG",@progbits,_ZN12_GLOBAL__N_135rocblas_gemm_batched_general_kernelI19rocblas_complex_numIdELi16ELi16ELi32ELi32ELi8ELi32ELi8ELi8ELi32ELc67ELc67EKPKS2_S5_KPS2_EEvlllT_PT11_llSA_llS8_PT12_llPT13_lli,comdat
.Lfunc_end285:
	.size	_ZN12_GLOBAL__N_135rocblas_gemm_batched_general_kernelI19rocblas_complex_numIdELi16ELi16ELi32ELi32ELi8ELi32ELi8ELi8ELi32ELc67ELc67EKPKS2_S5_KPS2_EEvlllT_PT11_llSA_llS8_PT12_llPT13_lli, .Lfunc_end285-_ZN12_GLOBAL__N_135rocblas_gemm_batched_general_kernelI19rocblas_complex_numIdELi16ELi16ELi32ELi32ELi8ELi32ELi8ELi8ELi32ELc67ELc67EKPKS2_S5_KPS2_EEvlllT_PT11_llSA_llS8_PT12_llPT13_lli
                                        ; -- End function
	.set _ZN12_GLOBAL__N_135rocblas_gemm_batched_general_kernelI19rocblas_complex_numIdELi16ELi16ELi32ELi32ELi8ELi32ELi8ELi8ELi32ELc67ELc67EKPKS2_S5_KPS2_EEvlllT_PT11_llSA_llS8_PT12_llPT13_lli.num_vgpr, 133
	.set _ZN12_GLOBAL__N_135rocblas_gemm_batched_general_kernelI19rocblas_complex_numIdELi16ELi16ELi32ELi32ELi8ELi32ELi8ELi8ELi32ELc67ELc67EKPKS2_S5_KPS2_EEvlllT_PT11_llSA_llS8_PT12_llPT13_lli.num_agpr, 0
	.set _ZN12_GLOBAL__N_135rocblas_gemm_batched_general_kernelI19rocblas_complex_numIdELi16ELi16ELi32ELi32ELi8ELi32ELi8ELi8ELi32ELc67ELc67EKPKS2_S5_KPS2_EEvlllT_PT11_llSA_llS8_PT12_llPT13_lli.numbered_sgpr, 52
	.set _ZN12_GLOBAL__N_135rocblas_gemm_batched_general_kernelI19rocblas_complex_numIdELi16ELi16ELi32ELi32ELi8ELi32ELi8ELi8ELi32ELc67ELc67EKPKS2_S5_KPS2_EEvlllT_PT11_llSA_llS8_PT12_llPT13_lli.num_named_barrier, 0
	.set _ZN12_GLOBAL__N_135rocblas_gemm_batched_general_kernelI19rocblas_complex_numIdELi16ELi16ELi32ELi32ELi8ELi32ELi8ELi8ELi32ELc67ELc67EKPKS2_S5_KPS2_EEvlllT_PT11_llSA_llS8_PT12_llPT13_lli.private_seg_size, 0
	.set _ZN12_GLOBAL__N_135rocblas_gemm_batched_general_kernelI19rocblas_complex_numIdELi16ELi16ELi32ELi32ELi8ELi32ELi8ELi8ELi32ELc67ELc67EKPKS2_S5_KPS2_EEvlllT_PT11_llSA_llS8_PT12_llPT13_lli.uses_vcc, 1
	.set _ZN12_GLOBAL__N_135rocblas_gemm_batched_general_kernelI19rocblas_complex_numIdELi16ELi16ELi32ELi32ELi8ELi32ELi8ELi8ELi32ELc67ELc67EKPKS2_S5_KPS2_EEvlllT_PT11_llSA_llS8_PT12_llPT13_lli.uses_flat_scratch, 0
	.set _ZN12_GLOBAL__N_135rocblas_gemm_batched_general_kernelI19rocblas_complex_numIdELi16ELi16ELi32ELi32ELi8ELi32ELi8ELi8ELi32ELc67ELc67EKPKS2_S5_KPS2_EEvlllT_PT11_llSA_llS8_PT12_llPT13_lli.has_dyn_sized_stack, 0
	.set _ZN12_GLOBAL__N_135rocblas_gemm_batched_general_kernelI19rocblas_complex_numIdELi16ELi16ELi32ELi32ELi8ELi32ELi8ELi8ELi32ELc67ELc67EKPKS2_S5_KPS2_EEvlllT_PT11_llSA_llS8_PT12_llPT13_lli.has_recursion, 0
	.set _ZN12_GLOBAL__N_135rocblas_gemm_batched_general_kernelI19rocblas_complex_numIdELi16ELi16ELi32ELi32ELi8ELi32ELi8ELi8ELi32ELc67ELc67EKPKS2_S5_KPS2_EEvlllT_PT11_llSA_llS8_PT12_llPT13_lli.has_indirect_call, 0
	.section	.AMDGPU.csdata,"",@progbits
; Kernel info:
; codeLenInByte = 3844
; TotalNumSgprs: 54
; NumVgprs: 133
; ScratchSize: 0
; MemoryBound: 1
; FloatMode: 240
; IeeeMode: 1
; LDSByteSize: 8192 bytes/workgroup (compile time only)
; SGPRBlocks: 0
; VGPRBlocks: 16
; NumSGPRsForWavesPerEU: 54
; NumVGPRsForWavesPerEU: 133
; Occupancy: 10
; WaveLimiterHint : 1
; COMPUTE_PGM_RSRC2:SCRATCH_EN: 0
; COMPUTE_PGM_RSRC2:USER_SGPR: 2
; COMPUTE_PGM_RSRC2:TRAP_HANDLER: 0
; COMPUTE_PGM_RSRC2:TGID_X_EN: 1
; COMPUTE_PGM_RSRC2:TGID_Y_EN: 1
; COMPUTE_PGM_RSRC2:TGID_Z_EN: 1
; COMPUTE_PGM_RSRC2:TIDIG_COMP_CNT: 1
	.section	.text._ZN12_GLOBAL__N_135rocblas_gemm_batched_general_kernelI19rocblas_complex_numIdELi16ELi16ELi32ELi32ELi8ELi32ELi8ELi8ELi32ELc67ELc78EKPKS2_S5_KPS2_EEvlllT_PT11_llSA_llS8_PT12_llPT13_lli,"axG",@progbits,_ZN12_GLOBAL__N_135rocblas_gemm_batched_general_kernelI19rocblas_complex_numIdELi16ELi16ELi32ELi32ELi8ELi32ELi8ELi8ELi32ELc67ELc78EKPKS2_S5_KPS2_EEvlllT_PT11_llSA_llS8_PT12_llPT13_lli,comdat
	.globl	_ZN12_GLOBAL__N_135rocblas_gemm_batched_general_kernelI19rocblas_complex_numIdELi16ELi16ELi32ELi32ELi8ELi32ELi8ELi8ELi32ELc67ELc78EKPKS2_S5_KPS2_EEvlllT_PT11_llSA_llS8_PT12_llPT13_lli ; -- Begin function _ZN12_GLOBAL__N_135rocblas_gemm_batched_general_kernelI19rocblas_complex_numIdELi16ELi16ELi32ELi32ELi8ELi32ELi8ELi8ELi32ELc67ELc78EKPKS2_S5_KPS2_EEvlllT_PT11_llSA_llS8_PT12_llPT13_lli
	.p2align	8
	.type	_ZN12_GLOBAL__N_135rocblas_gemm_batched_general_kernelI19rocblas_complex_numIdELi16ELi16ELi32ELi32ELi8ELi32ELi8ELi8ELi32ELc67ELc78EKPKS2_S5_KPS2_EEvlllT_PT11_llSA_llS8_PT12_llPT13_lli,@function
_ZN12_GLOBAL__N_135rocblas_gemm_batched_general_kernelI19rocblas_complex_numIdELi16ELi16ELi32ELi32ELi8ELi32ELi8ELi8ELi32ELc67ELc78EKPKS2_S5_KPS2_EEvlllT_PT11_llSA_llS8_PT12_llPT13_lli: ; @_ZN12_GLOBAL__N_135rocblas_gemm_batched_general_kernelI19rocblas_complex_numIdELi16ELi16ELi32ELi32ELi8ELi32ELi8ELi8ELi32ELc67ELc78EKPKS2_S5_KPS2_EEvlllT_PT11_llSA_llS8_PT12_llPT13_lli
; %bb.0:
	s_load_b32 s33, s[0:1], 0x98
	s_lshr_b32 s28, ttmp7, 16
	s_wait_kmcnt 0x0
	s_cmp_ge_i32 s28, s33
	s_cbranch_scc1 .LBB286_37
; %bb.1:
	s_clause 0x3
	s_load_b512 s[8:23], s[0:1], 0x40
	s_load_b512 s[36:51], s[0:1], 0x0
	s_load_b64 s[30:31], s[0:1], 0x90
	s_load_b128 s[24:27], s[0:1], 0x80
	s_mov_b32 s2, ttmp9
	s_ashr_i32 s3, ttmp9, 31
	v_bfe_u32 v2, v0, 10, 10
	s_lshl_b64 s[4:5], s[2:3], 5
	v_dual_mov_b32 v1, 0 :: v_dual_and_b32 v6, 0x3ff, v0
	s_and_b32 s0, ttmp7, 0xffff
	v_dual_mov_b32 v3, s5 :: v_dual_and_b32 v0, 7, v0
	s_lshl_b32 s0, s0, 5
	s_delay_alu instid0(VALU_DEP_2) | instskip(SKIP_1) | instid1(VALU_DEP_3)
	v_lshl_add_u32 v8, v2, 4, v6
	v_add_co_u32 v4, s1, s0, v2
	v_lshlrev_b32_e32 v23, 4, v0
	v_lshl_add_u32 v37, v2, 7, 0x1000
	s_delay_alu instid0(VALU_DEP_4)
	v_and_b32_e32 v9, 31, v8
	s_wait_kmcnt 0x0
	v_cmp_eq_f64_e64 s3, s[14:15], 0
	v_cmp_eq_f64_e64 s6, s[16:17], 0
	v_lshrrev_b32_e32 v12, 3, v8
	v_lshrrev_b32_e32 v38, 5, v8
	v_or_b32_e32 v2, s4, v9
	v_lshlrev_b32_e32 v14, 4, v9
	v_mad_co_u64_u32 v[8:9], null, v4, s26, 0
	v_add_co_u32 v10, s0, v12, s0
	v_lshl_or_b32 v15, v12, 7, v23
	v_lshlrev_b32_e32 v36, 4, v6
	s_wait_alu 0xf1ff
	v_add_co_ci_u32_e64 v11, null, 0, 0, s0
	v_cmp_gt_i64_e64 s0, s[36:37], v[2:3]
	v_mov_b32_e32 v3, v9
	v_mad_co_u64_u32 v[16:17], null, s10, v10, 0
	v_lshl_or_b32 v39, v38, 9, v14
	v_add_nc_u32_e32 v40, 0x1000, v15
	v_mad_co_u64_u32 v[14:15], null, v4, s20, 0
	v_add_co_ci_u32_e64 v5, null, 0, 0, s1
	v_mad_co_u64_u32 v[18:19], null, v4, s27, v[3:4]
	v_add_co_u32 v6, s1, s4, v6
	s_wait_alu 0xf1ff
	v_add_co_ci_u32_e64 v7, null, s5, 0, s1
	v_cmp_gt_i64_e64 s1, s[38:39], v[4:5]
	v_mov_b32_e32 v3, v15
	v_mul_lo_u32 v15, s49, v2
	v_mad_co_u64_u32 v[21:22], null, s48, v2, 0
	v_add_co_u32 v12, vcc_lo, v6, 16
	s_delay_alu instid0(VALU_DEP_1) | instskip(SKIP_2) | instid1(VALU_DEP_1)
	v_add_co_ci_u32_e64 v13, null, 0, v7, vcc_lo
	s_and_b32 s34, s3, s6
	v_add_co_u32 v19, s3, v4, 16
	v_add_co_ci_u32_e64 v20, null, 0, v5, s3
	v_mov_b32_e32 v5, v17
	v_cmp_gt_i64_e32 vcc_lo, s[38:39], v[10:11]
	v_mad_co_u64_u32 v[2:3], null, v4, s21, v[3:4]
	s_mul_i32 s4, s48, s5
	v_mad_co_u64_u32 v[10:11], null, s11, v10, v[5:6]
	s_wait_alu 0xfffe
	v_add3_u32 v22, v22, s4, v15
	s_lshl_b64 s[6:7], s[12:13], 4
	s_lshl_b64 s[12:13], s[50:51], 4
	v_mov_b32_e32 v15, v2
	v_mov_b32_e32 v9, v18
	v_lshlrev_b64_e32 v[2:3], 4, v[21:22]
	v_dual_mov_b32 v17, v10 :: v_dual_lshlrev_b32 v10, 4, v38
	v_cmp_gt_i64_e64 s2, s[36:37], v[6:7]
	v_cmp_gt_i64_e64 s3, s[36:37], v[12:13]
	;; [unrolled: 1-line block ×3, first 2 shown]
	s_delay_alu instid0(VALU_DEP_4)
	v_lshlrev_b64_e32 v[4:5], 4, v[16:17]
	v_add_co_u32 v2, s5, v2, s12
	s_wait_alu 0xf1ff
	v_add_co_ci_u32_e64 v3, null, s13, v3, s5
	s_lshl_b64 s[20:21], s[20:21], 4
	v_add_co_u32 v4, s6, v4, s6
	s_wait_alu 0xf1ff
	v_add_co_ci_u32_e64 v5, null, s7, v5, s6
	v_add_co_u32 v2, s5, v2, v10
	s_delay_alu instid0(VALU_DEP_3)
	v_add_co_u32 v41, s6, v4, v23
	s_wait_alu 0xf1ff
	v_add_co_ci_u32_e64 v43, null, 0, v3, s5
	v_cmp_gt_i64_e64 s5, s[40:41], 0
	v_lshlrev_b64_e32 v[10:11], 4, v[14:15]
	v_add_co_ci_u32_e64 v42, null, 0, v5, s6
	v_or_b32_e32 v44, 8, v2
	s_mov_b32 s29, 0
	s_lshl_b64 s[10:11], s[26:27], 4
	s_xor_b32 s26, vcc_lo, -1
	s_lshl_b64 s[6:7], s[30:31], 4
	s_lshl_b64 s[12:13], s[22:23], 4
	s_wait_alu 0xfffe
	s_lshl_b64 s[20:21], s[20:21], 4
	s_branch .LBB286_4
.LBB286_2:                              ;   in Loop: Header=BB286_4 Depth=1
	s_wait_alu 0xfffe
	s_or_b32 exec_lo, exec_lo, s22
.LBB286_3:                              ;   in Loop: Header=BB286_4 Depth=1
	s_add_co_i32 s28, s28, 0x10000
	s_delay_alu instid0(SALU_CYCLE_1)
	s_cmp_lt_i32 s28, s33
	s_cbranch_scc0 .LBB286_37
.LBB286_4:                              ; =>This Loop Header: Depth=1
                                        ;     Child Loop BB286_7 Depth 2
	s_lshl_b64 s[22:23], s[28:29], 3
	s_and_not1_b32 vcc_lo, exec_lo, s5
	s_wait_alu 0xfffe
	s_add_nc_u64 s[30:31], s[18:19], s[22:23]
	s_add_nc_u64 s[36:37], s[24:25], s[22:23]
	s_clause 0x1
	global_load_b64 v[12:13], v1, s[30:31]
	global_load_b64 v[14:15], v1, s[36:37]
	s_cbranch_vccnz .LBB286_13
; %bb.5:                                ;   in Loop: Header=BB286_4 Depth=1
	s_add_nc_u64 s[30:31], s[8:9], s[22:23]
	s_add_nc_u64 s[22:23], s[46:47], s[22:23]
	s_clause 0x1
	global_load_b64 v[2:3], v1, s[30:31]
	global_load_b64 v[4:5], v1, s[22:23]
	v_mov_b32_e32 v22, 0
	v_mov_b32_e32 v26, 0
	;; [unrolled: 1-line block ×3, first 2 shown]
	v_dual_mov_b32 v34, 0 :: v_dual_mov_b32 v23, 0
	v_dual_mov_b32 v20, 0 :: v_dual_mov_b32 v27, 0
	;; [unrolled: 1-line block ×5, first 2 shown]
	v_mov_b32_e32 v25, 0
	v_mov_b32_e32 v29, 0
	;; [unrolled: 1-line block ×3, first 2 shown]
	s_mov_b64 s[22:23], 0
	s_wait_loadcnt 0x1
	v_add_co_u32 v16, vcc_lo, v2, v41
	s_wait_alu 0xfffd
	v_add_co_ci_u32_e64 v17, null, v3, v42, vcc_lo
	s_wait_loadcnt 0x0
	v_add_co_u32 v18, vcc_lo, v4, v44
	s_wait_alu 0xfffd
	v_add_co_ci_u32_e64 v19, null, v5, v43, vcc_lo
	s_branch .LBB286_7
.LBB286_6:                              ;   in Loop: Header=BB286_7 Depth=2
	s_wait_alu 0xfffe
	s_or_b32 exec_lo, exec_lo, s27
	s_wait_dscnt 0x0
	s_barrier_signal -1
	s_barrier_wait -1
	global_inv scope:SCOPE_SE
	ds_load_b128 v[2:5], v37
	ds_load_b128 v[45:48], v36
	ds_load_b128 v[49:52], v36 offset:256
	ds_load_b128 v[53:56], v37 offset:2048
	;; [unrolled: 1-line block ×10, first 2 shown]
	s_add_nc_u64 s[22:23], s[22:23], 8
	v_add_co_u32 v16, vcc_lo, 0x80, v16
	s_wait_alu 0xfffe
	v_cmp_lt_i64_e64 s27, s[22:23], s[40:41]
	s_wait_alu 0xfffd
	v_add_co_ci_u32_e64 v17, null, 0, v17, vcc_lo
	v_add_co_u32 v18, vcc_lo, 0x80, v18
	s_wait_alu 0xfffd
	v_add_co_ci_u32_e64 v19, null, 0, v19, vcc_lo
	s_and_b32 vcc_lo, exec_lo, s27
	s_wait_dscnt 0xa
	v_mul_f64_e32 v[89:90], v[4:5], v[47:48]
	v_mul_f64_e32 v[91:92], v[2:3], v[47:48]
	s_wait_dscnt 0x9
	v_mul_f64_e32 v[93:94], v[4:5], v[51:52]
	v_mul_f64_e32 v[95:96], v[2:3], v[51:52]
	;; [unrolled: 3-line block ×3, first 2 shown]
	v_mul_f64_e32 v[99:100], v[55:56], v[51:52]
	v_mul_f64_e32 v[51:52], v[53:54], v[51:52]
	s_wait_dscnt 0x5
	v_mul_f64_e32 v[101:102], v[59:60], v[67:68]
	v_mul_f64_e32 v[103:104], v[57:58], v[67:68]
	s_wait_dscnt 0x4
	v_mul_f64_e32 v[105:106], v[59:60], v[71:72]
	v_mul_f64_e32 v[107:108], v[57:58], v[71:72]
	;; [unrolled: 1-line block ×6, first 2 shown]
	s_wait_dscnt 0x2
	v_mul_f64_e32 v[117:118], v[75:76], v[79:80]
	v_mul_f64_e32 v[119:120], v[73:74], v[79:80]
	s_wait_dscnt 0x1
	v_mul_f64_e32 v[121:122], v[75:76], v[83:84]
	v_mul_f64_e32 v[123:124], v[73:74], v[83:84]
	;; [unrolled: 3-line block ×3, first 2 shown]
	v_mul_f64_e32 v[127:128], v[87:88], v[83:84]
	v_mul_f64_e32 v[83:84], v[85:86], v[83:84]
	v_fma_f64 v[89:90], v[2:3], v[45:46], -v[89:90]
	v_fma_f64 v[91:92], v[4:5], v[45:46], v[91:92]
	v_fma_f64 v[93:94], v[2:3], v[49:50], -v[93:94]
	v_fma_f64 v[95:96], v[4:5], v[49:50], v[95:96]
	;; [unrolled: 2-line block ×8, first 2 shown]
	ds_load_b128 v[2:5], v37 offset:48
	ds_load_b128 v[45:48], v37 offset:2096
	;; [unrolled: 1-line block ×4, first 2 shown]
	v_fma_f64 v[117:118], v[73:74], v[77:78], -v[117:118]
	v_fma_f64 v[119:120], v[75:76], v[77:78], v[119:120]
	v_fma_f64 v[73:74], v[73:74], v[81:82], -v[121:122]
	v_fma_f64 v[75:76], v[75:76], v[81:82], v[123:124]
	;; [unrolled: 2-line block ×4, first 2 shown]
	s_wait_dscnt 0x1
	v_mul_f64_e32 v[107:108], v[2:3], v[51:52]
	s_wait_dscnt 0x0
	v_mul_f64_e32 v[109:110], v[4:5], v[55:56]
	v_mul_f64_e32 v[111:112], v[2:3], v[55:56]
	v_add_f64_e32 v[67:68], v[32:33], v[89:90]
	v_add_f64_e32 v[69:70], v[91:92], v[34:35]
	;; [unrolled: 1-line block ×8, first 2 shown]
	v_mul_f64_e32 v[99:100], v[4:5], v[51:52]
	v_mul_f64_e32 v[113:114], v[47:48], v[51:52]
	;; [unrolled: 1-line block ×5, first 2 shown]
	ds_load_b128 v[20:23], v37 offset:64
	ds_load_b128 v[24:27], v36 offset:2048
	;; [unrolled: 1-line block ×4, first 2 shown]
	s_wait_dscnt 0x0
	v_mul_f64_e32 v[123:124], v[34:35], v[26:27]
	v_mul_f64_e32 v[125:126], v[34:35], v[30:31]
	v_fma_f64 v[107:108], v[4:5], v[49:50], v[107:108]
	v_fma_f64 v[109:110], v[2:3], v[53:54], -v[109:110]
	v_fma_f64 v[111:112], v[4:5], v[53:54], v[111:112]
	v_add_f64_e32 v[83:84], v[67:68], v[101:102]
	v_add_f64_e32 v[85:86], v[103:104], v[69:70]
	;; [unrolled: 1-line block ×8, first 2 shown]
	v_mul_f64_e32 v[97:98], v[22:23], v[26:27]
	v_mul_f64_e32 v[101:102], v[20:21], v[26:27]
	;; [unrolled: 1-line block ×6, first 2 shown]
	v_fma_f64 v[99:100], v[2:3], v[49:50], -v[99:100]
	v_fma_f64 v[113:114], v[45:46], v[49:50], -v[113:114]
	v_fma_f64 v[127:128], v[47:48], v[49:50], v[51:52]
	v_fma_f64 v[115:116], v[45:46], v[53:54], -v[115:116]
	v_fma_f64 v[53:54], v[47:48], v[53:54], v[129:130]
	ds_load_b128 v[55:58], v37 offset:80
	ds_load_b128 v[59:62], v37 offset:2128
	;; [unrolled: 1-line block ×4, first 2 shown]
	v_fma_f64 v[123:124], v[32:33], v[24:25], -v[123:124]
	v_fma_f64 v[125:126], v[32:33], v[28:29], -v[125:126]
	v_add_f64_e32 v[83:84], v[83:84], v[117:118]
	v_add_f64_e32 v[85:86], v[119:120], v[85:86]
	;; [unrolled: 1-line block ×8, first 2 shown]
	s_wait_dscnt 0x1
	v_mul_f64_e32 v[89:90], v[57:58], v[65:66]
	v_mul_f64_e32 v[91:92], v[55:56], v[65:66]
	s_wait_dscnt 0x0
	v_mul_f64_e32 v[93:94], v[57:58], v[69:70]
	v_mul_f64_e32 v[95:96], v[55:56], v[69:70]
	v_mul_f64_e32 v[119:120], v[61:62], v[65:66]
	v_mul_f64_e32 v[65:66], v[59:60], v[65:66]
	v_mul_f64_e32 v[121:122], v[61:62], v[69:70]
	v_mul_f64_e32 v[69:70], v[59:60], v[69:70]
	v_fma_f64 v[97:98], v[20:21], v[24:25], -v[97:98]
	v_fma_f64 v[101:102], v[22:23], v[24:25], v[101:102]
	v_fma_f64 v[103:104], v[20:21], v[28:29], -v[103:104]
	v_fma_f64 v[105:106], v[22:23], v[28:29], v[105:106]
	v_fma_f64 v[129:130], v[34:35], v[24:25], v[26:27]
	;; [unrolled: 1-line block ×3, first 2 shown]
	ds_load_b128 v[2:5], v37 offset:96
	ds_load_b128 v[45:48], v36 offset:3072
	;; [unrolled: 1-line block ×8, first 2 shown]
	s_wait_loadcnt_dscnt 0x0
	s_barrier_signal -1
	s_barrier_wait -1
	global_inv scope:SCOPE_SE
	v_add_f64_e32 v[83:84], v[83:84], v[99:100]
	v_add_f64_e32 v[85:86], v[107:108], v[85:86]
	;; [unrolled: 1-line block ×8, first 2 shown]
	v_mul_f64_e32 v[81:82], v[4:5], v[47:48]
	v_mul_f64_e32 v[107:108], v[2:3], v[47:48]
	;; [unrolled: 1-line block ×8, first 2 shown]
	v_fma_f64 v[89:90], v[55:56], v[63:64], -v[89:90]
	v_fma_f64 v[91:92], v[57:58], v[63:64], v[91:92]
	v_fma_f64 v[55:56], v[55:56], v[67:68], -v[93:94]
	v_fma_f64 v[57:58], v[57:58], v[67:68], v[95:96]
	;; [unrolled: 2-line block ×4, first 2 shown]
	v_mul_f64_e32 v[95:96], v[22:23], v[34:35]
	v_add_f64_e32 v[65:66], v[83:84], v[97:98]
	v_add_f64_e32 v[67:68], v[101:102], v[85:86]
	;; [unrolled: 1-line block ×8, first 2 shown]
	v_mul_f64_e32 v[85:86], v[22:23], v[30:31]
	v_mul_f64_e32 v[87:88], v[20:21], v[30:31]
	;; [unrolled: 1-line block ×7, first 2 shown]
	v_fma_f64 v[81:82], v[2:3], v[45:46], -v[81:82]
	v_fma_f64 v[103:104], v[4:5], v[45:46], v[107:108]
	v_fma_f64 v[2:3], v[2:3], v[49:50], -v[109:110]
	v_fma_f64 v[4:5], v[4:5], v[49:50], v[111:112]
	;; [unrolled: 2-line block ×4, first 2 shown]
	v_add_f64_e32 v[51:52], v[65:66], v[89:90]
	v_add_f64_e32 v[65:66], v[91:92], v[67:68]
	;; [unrolled: 1-line block ×8, first 2 shown]
	v_fma_f64 v[61:62], v[20:21], v[28:29], -v[85:86]
	v_fma_f64 v[69:70], v[22:23], v[28:29], v[87:88]
	v_fma_f64 v[20:21], v[20:21], v[32:33], -v[95:96]
	v_fma_f64 v[22:23], v[22:23], v[32:33], v[97:98]
	;; [unrolled: 2-line block ×4, first 2 shown]
	v_add_f64_e32 v[24:25], v[51:52], v[81:82]
	v_add_f64_e32 v[26:27], v[103:104], v[65:66]
	v_add_f64_e32 v[2:3], v[55:56], v[2:3]
	v_add_f64_e32 v[4:5], v[4:5], v[57:58]
	v_add_f64_e32 v[51:52], v[67:68], v[105:106]
	v_add_f64_e32 v[45:46], v[45:46], v[63:64]
	v_add_f64_e32 v[47:48], v[59:60], v[47:48]
	v_add_f64_e32 v[49:50], v[49:50], v[53:54]
	v_add_f64_e32 v[32:33], v[24:25], v[61:62]
	v_add_f64_e32 v[34:35], v[69:70], v[26:27]
	v_add_f64_e32 v[28:29], v[2:3], v[20:21]
	v_add_f64_e32 v[30:31], v[22:23], v[4:5]
	v_add_f64_e32 v[24:25], v[51:52], v[71:72]
	v_add_f64_e32 v[26:27], v[73:74], v[45:46]
	v_add_f64_e32 v[20:21], v[47:48], v[75:76]
	v_add_f64_e32 v[22:23], v[77:78], v[49:50]
	s_wait_alu 0xfffe
	s_cbranch_vccz .LBB286_14
.LBB286_7:                              ;   Parent Loop BB286_4 Depth=1
                                        ; =>  This Inner Loop Header: Depth=2
	s_wait_alu 0xfffe
	v_add_co_u32 v2, s27, v38, s22
	s_wait_alu 0xf1ff
	v_add_co_ci_u32_e64 v3, null, 0, s23, s27
	v_mov_b32_e32 v4, 0
	v_mov_b32_e32 v5, 0
	s_delay_alu instid0(VALU_DEP_3)
	v_cmp_gt_i64_e32 vcc_lo, s[40:41], v[2:3]
	v_mov_b32_e32 v2, 0
	v_mov_b32_e32 v3, 0
	s_and_b32 s30, s0, vcc_lo
	s_wait_alu 0xfffe
	s_and_saveexec_b32 s27, s30
	s_cbranch_execz .LBB286_9
; %bb.8:                                ;   in Loop: Header=BB286_7 Depth=2
	flat_load_b128 v[2:5], v[18:19] offset:-8
	s_wait_loadcnt_dscnt 0x0
	v_xor_b32_e32 v5, 0x80000000, v5
.LBB286_9:                              ;   in Loop: Header=BB286_7 Depth=2
	s_wait_alu 0xfffe
	s_or_b32 exec_lo, exec_lo, s27
	v_add_co_u32 v45, s27, v0, s22
	s_wait_alu 0xf1ff
	v_add_co_ci_u32_e64 v46, null, 0, s23, s27
	ds_store_b128 v39, v[2:5]
	v_cmp_le_i64_e32 vcc_lo, s[40:41], v[45:46]
	s_or_b32 s27, vcc_lo, s26
	s_wait_alu 0xfffe
	s_and_saveexec_b32 s30, s27
	s_wait_alu 0xfffe
	s_xor_b32 s27, exec_lo, s30
; %bb.10:                               ;   in Loop: Header=BB286_7 Depth=2
	v_dual_mov_b32 v2, v1 :: v_dual_mov_b32 v3, v1
	v_mov_b32_e32 v4, v1
	ds_store_b128 v40, v[1:4]
; %bb.11:                               ;   in Loop: Header=BB286_7 Depth=2
	s_wait_alu 0xfffe
	s_and_not1_saveexec_b32 s27, s27
	s_cbranch_execz .LBB286_6
; %bb.12:                               ;   in Loop: Header=BB286_7 Depth=2
	flat_load_b128 v[2:5], v[16:17]
	s_wait_loadcnt_dscnt 0x0
	ds_store_2addr_b64 v40, v[2:3], v[4:5] offset1:1
	s_branch .LBB286_6
.LBB286_13:                             ;   in Loop: Header=BB286_4 Depth=1
	v_mov_b32_e32 v32, 0
	v_mov_b32_e32 v28, 0
	;; [unrolled: 1-line block ×3, first 2 shown]
	v_dual_mov_b32 v20, 0 :: v_dual_mov_b32 v33, 0
	v_dual_mov_b32 v34, 0 :: v_dual_mov_b32 v29, 0
	;; [unrolled: 1-line block ×5, first 2 shown]
	v_mov_b32_e32 v31, 0
	v_mov_b32_e32 v27, 0
	;; [unrolled: 1-line block ×3, first 2 shown]
.LBB286_14:                             ;   in Loop: Header=BB286_4 Depth=1
	s_wait_loadcnt 0x0
	v_add_co_u32 v4, vcc_lo, v14, s6
	s_wait_alu 0xfffd
	v_add_co_ci_u32_e64 v5, null, s7, v15, vcc_lo
	s_and_not1_b32 vcc_lo, exec_lo, s34
	s_mov_b32 s22, -1
	s_wait_alu 0xfffe
	s_cbranch_vccz .LBB286_16
; %bb.15:                               ;   in Loop: Header=BB286_4 Depth=1
	s_and_not1_b32 vcc_lo, exec_lo, s22
	s_wait_alu 0xfffe
	s_cbranch_vccnz .LBB286_3
	s_branch .LBB286_27
.LBB286_16:                             ;   in Loop: Header=BB286_4 Depth=1
	s_and_saveexec_b32 s22, s1
	s_cbranch_execz .LBB286_26
; %bb.17:                               ;   in Loop: Header=BB286_4 Depth=1
	v_lshlrev_b64_e32 v[2:3], 4, v[8:9]
	s_delay_alu instid0(VALU_DEP_1) | instskip(SKIP_1) | instid1(VALU_DEP_2)
	v_add_co_u32 v2, vcc_lo, v4, v2
	s_wait_alu 0xfffd
	v_add_co_ci_u32_e64 v3, null, v5, v3, vcc_lo
	s_and_saveexec_b32 s23, s2
	s_cbranch_execnz .LBB286_20
; %bb.18:                               ;   in Loop: Header=BB286_4 Depth=1
	s_wait_alu 0xfffe
	s_or_b32 exec_lo, exec_lo, s23
	s_and_saveexec_b32 s23, s3
	s_cbranch_execnz .LBB286_21
.LBB286_19:                             ;   in Loop: Header=BB286_4 Depth=1
	s_wait_alu 0xfffe
	s_or_b32 exec_lo, exec_lo, s23
	s_delay_alu instid0(SALU_CYCLE_1)
	s_and_b32 exec_lo, exec_lo, s4
	s_cbranch_execnz .LBB286_22
	s_branch .LBB286_26
.LBB286_20:                             ;   in Loop: Header=BB286_4 Depth=1
	v_mul_f64_e32 v[14:15], s[44:45], v[34:35]
	v_mul_f64_e32 v[16:17], s[42:43], v[34:35]
	v_lshlrev_b64_e32 v[18:19], 4, v[6:7]
	s_delay_alu instid0(VALU_DEP_1) | instskip(SKIP_1) | instid1(VALU_DEP_2)
	v_add_co_u32 v18, vcc_lo, v2, v18
	s_wait_alu 0xfffd
	v_add_co_ci_u32_e64 v19, null, v3, v19, vcc_lo
	v_fma_f64 v[14:15], s[42:43], v[32:33], -v[14:15]
	v_fma_f64 v[16:17], s[44:45], v[32:33], v[16:17]
	flat_store_b128 v[18:19], v[14:17]
	s_wait_alu 0xfffe
	s_or_b32 exec_lo, exec_lo, s23
	s_and_saveexec_b32 s23, s3
	s_cbranch_execz .LBB286_19
.LBB286_21:                             ;   in Loop: Header=BB286_4 Depth=1
	v_mul_f64_e32 v[14:15], s[44:45], v[30:31]
	v_mul_f64_e32 v[16:17], s[42:43], v[30:31]
	v_lshlrev_b64_e32 v[18:19], 4, v[6:7]
	s_delay_alu instid0(VALU_DEP_1) | instskip(SKIP_1) | instid1(VALU_DEP_2)
	v_add_co_u32 v18, vcc_lo, v2, v18
	s_wait_alu 0xfffd
	v_add_co_ci_u32_e64 v19, null, v3, v19, vcc_lo
	v_fma_f64 v[14:15], s[42:43], v[28:29], -v[14:15]
	v_fma_f64 v[16:17], s[44:45], v[28:29], v[16:17]
	flat_store_b128 v[18:19], v[14:17] offset:256
	s_wait_alu 0xfffe
	s_or_b32 exec_lo, exec_lo, s23
	s_delay_alu instid0(SALU_CYCLE_1)
	s_and_b32 exec_lo, exec_lo, s4
	s_cbranch_execz .LBB286_26
.LBB286_22:                             ;   in Loop: Header=BB286_4 Depth=1
	s_lshl_b64 s[30:31], s[10:11], 4
	v_lshlrev_b64_e32 v[14:15], 4, v[6:7]
	s_wait_alu 0xfffe
	v_add_co_u32 v2, vcc_lo, v2, s30
	s_wait_alu 0xfffd
	v_add_co_ci_u32_e64 v3, null, s31, v3, vcc_lo
	s_delay_alu instid0(VALU_DEP_2) | instskip(SKIP_1) | instid1(VALU_DEP_2)
	v_add_co_u32 v2, vcc_lo, v2, v14
	s_wait_alu 0xfffd
	v_add_co_ci_u32_e64 v3, null, v3, v15, vcc_lo
	s_and_saveexec_b32 s23, s2
	s_cbranch_execz .LBB286_24
; %bb.23:                               ;   in Loop: Header=BB286_4 Depth=1
	v_mul_f64_e32 v[14:15], s[44:45], v[26:27]
	v_mul_f64_e32 v[16:17], s[42:43], v[26:27]
	s_delay_alu instid0(VALU_DEP_2) | instskip(NEXT) | instid1(VALU_DEP_2)
	v_fma_f64 v[14:15], s[42:43], v[24:25], -v[14:15]
	v_fma_f64 v[16:17], s[44:45], v[24:25], v[16:17]
	flat_store_b128 v[2:3], v[14:17]
.LBB286_24:                             ;   in Loop: Header=BB286_4 Depth=1
	s_wait_alu 0xfffe
	s_or_b32 exec_lo, exec_lo, s23
	s_delay_alu instid0(SALU_CYCLE_1)
	s_and_b32 exec_lo, exec_lo, s3
	s_cbranch_execz .LBB286_26
; %bb.25:                               ;   in Loop: Header=BB286_4 Depth=1
	v_mul_f64_e32 v[14:15], s[44:45], v[22:23]
	v_mul_f64_e32 v[16:17], s[42:43], v[22:23]
	s_delay_alu instid0(VALU_DEP_2) | instskip(NEXT) | instid1(VALU_DEP_2)
	v_fma_f64 v[14:15], s[42:43], v[20:21], -v[14:15]
	v_fma_f64 v[16:17], s[44:45], v[20:21], v[16:17]
	flat_store_b128 v[2:3], v[14:17] offset:256
.LBB286_26:                             ;   in Loop: Header=BB286_4 Depth=1
	s_wait_alu 0xfffe
	s_or_b32 exec_lo, exec_lo, s22
	s_cbranch_execnz .LBB286_3
.LBB286_27:                             ;   in Loop: Header=BB286_4 Depth=1
	s_and_saveexec_b32 s22, s1
	s_cbranch_execz .LBB286_2
; %bb.28:                               ;   in Loop: Header=BB286_4 Depth=1
	v_add_co_u32 v2, vcc_lo, v12, s12
	v_lshlrev_b64_e32 v[14:15], 4, v[8:9]
	s_wait_alu 0xfffd
	v_add_co_ci_u32_e64 v3, null, s13, v13, vcc_lo
	s_delay_alu instid0(VALU_DEP_3) | instskip(SKIP_1) | instid1(VALU_DEP_2)
	v_add_co_u32 v12, vcc_lo, v2, v10
	s_wait_alu 0xfffd
	v_add_co_ci_u32_e64 v13, null, v3, v11, vcc_lo
	v_add_co_u32 v4, vcc_lo, v4, v14
	v_lshlrev_b64_e32 v[2:3], 4, v[6:7]
	s_wait_alu 0xfffd
	v_add_co_ci_u32_e64 v5, null, v5, v15, vcc_lo
	s_and_saveexec_b32 s23, s2
	s_cbranch_execnz .LBB286_31
; %bb.29:                               ;   in Loop: Header=BB286_4 Depth=1
	s_wait_alu 0xfffe
	s_or_b32 exec_lo, exec_lo, s23
	s_and_saveexec_b32 s23, s3
	s_cbranch_execnz .LBB286_32
.LBB286_30:                             ;   in Loop: Header=BB286_4 Depth=1
	s_wait_alu 0xfffe
	s_or_b32 exec_lo, exec_lo, s23
	s_delay_alu instid0(SALU_CYCLE_1)
	s_and_b32 exec_lo, exec_lo, s4
	s_cbranch_execz .LBB286_2
	s_branch .LBB286_33
.LBB286_31:                             ;   in Loop: Header=BB286_4 Depth=1
	v_add_co_u32 v14, vcc_lo, v12, v2
	s_wait_alu 0xfffd
	v_add_co_ci_u32_e64 v15, null, v13, v3, vcc_lo
	v_mul_f64_e32 v[18:19], s[44:45], v[34:35]
	v_mul_f64_e32 v[34:35], s[42:43], v[34:35]
	flat_load_b128 v[14:17], v[14:15]
	v_fma_f64 v[18:19], s[42:43], v[32:33], -v[18:19]
	v_fma_f64 v[32:33], s[44:45], v[32:33], v[34:35]
	s_wait_loadcnt_dscnt 0x0
	v_mul_f64_e32 v[45:46], s[16:17], v[16:17]
	v_mul_f64_e32 v[16:17], s[14:15], v[16:17]
	s_delay_alu instid0(VALU_DEP_2) | instskip(NEXT) | instid1(VALU_DEP_2)
	v_fma_f64 v[34:35], s[14:15], v[14:15], -v[45:46]
	v_fma_f64 v[16:17], s[16:17], v[14:15], v[16:17]
	s_delay_alu instid0(VALU_DEP_2) | instskip(NEXT) | instid1(VALU_DEP_2)
	v_add_f64_e32 v[14:15], v[18:19], v[34:35]
	v_add_f64_e32 v[16:17], v[32:33], v[16:17]
	v_add_co_u32 v18, vcc_lo, v4, v2
	s_wait_alu 0xfffd
	v_add_co_ci_u32_e64 v19, null, v5, v3, vcc_lo
	flat_store_b128 v[18:19], v[14:17]
	s_wait_alu 0xfffe
	s_or_b32 exec_lo, exec_lo, s23
	s_and_saveexec_b32 s23, s3
	s_cbranch_execz .LBB286_30
.LBB286_32:                             ;   in Loop: Header=BB286_4 Depth=1
	v_add_co_u32 v14, vcc_lo, v12, v2
	s_wait_alu 0xfffd
	v_add_co_ci_u32_e64 v15, null, v13, v3, vcc_lo
	v_mul_f64_e32 v[18:19], s[44:45], v[30:31]
	v_mul_f64_e32 v[30:31], s[42:43], v[30:31]
	flat_load_b128 v[14:17], v[14:15] offset:256
	v_fma_f64 v[18:19], s[42:43], v[28:29], -v[18:19]
	v_fma_f64 v[28:29], s[44:45], v[28:29], v[30:31]
	s_wait_loadcnt_dscnt 0x0
	v_mul_f64_e32 v[32:33], s[16:17], v[16:17]
	v_mul_f64_e32 v[16:17], s[14:15], v[16:17]
	s_delay_alu instid0(VALU_DEP_2) | instskip(NEXT) | instid1(VALU_DEP_2)
	v_fma_f64 v[30:31], s[14:15], v[14:15], -v[32:33]
	v_fma_f64 v[16:17], s[16:17], v[14:15], v[16:17]
	s_delay_alu instid0(VALU_DEP_2) | instskip(NEXT) | instid1(VALU_DEP_2)
	v_add_f64_e32 v[14:15], v[18:19], v[30:31]
	v_add_f64_e32 v[16:17], v[28:29], v[16:17]
	v_add_co_u32 v18, vcc_lo, v4, v2
	s_wait_alu 0xfffd
	v_add_co_ci_u32_e64 v19, null, v5, v3, vcc_lo
	flat_store_b128 v[18:19], v[14:17] offset:256
	s_wait_alu 0xfffe
	s_or_b32 exec_lo, exec_lo, s23
	s_delay_alu instid0(SALU_CYCLE_1)
	s_and_b32 exec_lo, exec_lo, s4
	s_cbranch_execz .LBB286_2
.LBB286_33:                             ;   in Loop: Header=BB286_4 Depth=1
	v_add_co_u32 v12, vcc_lo, v12, s20
	s_lshl_b64 s[30:31], s[10:11], 4
	s_wait_alu 0xfffd
	v_add_co_ci_u32_e64 v13, null, s21, v13, vcc_lo
	s_wait_alu 0xfffe
	v_add_co_u32 v14, vcc_lo, v4, s30
	s_wait_alu 0xfffd
	v_add_co_ci_u32_e64 v15, null, s31, v5, vcc_lo
	v_add_co_u32 v4, vcc_lo, v12, v2
	s_wait_alu 0xfffd
	v_add_co_ci_u32_e64 v5, null, v13, v3, vcc_lo
	;; [unrolled: 3-line block ×3, first 2 shown]
	s_and_saveexec_b32 s23, s2
	s_cbranch_execz .LBB286_35
; %bb.34:                               ;   in Loop: Header=BB286_4 Depth=1
	flat_load_b128 v[12:15], v[4:5]
	v_mul_f64_e32 v[16:17], s[44:45], v[26:27]
	v_mul_f64_e32 v[18:19], s[42:43], v[26:27]
	s_delay_alu instid0(VALU_DEP_2) | instskip(NEXT) | instid1(VALU_DEP_2)
	v_fma_f64 v[16:17], s[42:43], v[24:25], -v[16:17]
	v_fma_f64 v[18:19], s[44:45], v[24:25], v[18:19]
	s_wait_loadcnt_dscnt 0x0
	v_mul_f64_e32 v[26:27], s[16:17], v[14:15]
	v_mul_f64_e32 v[14:15], s[14:15], v[14:15]
	s_delay_alu instid0(VALU_DEP_2) | instskip(NEXT) | instid1(VALU_DEP_2)
	v_fma_f64 v[24:25], s[14:15], v[12:13], -v[26:27]
	v_fma_f64 v[14:15], s[16:17], v[12:13], v[14:15]
	s_delay_alu instid0(VALU_DEP_2) | instskip(NEXT) | instid1(VALU_DEP_2)
	v_add_f64_e32 v[12:13], v[16:17], v[24:25]
	v_add_f64_e32 v[14:15], v[18:19], v[14:15]
	flat_store_b128 v[2:3], v[12:15]
.LBB286_35:                             ;   in Loop: Header=BB286_4 Depth=1
	s_wait_alu 0xfffe
	s_or_b32 exec_lo, exec_lo, s23
	s_delay_alu instid0(SALU_CYCLE_1)
	s_and_b32 exec_lo, exec_lo, s3
	s_cbranch_execz .LBB286_2
; %bb.36:                               ;   in Loop: Header=BB286_4 Depth=1
	flat_load_b128 v[12:15], v[4:5] offset:256
	v_mul_f64_e32 v[4:5], s[44:45], v[22:23]
	v_mul_f64_e32 v[16:17], s[42:43], v[22:23]
	s_delay_alu instid0(VALU_DEP_2) | instskip(NEXT) | instid1(VALU_DEP_2)
	v_fma_f64 v[4:5], s[42:43], v[20:21], -v[4:5]
	v_fma_f64 v[16:17], s[44:45], v[20:21], v[16:17]
	s_wait_loadcnt_dscnt 0x0
	v_mul_f64_e32 v[18:19], s[16:17], v[14:15]
	v_mul_f64_e32 v[14:15], s[14:15], v[14:15]
	s_delay_alu instid0(VALU_DEP_2) | instskip(NEXT) | instid1(VALU_DEP_2)
	v_fma_f64 v[18:19], s[14:15], v[12:13], -v[18:19]
	v_fma_f64 v[14:15], s[16:17], v[12:13], v[14:15]
	s_delay_alu instid0(VALU_DEP_2) | instskip(NEXT) | instid1(VALU_DEP_2)
	v_add_f64_e32 v[12:13], v[4:5], v[18:19]
	v_add_f64_e32 v[14:15], v[16:17], v[14:15]
	flat_store_b128 v[2:3], v[12:15] offset:256
	s_branch .LBB286_2
.LBB286_37:
	s_nop 0
	s_sendmsg sendmsg(MSG_DEALLOC_VGPRS)
	s_endpgm
	.section	.rodata,"a",@progbits
	.p2align	6, 0x0
	.amdhsa_kernel _ZN12_GLOBAL__N_135rocblas_gemm_batched_general_kernelI19rocblas_complex_numIdELi16ELi16ELi32ELi32ELi8ELi32ELi8ELi8ELi32ELc67ELc78EKPKS2_S5_KPS2_EEvlllT_PT11_llSA_llS8_PT12_llPT13_lli
		.amdhsa_group_segment_fixed_size 8192
		.amdhsa_private_segment_fixed_size 0
		.amdhsa_kernarg_size 156
		.amdhsa_user_sgpr_count 2
		.amdhsa_user_sgpr_dispatch_ptr 0
		.amdhsa_user_sgpr_queue_ptr 0
		.amdhsa_user_sgpr_kernarg_segment_ptr 1
		.amdhsa_user_sgpr_dispatch_id 0
		.amdhsa_user_sgpr_private_segment_size 0
		.amdhsa_wavefront_size32 1
		.amdhsa_uses_dynamic_stack 0
		.amdhsa_enable_private_segment 0
		.amdhsa_system_sgpr_workgroup_id_x 1
		.amdhsa_system_sgpr_workgroup_id_y 1
		.amdhsa_system_sgpr_workgroup_id_z 1
		.amdhsa_system_sgpr_workgroup_info 0
		.amdhsa_system_vgpr_workitem_id 1
		.amdhsa_next_free_vgpr 133
		.amdhsa_next_free_sgpr 52
		.amdhsa_reserve_vcc 1
		.amdhsa_float_round_mode_32 0
		.amdhsa_float_round_mode_16_64 0
		.amdhsa_float_denorm_mode_32 3
		.amdhsa_float_denorm_mode_16_64 3
		.amdhsa_fp16_overflow 0
		.amdhsa_workgroup_processor_mode 1
		.amdhsa_memory_ordered 1
		.amdhsa_forward_progress 1
		.amdhsa_inst_pref_size 30
		.amdhsa_round_robin_scheduling 0
		.amdhsa_exception_fp_ieee_invalid_op 0
		.amdhsa_exception_fp_denorm_src 0
		.amdhsa_exception_fp_ieee_div_zero 0
		.amdhsa_exception_fp_ieee_overflow 0
		.amdhsa_exception_fp_ieee_underflow 0
		.amdhsa_exception_fp_ieee_inexact 0
		.amdhsa_exception_int_div_zero 0
	.end_amdhsa_kernel
	.section	.text._ZN12_GLOBAL__N_135rocblas_gemm_batched_general_kernelI19rocblas_complex_numIdELi16ELi16ELi32ELi32ELi8ELi32ELi8ELi8ELi32ELc67ELc78EKPKS2_S5_KPS2_EEvlllT_PT11_llSA_llS8_PT12_llPT13_lli,"axG",@progbits,_ZN12_GLOBAL__N_135rocblas_gemm_batched_general_kernelI19rocblas_complex_numIdELi16ELi16ELi32ELi32ELi8ELi32ELi8ELi8ELi32ELc67ELc78EKPKS2_S5_KPS2_EEvlllT_PT11_llSA_llS8_PT12_llPT13_lli,comdat
.Lfunc_end286:
	.size	_ZN12_GLOBAL__N_135rocblas_gemm_batched_general_kernelI19rocblas_complex_numIdELi16ELi16ELi32ELi32ELi8ELi32ELi8ELi8ELi32ELc67ELc78EKPKS2_S5_KPS2_EEvlllT_PT11_llSA_llS8_PT12_llPT13_lli, .Lfunc_end286-_ZN12_GLOBAL__N_135rocblas_gemm_batched_general_kernelI19rocblas_complex_numIdELi16ELi16ELi32ELi32ELi8ELi32ELi8ELi8ELi32ELc67ELc78EKPKS2_S5_KPS2_EEvlllT_PT11_llSA_llS8_PT12_llPT13_lli
                                        ; -- End function
	.set _ZN12_GLOBAL__N_135rocblas_gemm_batched_general_kernelI19rocblas_complex_numIdELi16ELi16ELi32ELi32ELi8ELi32ELi8ELi8ELi32ELc67ELc78EKPKS2_S5_KPS2_EEvlllT_PT11_llSA_llS8_PT12_llPT13_lli.num_vgpr, 133
	.set _ZN12_GLOBAL__N_135rocblas_gemm_batched_general_kernelI19rocblas_complex_numIdELi16ELi16ELi32ELi32ELi8ELi32ELi8ELi8ELi32ELc67ELc78EKPKS2_S5_KPS2_EEvlllT_PT11_llSA_llS8_PT12_llPT13_lli.num_agpr, 0
	.set _ZN12_GLOBAL__N_135rocblas_gemm_batched_general_kernelI19rocblas_complex_numIdELi16ELi16ELi32ELi32ELi8ELi32ELi8ELi8ELi32ELc67ELc78EKPKS2_S5_KPS2_EEvlllT_PT11_llSA_llS8_PT12_llPT13_lli.numbered_sgpr, 52
	.set _ZN12_GLOBAL__N_135rocblas_gemm_batched_general_kernelI19rocblas_complex_numIdELi16ELi16ELi32ELi32ELi8ELi32ELi8ELi8ELi32ELc67ELc78EKPKS2_S5_KPS2_EEvlllT_PT11_llSA_llS8_PT12_llPT13_lli.num_named_barrier, 0
	.set _ZN12_GLOBAL__N_135rocblas_gemm_batched_general_kernelI19rocblas_complex_numIdELi16ELi16ELi32ELi32ELi8ELi32ELi8ELi8ELi32ELc67ELc78EKPKS2_S5_KPS2_EEvlllT_PT11_llSA_llS8_PT12_llPT13_lli.private_seg_size, 0
	.set _ZN12_GLOBAL__N_135rocblas_gemm_batched_general_kernelI19rocblas_complex_numIdELi16ELi16ELi32ELi32ELi8ELi32ELi8ELi8ELi32ELc67ELc78EKPKS2_S5_KPS2_EEvlllT_PT11_llSA_llS8_PT12_llPT13_lli.uses_vcc, 1
	.set _ZN12_GLOBAL__N_135rocblas_gemm_batched_general_kernelI19rocblas_complex_numIdELi16ELi16ELi32ELi32ELi8ELi32ELi8ELi8ELi32ELc67ELc78EKPKS2_S5_KPS2_EEvlllT_PT11_llSA_llS8_PT12_llPT13_lli.uses_flat_scratch, 0
	.set _ZN12_GLOBAL__N_135rocblas_gemm_batched_general_kernelI19rocblas_complex_numIdELi16ELi16ELi32ELi32ELi8ELi32ELi8ELi8ELi32ELc67ELc78EKPKS2_S5_KPS2_EEvlllT_PT11_llSA_llS8_PT12_llPT13_lli.has_dyn_sized_stack, 0
	.set _ZN12_GLOBAL__N_135rocblas_gemm_batched_general_kernelI19rocblas_complex_numIdELi16ELi16ELi32ELi32ELi8ELi32ELi8ELi8ELi32ELc67ELc78EKPKS2_S5_KPS2_EEvlllT_PT11_llSA_llS8_PT12_llPT13_lli.has_recursion, 0
	.set _ZN12_GLOBAL__N_135rocblas_gemm_batched_general_kernelI19rocblas_complex_numIdELi16ELi16ELi32ELi32ELi8ELi32ELi8ELi8ELi32ELc67ELc78EKPKS2_S5_KPS2_EEvlllT_PT11_llSA_llS8_PT12_llPT13_lli.has_indirect_call, 0
	.section	.AMDGPU.csdata,"",@progbits
; Kernel info:
; codeLenInByte = 3816
; TotalNumSgprs: 54
; NumVgprs: 133
; ScratchSize: 0
; MemoryBound: 1
; FloatMode: 240
; IeeeMode: 1
; LDSByteSize: 8192 bytes/workgroup (compile time only)
; SGPRBlocks: 0
; VGPRBlocks: 16
; NumSGPRsForWavesPerEU: 54
; NumVGPRsForWavesPerEU: 133
; Occupancy: 10
; WaveLimiterHint : 1
; COMPUTE_PGM_RSRC2:SCRATCH_EN: 0
; COMPUTE_PGM_RSRC2:USER_SGPR: 2
; COMPUTE_PGM_RSRC2:TRAP_HANDLER: 0
; COMPUTE_PGM_RSRC2:TGID_X_EN: 1
; COMPUTE_PGM_RSRC2:TGID_Y_EN: 1
; COMPUTE_PGM_RSRC2:TGID_Z_EN: 1
; COMPUTE_PGM_RSRC2:TIDIG_COMP_CNT: 1
	.section	.text._ZN12_GLOBAL__N_135rocblas_gemm_batched_general_kernelI19rocblas_complex_numIdELi16ELi16ELi32ELi32ELi8ELi32ELi8ELi8ELi32ELc67ELc84EKPKS2_S5_KPS2_EEvlllT_PT11_llSA_llS8_PT12_llPT13_lli,"axG",@progbits,_ZN12_GLOBAL__N_135rocblas_gemm_batched_general_kernelI19rocblas_complex_numIdELi16ELi16ELi32ELi32ELi8ELi32ELi8ELi8ELi32ELc67ELc84EKPKS2_S5_KPS2_EEvlllT_PT11_llSA_llS8_PT12_llPT13_lli,comdat
	.globl	_ZN12_GLOBAL__N_135rocblas_gemm_batched_general_kernelI19rocblas_complex_numIdELi16ELi16ELi32ELi32ELi8ELi32ELi8ELi8ELi32ELc67ELc84EKPKS2_S5_KPS2_EEvlllT_PT11_llSA_llS8_PT12_llPT13_lli ; -- Begin function _ZN12_GLOBAL__N_135rocblas_gemm_batched_general_kernelI19rocblas_complex_numIdELi16ELi16ELi32ELi32ELi8ELi32ELi8ELi8ELi32ELc67ELc84EKPKS2_S5_KPS2_EEvlllT_PT11_llSA_llS8_PT12_llPT13_lli
	.p2align	8
	.type	_ZN12_GLOBAL__N_135rocblas_gemm_batched_general_kernelI19rocblas_complex_numIdELi16ELi16ELi32ELi32ELi8ELi32ELi8ELi8ELi32ELc67ELc84EKPKS2_S5_KPS2_EEvlllT_PT11_llSA_llS8_PT12_llPT13_lli,@function
_ZN12_GLOBAL__N_135rocblas_gemm_batched_general_kernelI19rocblas_complex_numIdELi16ELi16ELi32ELi32ELi8ELi32ELi8ELi8ELi32ELc67ELc84EKPKS2_S5_KPS2_EEvlllT_PT11_llSA_llS8_PT12_llPT13_lli: ; @_ZN12_GLOBAL__N_135rocblas_gemm_batched_general_kernelI19rocblas_complex_numIdELi16ELi16ELi32ELi32ELi8ELi32ELi8ELi8ELi32ELc67ELc84EKPKS2_S5_KPS2_EEvlllT_PT11_llSA_llS8_PT12_llPT13_lli
; %bb.0:
	s_load_b32 s33, s[0:1], 0x98
	s_lshr_b32 s28, ttmp7, 16
	s_wait_kmcnt 0x0
	s_cmp_ge_i32 s28, s33
	s_cbranch_scc1 .LBB287_37
; %bb.1:
	v_bfe_u32 v2, v0, 10, 10
	v_dual_mov_b32 v1, 0 :: v_dual_and_b32 v6, 0x3ff, v0
	s_clause 0x3
	s_load_b512 s[8:23], s[0:1], 0x40
	s_load_b512 s[36:51], s[0:1], 0x0
	s_load_b64 s[30:31], s[0:1], 0x90
	s_load_b128 s[24:27], s[0:1], 0x80
	s_and_b32 s6, ttmp7, 0xffff
	s_mov_b32 s2, ttmp9
	s_ashr_i32 s3, ttmp9, 31
	v_lshl_add_u32 v8, v2, 4, v6
	s_lshl_b32 s0, s6, 5
	s_lshl_b64 s[4:5], s[2:3], 5
	v_add_co_u32 v4, s1, s0, v2
	s_delay_alu instid0(VALU_DEP_2)
	v_lshrrev_b32_e32 v19, 3, v8
	v_lshlrev_b32_e32 v36, 4, v6
	s_wait_alu 0xf1ff
	v_add_co_ci_u32_e64 v5, null, 0, 0, s1
	v_and_b32_e32 v10, 31, v8
	v_add_co_u32 v6, s1, s4, v6
	v_lshrrev_b32_e32 v38, 5, v8
	v_add_co_u32 v8, s0, v19, s0
	s_wait_alu 0xf1ff
	v_add_co_ci_u32_e64 v7, null, s5, 0, s1
	v_add_co_ci_u32_e64 v9, null, 0, 0, s0
	v_dual_mov_b32 v3, s5 :: v_dual_and_b32 v0, 7, v0
	v_lshl_add_u32 v37, v2, 7, 0x1000
	v_or_b32_e32 v2, s4, v10
	v_lshlrev_b32_e32 v13, 4, v10
	v_add_co_u32 v10, vcc_lo, v6, 16
	s_delay_alu instid0(VALU_DEP_1)
	v_add_co_ci_u32_e64 v11, null, 0, v7, vcc_lo
	s_wait_kmcnt 0x0
	v_cmp_gt_i64_e32 vcc_lo, s[38:39], v[8:9]
	v_mad_co_u64_u32 v[8:9], null, v4, s26, 0
	v_lshlrev_b32_e32 v12, 4, v0
	v_cmp_eq_f64_e64 s7, s[14:15], 0
	v_cmp_eq_f64_e64 s34, s[16:17], 0
	v_cmp_gt_i64_e64 s0, s[36:37], v[2:3]
	v_lshl_or_b32 v39, v38, 9, v13
	v_cmp_gt_i64_e64 s3, s[36:37], v[10:11]
	v_mov_b32_e32 v3, v9
	v_lshl_or_b32 v14, v19, 7, v12
	v_mad_co_u64_u32 v[12:13], null, s10, v0, 0
	v_cmp_gt_i64_e64 s1, s[38:39], v[4:5]
	s_delay_alu instid0(VALU_DEP_4) | instskip(SKIP_3) | instid1(VALU_DEP_4)
	v_mad_co_u64_u32 v[10:11], null, v4, s27, v[3:4]
	v_mul_lo_u32 v11, s49, v2
	s_mul_i32 s5, s48, s5
	s_mov_b32 s29, 0
	v_mov_b32_e32 v9, v13
	s_lshl_b32 s6, s6, 9
	s_lshl_b64 s[12:13], s[12:13], 4
	v_cmp_gt_i64_e64 s2, s[36:37], v[6:7]
	s_lshl_b64 s[26:27], s[26:27], 4
	v_mad_co_u64_u32 v[16:17], null, s11, v0, v[9:10]
	v_add_nc_u32_e32 v40, 0x1000, v14
	v_mad_co_u64_u32 v[14:15], null, v4, s20, 0
	v_add_co_u32 v17, s4, v4, 16
	s_wait_alu 0xf1ff
	v_add_co_ci_u32_e64 v18, null, 0, v5, s4
	v_mov_b32_e32 v13, v16
	v_dual_mov_b32 v9, v10 :: v_dual_lshlrev_b32 v10, 4, v38
	v_mov_b32_e32 v3, v15
	s_delay_alu instid0(VALU_DEP_4)
	v_cmp_gt_i64_e64 s4, s[38:39], v[17:18]
	s_xor_b32 s35, vcc_lo, -1
	v_mad_co_u64_u32 v[3:4], null, v4, s21, v[3:4]
	v_mad_co_u64_u32 v[4:5], null, s48, v2, 0
	s_and_b32 s34, s7, s34
	s_mov_b32 s7, s29
	s_lshl_b64 s[20:21], s[20:21], 4
	s_add_nc_u64 s[6:7], s[12:13], s[6:7]
	v_mov_b32_e32 v15, v3
	v_lshlrev_b64_e32 v[2:3], 4, v[12:13]
	s_wait_alu 0xfffe
	v_add3_u32 v5, v5, s5, v11
	v_lshlrev_b32_e32 v11, 4, v19
	s_lshl_b64 s[12:13], s[22:23], 4
	s_lshl_b64 s[20:21], s[20:21], 4
	s_delay_alu instid0(VALU_DEP_2)
	v_lshlrev_b64_e32 v[4:5], 4, v[4:5]
	v_add_co_u32 v2, s5, s6, v2
	s_wait_alu 0xf1ff
	v_add_co_ci_u32_e64 v3, null, s7, v3, s5
	s_lshl_b64 s[6:7], s[50:51], 4
	s_wait_alu 0xfffe
	v_add_co_u32 v4, s5, v4, s6
	s_wait_alu 0xf1ff
	v_add_co_ci_u32_e64 v5, null, s7, v5, s5
	v_add_co_u32 v41, s6, v2, v11
	s_delay_alu instid0(VALU_DEP_3) | instskip(SKIP_1) | instid1(VALU_DEP_3)
	v_add_co_u32 v4, s5, v4, v10
	s_wait_alu 0xf1ff
	v_add_co_ci_u32_e64 v43, null, 0, v5, s5
	v_cmp_gt_i64_e64 s5, s[40:41], 0
	v_lshlrev_b64_e32 v[10:11], 4, v[14:15]
	v_add_co_ci_u32_e64 v42, null, 0, v3, s6
	v_or_b32_e32 v44, 8, v4
	s_lshl_b64 s[6:7], s[10:11], 7
	s_lshl_b64 s[10:11], s[30:31], 4
	s_branch .LBB287_4
.LBB287_2:                              ;   in Loop: Header=BB287_4 Depth=1
	s_wait_alu 0xfffe
	s_or_b32 exec_lo, exec_lo, s22
.LBB287_3:                              ;   in Loop: Header=BB287_4 Depth=1
	s_add_co_i32 s28, s28, 0x10000
	s_delay_alu instid0(SALU_CYCLE_1)
	s_cmp_lt_i32 s28, s33
	s_cbranch_scc0 .LBB287_37
.LBB287_4:                              ; =>This Loop Header: Depth=1
                                        ;     Child Loop BB287_7 Depth 2
	s_lshl_b64 s[22:23], s[28:29], 3
	s_and_not1_b32 vcc_lo, exec_lo, s5
	s_wait_alu 0xfffe
	s_add_nc_u64 s[30:31], s[18:19], s[22:23]
	s_add_nc_u64 s[36:37], s[24:25], s[22:23]
	s_clause 0x1
	global_load_b64 v[12:13], v1, s[30:31]
	global_load_b64 v[14:15], v1, s[36:37]
	s_cbranch_vccnz .LBB287_13
; %bb.5:                                ;   in Loop: Header=BB287_4 Depth=1
	s_add_nc_u64 s[30:31], s[8:9], s[22:23]
	s_add_nc_u64 s[22:23], s[46:47], s[22:23]
	s_clause 0x1
	global_load_b64 v[2:3], v1, s[30:31]
	global_load_b64 v[4:5], v1, s[22:23]
	v_mov_b32_e32 v22, 0
	v_mov_b32_e32 v26, 0
	;; [unrolled: 1-line block ×3, first 2 shown]
	v_dual_mov_b32 v34, 0 :: v_dual_mov_b32 v23, 0
	v_dual_mov_b32 v20, 0 :: v_dual_mov_b32 v27, 0
	;; [unrolled: 1-line block ×5, first 2 shown]
	v_mov_b32_e32 v25, 0
	v_mov_b32_e32 v29, 0
	;; [unrolled: 1-line block ×3, first 2 shown]
	s_mov_b64 s[22:23], 0
	s_wait_loadcnt 0x1
	v_add_co_u32 v16, vcc_lo, v2, v41
	s_wait_alu 0xfffd
	v_add_co_ci_u32_e64 v17, null, v3, v42, vcc_lo
	s_wait_loadcnt 0x0
	v_add_co_u32 v18, vcc_lo, v4, v44
	s_wait_alu 0xfffd
	v_add_co_ci_u32_e64 v19, null, v5, v43, vcc_lo
	s_branch .LBB287_7
.LBB287_6:                              ;   in Loop: Header=BB287_7 Depth=2
	s_wait_alu 0xfffe
	s_or_b32 exec_lo, exec_lo, s30
	s_wait_dscnt 0x0
	s_barrier_signal -1
	s_barrier_wait -1
	global_inv scope:SCOPE_SE
	ds_load_b128 v[2:5], v37
	ds_load_b128 v[45:48], v36
	ds_load_b128 v[49:52], v36 offset:256
	ds_load_b128 v[53:56], v37 offset:2048
	;; [unrolled: 1-line block ×10, first 2 shown]
	s_add_nc_u64 s[22:23], s[22:23], 8
	v_add_co_u32 v16, vcc_lo, v16, s6
	s_wait_alu 0xfffe
	v_cmp_lt_i64_e64 s30, s[22:23], s[40:41]
	s_wait_alu 0xfffd
	v_add_co_ci_u32_e64 v17, null, s7, v17, vcc_lo
	v_add_co_u32 v18, vcc_lo, 0x80, v18
	s_wait_alu 0xfffd
	v_add_co_ci_u32_e64 v19, null, 0, v19, vcc_lo
	s_and_b32 vcc_lo, exec_lo, s30
	s_wait_dscnt 0xa
	v_mul_f64_e32 v[89:90], v[4:5], v[47:48]
	v_mul_f64_e32 v[91:92], v[2:3], v[47:48]
	s_wait_dscnt 0x9
	v_mul_f64_e32 v[93:94], v[4:5], v[51:52]
	v_mul_f64_e32 v[95:96], v[2:3], v[51:52]
	;; [unrolled: 3-line block ×3, first 2 shown]
	v_mul_f64_e32 v[99:100], v[55:56], v[51:52]
	v_mul_f64_e32 v[51:52], v[53:54], v[51:52]
	s_wait_dscnt 0x5
	v_mul_f64_e32 v[101:102], v[59:60], v[67:68]
	v_mul_f64_e32 v[103:104], v[57:58], v[67:68]
	s_wait_dscnt 0x4
	v_mul_f64_e32 v[105:106], v[59:60], v[71:72]
	v_mul_f64_e32 v[107:108], v[57:58], v[71:72]
	;; [unrolled: 1-line block ×6, first 2 shown]
	s_wait_dscnt 0x2
	v_mul_f64_e32 v[117:118], v[75:76], v[79:80]
	v_mul_f64_e32 v[119:120], v[73:74], v[79:80]
	s_wait_dscnt 0x1
	v_mul_f64_e32 v[121:122], v[75:76], v[83:84]
	v_mul_f64_e32 v[123:124], v[73:74], v[83:84]
	;; [unrolled: 3-line block ×3, first 2 shown]
	v_mul_f64_e32 v[127:128], v[87:88], v[83:84]
	v_mul_f64_e32 v[83:84], v[85:86], v[83:84]
	v_fma_f64 v[89:90], v[2:3], v[45:46], -v[89:90]
	v_fma_f64 v[91:92], v[4:5], v[45:46], v[91:92]
	v_fma_f64 v[93:94], v[2:3], v[49:50], -v[93:94]
	v_fma_f64 v[95:96], v[4:5], v[49:50], v[95:96]
	;; [unrolled: 2-line block ×8, first 2 shown]
	ds_load_b128 v[2:5], v37 offset:48
	ds_load_b128 v[45:48], v37 offset:2096
	;; [unrolled: 1-line block ×4, first 2 shown]
	v_fma_f64 v[117:118], v[73:74], v[77:78], -v[117:118]
	v_fma_f64 v[119:120], v[75:76], v[77:78], v[119:120]
	v_fma_f64 v[73:74], v[73:74], v[81:82], -v[121:122]
	v_fma_f64 v[75:76], v[75:76], v[81:82], v[123:124]
	;; [unrolled: 2-line block ×4, first 2 shown]
	s_wait_dscnt 0x1
	v_mul_f64_e32 v[107:108], v[2:3], v[51:52]
	s_wait_dscnt 0x0
	v_mul_f64_e32 v[109:110], v[4:5], v[55:56]
	v_mul_f64_e32 v[111:112], v[2:3], v[55:56]
	v_add_f64_e32 v[67:68], v[32:33], v[89:90]
	v_add_f64_e32 v[69:70], v[91:92], v[34:35]
	v_add_f64_e32 v[71:72], v[28:29], v[93:94]
	v_add_f64_e32 v[89:90], v[95:96], v[30:31]
	v_add_f64_e32 v[91:92], v[24:25], v[97:98]
	v_add_f64_e32 v[93:94], v[113:114], v[26:27]
	v_add_f64_e32 v[95:96], v[20:21], v[99:100]
	v_add_f64_e32 v[97:98], v[115:116], v[22:23]
	v_mul_f64_e32 v[99:100], v[4:5], v[51:52]
	v_mul_f64_e32 v[113:114], v[47:48], v[51:52]
	;; [unrolled: 1-line block ×5, first 2 shown]
	ds_load_b128 v[20:23], v37 offset:64
	ds_load_b128 v[24:27], v36 offset:2048
	;; [unrolled: 1-line block ×4, first 2 shown]
	s_wait_dscnt 0x0
	v_mul_f64_e32 v[123:124], v[34:35], v[26:27]
	v_mul_f64_e32 v[125:126], v[34:35], v[30:31]
	v_fma_f64 v[107:108], v[4:5], v[49:50], v[107:108]
	v_fma_f64 v[109:110], v[2:3], v[53:54], -v[109:110]
	v_fma_f64 v[111:112], v[4:5], v[53:54], v[111:112]
	v_add_f64_e32 v[83:84], v[67:68], v[101:102]
	v_add_f64_e32 v[85:86], v[103:104], v[69:70]
	;; [unrolled: 1-line block ×8, first 2 shown]
	v_mul_f64_e32 v[97:98], v[22:23], v[26:27]
	v_mul_f64_e32 v[101:102], v[20:21], v[26:27]
	;; [unrolled: 1-line block ×6, first 2 shown]
	v_fma_f64 v[99:100], v[2:3], v[49:50], -v[99:100]
	v_fma_f64 v[113:114], v[45:46], v[49:50], -v[113:114]
	v_fma_f64 v[127:128], v[47:48], v[49:50], v[51:52]
	v_fma_f64 v[115:116], v[45:46], v[53:54], -v[115:116]
	v_fma_f64 v[53:54], v[47:48], v[53:54], v[129:130]
	ds_load_b128 v[55:58], v37 offset:80
	ds_load_b128 v[59:62], v37 offset:2128
	;; [unrolled: 1-line block ×4, first 2 shown]
	v_fma_f64 v[123:124], v[32:33], v[24:25], -v[123:124]
	v_fma_f64 v[125:126], v[32:33], v[28:29], -v[125:126]
	v_add_f64_e32 v[83:84], v[83:84], v[117:118]
	v_add_f64_e32 v[85:86], v[119:120], v[85:86]
	;; [unrolled: 1-line block ×8, first 2 shown]
	s_wait_dscnt 0x1
	v_mul_f64_e32 v[89:90], v[57:58], v[65:66]
	v_mul_f64_e32 v[91:92], v[55:56], v[65:66]
	s_wait_dscnt 0x0
	v_mul_f64_e32 v[93:94], v[57:58], v[69:70]
	v_mul_f64_e32 v[95:96], v[55:56], v[69:70]
	;; [unrolled: 1-line block ×6, first 2 shown]
	v_fma_f64 v[97:98], v[20:21], v[24:25], -v[97:98]
	v_fma_f64 v[101:102], v[22:23], v[24:25], v[101:102]
	v_fma_f64 v[103:104], v[20:21], v[28:29], -v[103:104]
	v_fma_f64 v[105:106], v[22:23], v[28:29], v[105:106]
	v_fma_f64 v[129:130], v[34:35], v[24:25], v[26:27]
	;; [unrolled: 1-line block ×3, first 2 shown]
	ds_load_b128 v[2:5], v37 offset:96
	ds_load_b128 v[45:48], v36 offset:3072
	;; [unrolled: 1-line block ×8, first 2 shown]
	s_wait_loadcnt_dscnt 0x0
	s_barrier_signal -1
	s_barrier_wait -1
	global_inv scope:SCOPE_SE
	v_add_f64_e32 v[83:84], v[83:84], v[99:100]
	v_add_f64_e32 v[85:86], v[107:108], v[85:86]
	;; [unrolled: 1-line block ×8, first 2 shown]
	v_mul_f64_e32 v[81:82], v[4:5], v[47:48]
	v_mul_f64_e32 v[107:108], v[2:3], v[47:48]
	;; [unrolled: 1-line block ×8, first 2 shown]
	v_fma_f64 v[89:90], v[55:56], v[63:64], -v[89:90]
	v_fma_f64 v[91:92], v[57:58], v[63:64], v[91:92]
	v_fma_f64 v[55:56], v[55:56], v[67:68], -v[93:94]
	v_fma_f64 v[57:58], v[57:58], v[67:68], v[95:96]
	;; [unrolled: 2-line block ×4, first 2 shown]
	v_mul_f64_e32 v[95:96], v[22:23], v[34:35]
	v_add_f64_e32 v[65:66], v[83:84], v[97:98]
	v_add_f64_e32 v[67:68], v[101:102], v[85:86]
	;; [unrolled: 1-line block ×8, first 2 shown]
	v_mul_f64_e32 v[85:86], v[22:23], v[30:31]
	v_mul_f64_e32 v[87:88], v[20:21], v[30:31]
	;; [unrolled: 1-line block ×7, first 2 shown]
	v_fma_f64 v[81:82], v[2:3], v[45:46], -v[81:82]
	v_fma_f64 v[103:104], v[4:5], v[45:46], v[107:108]
	v_fma_f64 v[2:3], v[2:3], v[49:50], -v[109:110]
	v_fma_f64 v[4:5], v[4:5], v[49:50], v[111:112]
	;; [unrolled: 2-line block ×4, first 2 shown]
	v_add_f64_e32 v[51:52], v[65:66], v[89:90]
	v_add_f64_e32 v[65:66], v[91:92], v[67:68]
	;; [unrolled: 1-line block ×8, first 2 shown]
	v_fma_f64 v[61:62], v[20:21], v[28:29], -v[85:86]
	v_fma_f64 v[69:70], v[22:23], v[28:29], v[87:88]
	v_fma_f64 v[20:21], v[20:21], v[32:33], -v[95:96]
	v_fma_f64 v[22:23], v[22:23], v[32:33], v[97:98]
	;; [unrolled: 2-line block ×4, first 2 shown]
	v_add_f64_e32 v[24:25], v[51:52], v[81:82]
	v_add_f64_e32 v[26:27], v[103:104], v[65:66]
	;; [unrolled: 1-line block ×16, first 2 shown]
	s_wait_alu 0xfffe
	s_cbranch_vccz .LBB287_14
.LBB287_7:                              ;   Parent Loop BB287_4 Depth=1
                                        ; =>  This Inner Loop Header: Depth=2
	s_wait_alu 0xfffe
	v_add_co_u32 v2, s30, v38, s22
	s_wait_alu 0xf1ff
	v_add_co_ci_u32_e64 v3, null, 0, s23, s30
	v_mov_b32_e32 v4, 0
	v_mov_b32_e32 v5, 0
	s_delay_alu instid0(VALU_DEP_3)
	v_cmp_gt_i64_e32 vcc_lo, s[40:41], v[2:3]
	v_mov_b32_e32 v2, 0
	v_mov_b32_e32 v3, 0
	s_and_b32 s31, s0, vcc_lo
	s_wait_alu 0xfffe
	s_and_saveexec_b32 s30, s31
	s_cbranch_execz .LBB287_9
; %bb.8:                                ;   in Loop: Header=BB287_7 Depth=2
	flat_load_b128 v[2:5], v[18:19] offset:-8
	s_wait_loadcnt_dscnt 0x0
	v_xor_b32_e32 v5, 0x80000000, v5
.LBB287_9:                              ;   in Loop: Header=BB287_7 Depth=2
	s_wait_alu 0xfffe
	s_or_b32 exec_lo, exec_lo, s30
	v_add_co_u32 v45, s30, v0, s22
	s_wait_alu 0xf1ff
	v_add_co_ci_u32_e64 v46, null, 0, s23, s30
	ds_store_b128 v39, v[2:5]
	v_cmp_le_i64_e32 vcc_lo, s[40:41], v[45:46]
	s_or_b32 s30, vcc_lo, s35
	s_wait_alu 0xfffe
	s_and_saveexec_b32 s31, s30
	s_wait_alu 0xfffe
	s_xor_b32 s30, exec_lo, s31
; %bb.10:                               ;   in Loop: Header=BB287_7 Depth=2
	v_dual_mov_b32 v2, v1 :: v_dual_mov_b32 v3, v1
	v_mov_b32_e32 v4, v1
	ds_store_b128 v40, v[1:4]
; %bb.11:                               ;   in Loop: Header=BB287_7 Depth=2
	s_wait_alu 0xfffe
	s_and_not1_saveexec_b32 s30, s30
	s_cbranch_execz .LBB287_6
; %bb.12:                               ;   in Loop: Header=BB287_7 Depth=2
	flat_load_b128 v[2:5], v[16:17]
	s_wait_loadcnt_dscnt 0x0
	ds_store_2addr_b64 v40, v[2:3], v[4:5] offset1:1
	s_branch .LBB287_6
.LBB287_13:                             ;   in Loop: Header=BB287_4 Depth=1
	v_mov_b32_e32 v32, 0
	v_mov_b32_e32 v28, 0
	;; [unrolled: 1-line block ×3, first 2 shown]
	v_dual_mov_b32 v20, 0 :: v_dual_mov_b32 v33, 0
	v_dual_mov_b32 v34, 0 :: v_dual_mov_b32 v29, 0
	;; [unrolled: 1-line block ×5, first 2 shown]
	v_mov_b32_e32 v31, 0
	v_mov_b32_e32 v27, 0
	;; [unrolled: 1-line block ×3, first 2 shown]
.LBB287_14:                             ;   in Loop: Header=BB287_4 Depth=1
	s_wait_loadcnt 0x0
	v_add_co_u32 v4, vcc_lo, v14, s10
	s_wait_alu 0xfffd
	v_add_co_ci_u32_e64 v5, null, s11, v15, vcc_lo
	s_and_not1_b32 vcc_lo, exec_lo, s34
	s_mov_b32 s22, -1
	s_wait_alu 0xfffe
	s_cbranch_vccz .LBB287_16
; %bb.15:                               ;   in Loop: Header=BB287_4 Depth=1
	s_and_not1_b32 vcc_lo, exec_lo, s22
	s_wait_alu 0xfffe
	s_cbranch_vccnz .LBB287_3
	s_branch .LBB287_27
.LBB287_16:                             ;   in Loop: Header=BB287_4 Depth=1
	s_and_saveexec_b32 s22, s1
	s_cbranch_execz .LBB287_26
; %bb.17:                               ;   in Loop: Header=BB287_4 Depth=1
	v_lshlrev_b64_e32 v[2:3], 4, v[8:9]
	s_delay_alu instid0(VALU_DEP_1) | instskip(SKIP_1) | instid1(VALU_DEP_2)
	v_add_co_u32 v2, vcc_lo, v4, v2
	s_wait_alu 0xfffd
	v_add_co_ci_u32_e64 v3, null, v5, v3, vcc_lo
	s_and_saveexec_b32 s23, s2
	s_cbranch_execnz .LBB287_20
; %bb.18:                               ;   in Loop: Header=BB287_4 Depth=1
	s_wait_alu 0xfffe
	s_or_b32 exec_lo, exec_lo, s23
	s_and_saveexec_b32 s23, s3
	s_cbranch_execnz .LBB287_21
.LBB287_19:                             ;   in Loop: Header=BB287_4 Depth=1
	s_wait_alu 0xfffe
	s_or_b32 exec_lo, exec_lo, s23
	s_delay_alu instid0(SALU_CYCLE_1)
	s_and_b32 exec_lo, exec_lo, s4
	s_cbranch_execnz .LBB287_22
	s_branch .LBB287_26
.LBB287_20:                             ;   in Loop: Header=BB287_4 Depth=1
	v_mul_f64_e32 v[14:15], s[44:45], v[34:35]
	v_mul_f64_e32 v[16:17], s[42:43], v[34:35]
	v_lshlrev_b64_e32 v[18:19], 4, v[6:7]
	s_delay_alu instid0(VALU_DEP_1) | instskip(SKIP_1) | instid1(VALU_DEP_2)
	v_add_co_u32 v18, vcc_lo, v2, v18
	s_wait_alu 0xfffd
	v_add_co_ci_u32_e64 v19, null, v3, v19, vcc_lo
	v_fma_f64 v[14:15], s[42:43], v[32:33], -v[14:15]
	v_fma_f64 v[16:17], s[44:45], v[32:33], v[16:17]
	flat_store_b128 v[18:19], v[14:17]
	s_wait_alu 0xfffe
	s_or_b32 exec_lo, exec_lo, s23
	s_and_saveexec_b32 s23, s3
	s_cbranch_execz .LBB287_19
.LBB287_21:                             ;   in Loop: Header=BB287_4 Depth=1
	v_mul_f64_e32 v[14:15], s[44:45], v[30:31]
	v_mul_f64_e32 v[16:17], s[42:43], v[30:31]
	v_lshlrev_b64_e32 v[18:19], 4, v[6:7]
	s_delay_alu instid0(VALU_DEP_1) | instskip(SKIP_1) | instid1(VALU_DEP_2)
	v_add_co_u32 v18, vcc_lo, v2, v18
	s_wait_alu 0xfffd
	v_add_co_ci_u32_e64 v19, null, v3, v19, vcc_lo
	v_fma_f64 v[14:15], s[42:43], v[28:29], -v[14:15]
	v_fma_f64 v[16:17], s[44:45], v[28:29], v[16:17]
	flat_store_b128 v[18:19], v[14:17] offset:256
	s_wait_alu 0xfffe
	s_or_b32 exec_lo, exec_lo, s23
	s_delay_alu instid0(SALU_CYCLE_1)
	s_and_b32 exec_lo, exec_lo, s4
	s_cbranch_execz .LBB287_26
.LBB287_22:                             ;   in Loop: Header=BB287_4 Depth=1
	s_lshl_b64 s[30:31], s[26:27], 4
	v_lshlrev_b64_e32 v[14:15], 4, v[6:7]
	s_wait_alu 0xfffe
	v_add_co_u32 v2, vcc_lo, v2, s30
	s_wait_alu 0xfffd
	v_add_co_ci_u32_e64 v3, null, s31, v3, vcc_lo
	s_delay_alu instid0(VALU_DEP_2) | instskip(SKIP_1) | instid1(VALU_DEP_2)
	v_add_co_u32 v2, vcc_lo, v2, v14
	s_wait_alu 0xfffd
	v_add_co_ci_u32_e64 v3, null, v3, v15, vcc_lo
	s_and_saveexec_b32 s23, s2
	s_cbranch_execz .LBB287_24
; %bb.23:                               ;   in Loop: Header=BB287_4 Depth=1
	v_mul_f64_e32 v[14:15], s[44:45], v[26:27]
	v_mul_f64_e32 v[16:17], s[42:43], v[26:27]
	s_delay_alu instid0(VALU_DEP_2) | instskip(NEXT) | instid1(VALU_DEP_2)
	v_fma_f64 v[14:15], s[42:43], v[24:25], -v[14:15]
	v_fma_f64 v[16:17], s[44:45], v[24:25], v[16:17]
	flat_store_b128 v[2:3], v[14:17]
.LBB287_24:                             ;   in Loop: Header=BB287_4 Depth=1
	s_wait_alu 0xfffe
	s_or_b32 exec_lo, exec_lo, s23
	s_delay_alu instid0(SALU_CYCLE_1)
	s_and_b32 exec_lo, exec_lo, s3
	s_cbranch_execz .LBB287_26
; %bb.25:                               ;   in Loop: Header=BB287_4 Depth=1
	v_mul_f64_e32 v[14:15], s[44:45], v[22:23]
	v_mul_f64_e32 v[16:17], s[42:43], v[22:23]
	s_delay_alu instid0(VALU_DEP_2) | instskip(NEXT) | instid1(VALU_DEP_2)
	v_fma_f64 v[14:15], s[42:43], v[20:21], -v[14:15]
	v_fma_f64 v[16:17], s[44:45], v[20:21], v[16:17]
	flat_store_b128 v[2:3], v[14:17] offset:256
.LBB287_26:                             ;   in Loop: Header=BB287_4 Depth=1
	s_wait_alu 0xfffe
	s_or_b32 exec_lo, exec_lo, s22
	s_cbranch_execnz .LBB287_3
.LBB287_27:                             ;   in Loop: Header=BB287_4 Depth=1
	s_and_saveexec_b32 s22, s1
	s_cbranch_execz .LBB287_2
; %bb.28:                               ;   in Loop: Header=BB287_4 Depth=1
	v_add_co_u32 v2, vcc_lo, v12, s12
	v_lshlrev_b64_e32 v[14:15], 4, v[8:9]
	s_wait_alu 0xfffd
	v_add_co_ci_u32_e64 v3, null, s13, v13, vcc_lo
	s_delay_alu instid0(VALU_DEP_3) | instskip(SKIP_1) | instid1(VALU_DEP_2)
	v_add_co_u32 v12, vcc_lo, v2, v10
	s_wait_alu 0xfffd
	v_add_co_ci_u32_e64 v13, null, v3, v11, vcc_lo
	v_add_co_u32 v4, vcc_lo, v4, v14
	v_lshlrev_b64_e32 v[2:3], 4, v[6:7]
	s_wait_alu 0xfffd
	v_add_co_ci_u32_e64 v5, null, v5, v15, vcc_lo
	s_and_saveexec_b32 s23, s2
	s_cbranch_execnz .LBB287_31
; %bb.29:                               ;   in Loop: Header=BB287_4 Depth=1
	s_wait_alu 0xfffe
	s_or_b32 exec_lo, exec_lo, s23
	s_and_saveexec_b32 s23, s3
	s_cbranch_execnz .LBB287_32
.LBB287_30:                             ;   in Loop: Header=BB287_4 Depth=1
	s_wait_alu 0xfffe
	s_or_b32 exec_lo, exec_lo, s23
	s_delay_alu instid0(SALU_CYCLE_1)
	s_and_b32 exec_lo, exec_lo, s4
	s_cbranch_execz .LBB287_2
	s_branch .LBB287_33
.LBB287_31:                             ;   in Loop: Header=BB287_4 Depth=1
	v_add_co_u32 v14, vcc_lo, v12, v2
	s_wait_alu 0xfffd
	v_add_co_ci_u32_e64 v15, null, v13, v3, vcc_lo
	v_mul_f64_e32 v[18:19], s[44:45], v[34:35]
	v_mul_f64_e32 v[34:35], s[42:43], v[34:35]
	flat_load_b128 v[14:17], v[14:15]
	v_fma_f64 v[18:19], s[42:43], v[32:33], -v[18:19]
	v_fma_f64 v[32:33], s[44:45], v[32:33], v[34:35]
	s_wait_loadcnt_dscnt 0x0
	v_mul_f64_e32 v[45:46], s[16:17], v[16:17]
	v_mul_f64_e32 v[16:17], s[14:15], v[16:17]
	s_delay_alu instid0(VALU_DEP_2) | instskip(NEXT) | instid1(VALU_DEP_2)
	v_fma_f64 v[34:35], s[14:15], v[14:15], -v[45:46]
	v_fma_f64 v[16:17], s[16:17], v[14:15], v[16:17]
	s_delay_alu instid0(VALU_DEP_2) | instskip(NEXT) | instid1(VALU_DEP_2)
	v_add_f64_e32 v[14:15], v[18:19], v[34:35]
	v_add_f64_e32 v[16:17], v[32:33], v[16:17]
	v_add_co_u32 v18, vcc_lo, v4, v2
	s_wait_alu 0xfffd
	v_add_co_ci_u32_e64 v19, null, v5, v3, vcc_lo
	flat_store_b128 v[18:19], v[14:17]
	s_wait_alu 0xfffe
	s_or_b32 exec_lo, exec_lo, s23
	s_and_saveexec_b32 s23, s3
	s_cbranch_execz .LBB287_30
.LBB287_32:                             ;   in Loop: Header=BB287_4 Depth=1
	v_add_co_u32 v14, vcc_lo, v12, v2
	s_wait_alu 0xfffd
	v_add_co_ci_u32_e64 v15, null, v13, v3, vcc_lo
	v_mul_f64_e32 v[18:19], s[44:45], v[30:31]
	v_mul_f64_e32 v[30:31], s[42:43], v[30:31]
	flat_load_b128 v[14:17], v[14:15] offset:256
	v_fma_f64 v[18:19], s[42:43], v[28:29], -v[18:19]
	v_fma_f64 v[28:29], s[44:45], v[28:29], v[30:31]
	s_wait_loadcnt_dscnt 0x0
	v_mul_f64_e32 v[32:33], s[16:17], v[16:17]
	v_mul_f64_e32 v[16:17], s[14:15], v[16:17]
	s_delay_alu instid0(VALU_DEP_2) | instskip(NEXT) | instid1(VALU_DEP_2)
	v_fma_f64 v[30:31], s[14:15], v[14:15], -v[32:33]
	v_fma_f64 v[16:17], s[16:17], v[14:15], v[16:17]
	s_delay_alu instid0(VALU_DEP_2) | instskip(NEXT) | instid1(VALU_DEP_2)
	v_add_f64_e32 v[14:15], v[18:19], v[30:31]
	v_add_f64_e32 v[16:17], v[28:29], v[16:17]
	v_add_co_u32 v18, vcc_lo, v4, v2
	s_wait_alu 0xfffd
	v_add_co_ci_u32_e64 v19, null, v5, v3, vcc_lo
	flat_store_b128 v[18:19], v[14:17] offset:256
	s_wait_alu 0xfffe
	s_or_b32 exec_lo, exec_lo, s23
	s_delay_alu instid0(SALU_CYCLE_1)
	s_and_b32 exec_lo, exec_lo, s4
	s_cbranch_execz .LBB287_2
.LBB287_33:                             ;   in Loop: Header=BB287_4 Depth=1
	v_add_co_u32 v12, vcc_lo, v12, s20
	s_lshl_b64 s[30:31], s[26:27], 4
	s_wait_alu 0xfffd
	v_add_co_ci_u32_e64 v13, null, s21, v13, vcc_lo
	s_wait_alu 0xfffe
	v_add_co_u32 v14, vcc_lo, v4, s30
	s_wait_alu 0xfffd
	v_add_co_ci_u32_e64 v15, null, s31, v5, vcc_lo
	v_add_co_u32 v4, vcc_lo, v12, v2
	s_wait_alu 0xfffd
	v_add_co_ci_u32_e64 v5, null, v13, v3, vcc_lo
	;; [unrolled: 3-line block ×3, first 2 shown]
	s_and_saveexec_b32 s23, s2
	s_cbranch_execz .LBB287_35
; %bb.34:                               ;   in Loop: Header=BB287_4 Depth=1
	flat_load_b128 v[12:15], v[4:5]
	v_mul_f64_e32 v[16:17], s[44:45], v[26:27]
	v_mul_f64_e32 v[18:19], s[42:43], v[26:27]
	s_delay_alu instid0(VALU_DEP_2) | instskip(NEXT) | instid1(VALU_DEP_2)
	v_fma_f64 v[16:17], s[42:43], v[24:25], -v[16:17]
	v_fma_f64 v[18:19], s[44:45], v[24:25], v[18:19]
	s_wait_loadcnt_dscnt 0x0
	v_mul_f64_e32 v[26:27], s[16:17], v[14:15]
	v_mul_f64_e32 v[14:15], s[14:15], v[14:15]
	s_delay_alu instid0(VALU_DEP_2) | instskip(NEXT) | instid1(VALU_DEP_2)
	v_fma_f64 v[24:25], s[14:15], v[12:13], -v[26:27]
	v_fma_f64 v[14:15], s[16:17], v[12:13], v[14:15]
	s_delay_alu instid0(VALU_DEP_2) | instskip(NEXT) | instid1(VALU_DEP_2)
	v_add_f64_e32 v[12:13], v[16:17], v[24:25]
	v_add_f64_e32 v[14:15], v[18:19], v[14:15]
	flat_store_b128 v[2:3], v[12:15]
.LBB287_35:                             ;   in Loop: Header=BB287_4 Depth=1
	s_wait_alu 0xfffe
	s_or_b32 exec_lo, exec_lo, s23
	s_delay_alu instid0(SALU_CYCLE_1)
	s_and_b32 exec_lo, exec_lo, s3
	s_cbranch_execz .LBB287_2
; %bb.36:                               ;   in Loop: Header=BB287_4 Depth=1
	flat_load_b128 v[12:15], v[4:5] offset:256
	v_mul_f64_e32 v[4:5], s[44:45], v[22:23]
	v_mul_f64_e32 v[16:17], s[42:43], v[22:23]
	s_delay_alu instid0(VALU_DEP_2) | instskip(NEXT) | instid1(VALU_DEP_2)
	v_fma_f64 v[4:5], s[42:43], v[20:21], -v[4:5]
	v_fma_f64 v[16:17], s[44:45], v[20:21], v[16:17]
	s_wait_loadcnt_dscnt 0x0
	v_mul_f64_e32 v[18:19], s[16:17], v[14:15]
	v_mul_f64_e32 v[14:15], s[14:15], v[14:15]
	s_delay_alu instid0(VALU_DEP_2) | instskip(NEXT) | instid1(VALU_DEP_2)
	v_fma_f64 v[18:19], s[14:15], v[12:13], -v[18:19]
	v_fma_f64 v[14:15], s[16:17], v[12:13], v[14:15]
	s_delay_alu instid0(VALU_DEP_2) | instskip(NEXT) | instid1(VALU_DEP_2)
	v_add_f64_e32 v[12:13], v[4:5], v[18:19]
	v_add_f64_e32 v[14:15], v[16:17], v[14:15]
	flat_store_b128 v[2:3], v[12:15] offset:256
	s_branch .LBB287_2
.LBB287_37:
	s_nop 0
	s_sendmsg sendmsg(MSG_DEALLOC_VGPRS)
	s_endpgm
	.section	.rodata,"a",@progbits
	.p2align	6, 0x0
	.amdhsa_kernel _ZN12_GLOBAL__N_135rocblas_gemm_batched_general_kernelI19rocblas_complex_numIdELi16ELi16ELi32ELi32ELi8ELi32ELi8ELi8ELi32ELc67ELc84EKPKS2_S5_KPS2_EEvlllT_PT11_llSA_llS8_PT12_llPT13_lli
		.amdhsa_group_segment_fixed_size 8192
		.amdhsa_private_segment_fixed_size 0
		.amdhsa_kernarg_size 156
		.amdhsa_user_sgpr_count 2
		.amdhsa_user_sgpr_dispatch_ptr 0
		.amdhsa_user_sgpr_queue_ptr 0
		.amdhsa_user_sgpr_kernarg_segment_ptr 1
		.amdhsa_user_sgpr_dispatch_id 0
		.amdhsa_user_sgpr_private_segment_size 0
		.amdhsa_wavefront_size32 1
		.amdhsa_uses_dynamic_stack 0
		.amdhsa_enable_private_segment 0
		.amdhsa_system_sgpr_workgroup_id_x 1
		.amdhsa_system_sgpr_workgroup_id_y 1
		.amdhsa_system_sgpr_workgroup_id_z 1
		.amdhsa_system_sgpr_workgroup_info 0
		.amdhsa_system_vgpr_workitem_id 1
		.amdhsa_next_free_vgpr 133
		.amdhsa_next_free_sgpr 52
		.amdhsa_reserve_vcc 1
		.amdhsa_float_round_mode_32 0
		.amdhsa_float_round_mode_16_64 0
		.amdhsa_float_denorm_mode_32 3
		.amdhsa_float_denorm_mode_16_64 3
		.amdhsa_fp16_overflow 0
		.amdhsa_workgroup_processor_mode 1
		.amdhsa_memory_ordered 1
		.amdhsa_forward_progress 1
		.amdhsa_inst_pref_size 30
		.amdhsa_round_robin_scheduling 0
		.amdhsa_exception_fp_ieee_invalid_op 0
		.amdhsa_exception_fp_denorm_src 0
		.amdhsa_exception_fp_ieee_div_zero 0
		.amdhsa_exception_fp_ieee_overflow 0
		.amdhsa_exception_fp_ieee_underflow 0
		.amdhsa_exception_fp_ieee_inexact 0
		.amdhsa_exception_int_div_zero 0
	.end_amdhsa_kernel
	.section	.text._ZN12_GLOBAL__N_135rocblas_gemm_batched_general_kernelI19rocblas_complex_numIdELi16ELi16ELi32ELi32ELi8ELi32ELi8ELi8ELi32ELc67ELc84EKPKS2_S5_KPS2_EEvlllT_PT11_llSA_llS8_PT12_llPT13_lli,"axG",@progbits,_ZN12_GLOBAL__N_135rocblas_gemm_batched_general_kernelI19rocblas_complex_numIdELi16ELi16ELi32ELi32ELi8ELi32ELi8ELi8ELi32ELc67ELc84EKPKS2_S5_KPS2_EEvlllT_PT11_llSA_llS8_PT12_llPT13_lli,comdat
.Lfunc_end287:
	.size	_ZN12_GLOBAL__N_135rocblas_gemm_batched_general_kernelI19rocblas_complex_numIdELi16ELi16ELi32ELi32ELi8ELi32ELi8ELi8ELi32ELc67ELc84EKPKS2_S5_KPS2_EEvlllT_PT11_llSA_llS8_PT12_llPT13_lli, .Lfunc_end287-_ZN12_GLOBAL__N_135rocblas_gemm_batched_general_kernelI19rocblas_complex_numIdELi16ELi16ELi32ELi32ELi8ELi32ELi8ELi8ELi32ELc67ELc84EKPKS2_S5_KPS2_EEvlllT_PT11_llSA_llS8_PT12_llPT13_lli
                                        ; -- End function
	.set _ZN12_GLOBAL__N_135rocblas_gemm_batched_general_kernelI19rocblas_complex_numIdELi16ELi16ELi32ELi32ELi8ELi32ELi8ELi8ELi32ELc67ELc84EKPKS2_S5_KPS2_EEvlllT_PT11_llSA_llS8_PT12_llPT13_lli.num_vgpr, 133
	.set _ZN12_GLOBAL__N_135rocblas_gemm_batched_general_kernelI19rocblas_complex_numIdELi16ELi16ELi32ELi32ELi8ELi32ELi8ELi8ELi32ELc67ELc84EKPKS2_S5_KPS2_EEvlllT_PT11_llSA_llS8_PT12_llPT13_lli.num_agpr, 0
	.set _ZN12_GLOBAL__N_135rocblas_gemm_batched_general_kernelI19rocblas_complex_numIdELi16ELi16ELi32ELi32ELi8ELi32ELi8ELi8ELi32ELc67ELc84EKPKS2_S5_KPS2_EEvlllT_PT11_llSA_llS8_PT12_llPT13_lli.numbered_sgpr, 52
	.set _ZN12_GLOBAL__N_135rocblas_gemm_batched_general_kernelI19rocblas_complex_numIdELi16ELi16ELi32ELi32ELi8ELi32ELi8ELi8ELi32ELc67ELc84EKPKS2_S5_KPS2_EEvlllT_PT11_llSA_llS8_PT12_llPT13_lli.num_named_barrier, 0
	.set _ZN12_GLOBAL__N_135rocblas_gemm_batched_general_kernelI19rocblas_complex_numIdELi16ELi16ELi32ELi32ELi8ELi32ELi8ELi8ELi32ELc67ELc84EKPKS2_S5_KPS2_EEvlllT_PT11_llSA_llS8_PT12_llPT13_lli.private_seg_size, 0
	.set _ZN12_GLOBAL__N_135rocblas_gemm_batched_general_kernelI19rocblas_complex_numIdELi16ELi16ELi32ELi32ELi8ELi32ELi8ELi8ELi32ELc67ELc84EKPKS2_S5_KPS2_EEvlllT_PT11_llSA_llS8_PT12_llPT13_lli.uses_vcc, 1
	.set _ZN12_GLOBAL__N_135rocblas_gemm_batched_general_kernelI19rocblas_complex_numIdELi16ELi16ELi32ELi32ELi8ELi32ELi8ELi8ELi32ELc67ELc84EKPKS2_S5_KPS2_EEvlllT_PT11_llSA_llS8_PT12_llPT13_lli.uses_flat_scratch, 0
	.set _ZN12_GLOBAL__N_135rocblas_gemm_batched_general_kernelI19rocblas_complex_numIdELi16ELi16ELi32ELi32ELi8ELi32ELi8ELi8ELi32ELc67ELc84EKPKS2_S5_KPS2_EEvlllT_PT11_llSA_llS8_PT12_llPT13_lli.has_dyn_sized_stack, 0
	.set _ZN12_GLOBAL__N_135rocblas_gemm_batched_general_kernelI19rocblas_complex_numIdELi16ELi16ELi32ELi32ELi8ELi32ELi8ELi8ELi32ELc67ELc84EKPKS2_S5_KPS2_EEvlllT_PT11_llSA_llS8_PT12_llPT13_lli.has_recursion, 0
	.set _ZN12_GLOBAL__N_135rocblas_gemm_batched_general_kernelI19rocblas_complex_numIdELi16ELi16ELi32ELi32ELi8ELi32ELi8ELi8ELi32ELc67ELc84EKPKS2_S5_KPS2_EEvlllT_PT11_llSA_llS8_PT12_llPT13_lli.has_indirect_call, 0
	.section	.AMDGPU.csdata,"",@progbits
; Kernel info:
; codeLenInByte = 3840
; TotalNumSgprs: 54
; NumVgprs: 133
; ScratchSize: 0
; MemoryBound: 1
; FloatMode: 240
; IeeeMode: 1
; LDSByteSize: 8192 bytes/workgroup (compile time only)
; SGPRBlocks: 0
; VGPRBlocks: 16
; NumSGPRsForWavesPerEU: 54
; NumVGPRsForWavesPerEU: 133
; Occupancy: 10
; WaveLimiterHint : 1
; COMPUTE_PGM_RSRC2:SCRATCH_EN: 0
; COMPUTE_PGM_RSRC2:USER_SGPR: 2
; COMPUTE_PGM_RSRC2:TRAP_HANDLER: 0
; COMPUTE_PGM_RSRC2:TGID_X_EN: 1
; COMPUTE_PGM_RSRC2:TGID_Y_EN: 1
; COMPUTE_PGM_RSRC2:TGID_Z_EN: 1
; COMPUTE_PGM_RSRC2:TIDIG_COMP_CNT: 1
	.section	.text._ZN12_GLOBAL__N_135rocblas_gemm_batched_general_kernelI19rocblas_complex_numIdELi16ELi16ELi32ELi32ELi8ELi32ELi8ELi8ELi32ELc78ELc67EKPKS2_S5_KPS2_EEvlllT_PT11_llSA_llS8_PT12_llPT13_lli,"axG",@progbits,_ZN12_GLOBAL__N_135rocblas_gemm_batched_general_kernelI19rocblas_complex_numIdELi16ELi16ELi32ELi32ELi8ELi32ELi8ELi8ELi32ELc78ELc67EKPKS2_S5_KPS2_EEvlllT_PT11_llSA_llS8_PT12_llPT13_lli,comdat
	.globl	_ZN12_GLOBAL__N_135rocblas_gemm_batched_general_kernelI19rocblas_complex_numIdELi16ELi16ELi32ELi32ELi8ELi32ELi8ELi8ELi32ELc78ELc67EKPKS2_S5_KPS2_EEvlllT_PT11_llSA_llS8_PT12_llPT13_lli ; -- Begin function _ZN12_GLOBAL__N_135rocblas_gemm_batched_general_kernelI19rocblas_complex_numIdELi16ELi16ELi32ELi32ELi8ELi32ELi8ELi8ELi32ELc78ELc67EKPKS2_S5_KPS2_EEvlllT_PT11_llSA_llS8_PT12_llPT13_lli
	.p2align	8
	.type	_ZN12_GLOBAL__N_135rocblas_gemm_batched_general_kernelI19rocblas_complex_numIdELi16ELi16ELi32ELi32ELi8ELi32ELi8ELi8ELi32ELc78ELc67EKPKS2_S5_KPS2_EEvlllT_PT11_llSA_llS8_PT12_llPT13_lli,@function
_ZN12_GLOBAL__N_135rocblas_gemm_batched_general_kernelI19rocblas_complex_numIdELi16ELi16ELi32ELi32ELi8ELi32ELi8ELi8ELi32ELc78ELc67EKPKS2_S5_KPS2_EEvlllT_PT11_llSA_llS8_PT12_llPT13_lli: ; @_ZN12_GLOBAL__N_135rocblas_gemm_batched_general_kernelI19rocblas_complex_numIdELi16ELi16ELi32ELi32ELi8ELi32ELi8ELi8ELi32ELc78ELc67EKPKS2_S5_KPS2_EEvlllT_PT11_llSA_llS8_PT12_llPT13_lli
; %bb.0:
	s_load_b32 s33, s[0:1], 0x98
	s_lshr_b32 s6, ttmp7, 16
	s_wait_kmcnt 0x0
	s_cmp_ge_i32 s6, s33
	s_cbranch_scc1 .LBB288_37
; %bb.1:
	s_clause 0x3
	s_load_b512 s[8:23], s[0:1], 0x40
	s_load_b512 s[36:51], s[0:1], 0x0
	s_load_b64 s[30:31], s[0:1], 0x90
	s_load_b128 s[24:27], s[0:1], 0x80
	v_bfe_u32 v2, v0, 10, 10
	v_dual_mov_b32 v1, 0 :: v_dual_and_b32 v6, 0x3ff, v0
	s_mov_b32 s28, ttmp9
	s_ashr_i32 s29, ttmp9, 31
	s_and_b32 s5, ttmp7, 0xffff
	s_lshl_b64 s[0:1], s[28:29], 5
	v_lshl_add_u32 v8, v2, 4, v6
	v_dual_mov_b32 v3, s1 :: v_dual_and_b32 v0, 7, v0
	s_lshl_b32 s2, s5, 5
	v_lshlrev_b32_e32 v36, 4, v6
	s_delay_alu instid0(VALU_DEP_3) | instskip(SKIP_2) | instid1(VALU_DEP_1)
	v_lshrrev_b32_e32 v38, 5, v8
	v_and_b32_e32 v12, 31, v8
	v_add_co_u32 v4, s34, s2, v2
	v_add_co_ci_u32_e64 v5, null, 0, 0, s34
	v_add_co_u32 v6, s34, s0, v6
	v_lshrrev_b32_e32 v20, 3, v8
	s_wait_kmcnt 0x0
	v_mad_co_u64_u32 v[18:19], null, s48, v38, 0
	v_lshlrev_b32_e32 v9, 4, v0
	v_lshl_add_u32 v37, v2, 7, 0x1000
	s_wait_alu 0xf1ff
	v_add_co_ci_u32_e64 v7, null, s1, 0, s34
	v_or_b32_e32 v2, s0, v12
	v_cmp_eq_f64_e64 s3, s[14:15], 0
	v_cmp_eq_f64_e64 s4, s[16:17], 0
	v_add_co_u32 v10, vcc_lo, v6, 16
	v_lshl_or_b32 v14, v20, 7, v9
	v_mad_co_u64_u32 v[8:9], null, v4, s26, 0
	v_add_co_ci_u32_e64 v11, null, 0, v7, vcc_lo
	v_cmp_gt_i64_e32 vcc_lo, s[36:37], v[2:3]
	v_mad_co_u64_u32 v[2:3], null, s10, v0, 0
	v_add_nc_u32_e32 v40, 0x1000, v14
	v_mad_co_u64_u32 v[14:15], null, v4, s27, v[9:10]
	v_cmp_gt_i64_e64 s1, s[38:39], v[4:5]
	s_mov_b32 s7, 0
	s_lshl_b64 s[12:13], s[12:13], 4
	v_mad_co_u64_u32 v[15:16], null, s11, v0, v[3:4]
	s_lshl_b64 s[26:27], s[26:27], 4
	s_lshl_b64 s[10:11], s[10:11], 7
	s_xor_b32 s35, vcc_lo, -1
	s_lshl_b64 s[22:23], s[22:23], 4
	v_mov_b32_e32 v3, v15
	v_lshlrev_b32_e32 v21, 4, v12
	v_add_co_u32 v12, s0, v20, s2
	s_wait_alu 0xf1ff
	v_add_co_ci_u32_e64 v13, null, 0, 0, s0
	v_lshlrev_b64_e32 v[2:3], 4, v[2:3]
	v_cmp_gt_i64_e64 s2, s[36:37], v[6:7]
	v_lshl_or_b32 v39, v38, 9, v21
	s_delay_alu instid0(VALU_DEP_4)
	v_cmp_gt_i64_e64 s0, s[38:39], v[12:13]
	v_mad_co_u64_u32 v[12:13], null, v4, s20, 0
	s_and_b32 s34, s3, s4
	v_add_co_u32 v16, s3, v4, 16
	s_wait_alu 0xf1ff
	v_add_co_ci_u32_e64 v17, null, 0, v5, s3
	v_mov_b32_e32 v9, v13
	v_cmp_gt_i64_e64 s3, s[36:37], v[10:11]
	s_lshl_b32 s36, s5, 9
	s_mov_b32 s37, s7
	v_cmp_gt_i64_e64 s4, s[38:39], v[16:17]
	v_mad_co_u64_u32 v[4:5], null, v4, s21, v[9:10]
	s_wait_alu 0xfffe
	s_add_nc_u64 s[12:13], s[12:13], s[36:37]
	s_lshl_b64 s[38:39], s[20:21], 4
	v_add_co_u32 v2, s5, s12, v2
	s_delay_alu instid0(VALU_DEP_1) | instskip(NEXT) | instid1(VALU_DEP_3)
	v_add_co_ci_u32_e64 v3, null, s13, v3, s5
	v_dual_mov_b32 v13, v4 :: v_dual_mov_b32 v4, v19
	s_lshl_b64 s[12:13], s[28:29], 9
	s_lshl_b64 s[20:21], s[50:51], 4
	v_mov_b32_e32 v9, v14
	s_wait_alu 0xfffe
	s_add_nc_u64 s[12:13], s[20:21], s[12:13]
	v_mad_co_u64_u32 v[4:5], null, s49, v38, v[4:5]
	v_lshlrev_b32_e32 v5, 4, v20
	v_lshlrev_b64_e32 v[10:11], 4, v[12:13]
	s_lshl_b64 s[20:21], s[30:31], 4
	s_lshl_b64 s[28:29], s[38:39], 4
	s_delay_alu instid0(VALU_DEP_3) | instskip(SKIP_3) | instid1(VALU_DEP_3)
	v_mov_b32_e32 v19, v4
	v_add_co_u32 v4, s5, v2, v5
	s_wait_alu 0xf1ff
	v_add_co_ci_u32_e64 v41, null, 0, v3, s5
	v_lshlrev_b64_e32 v[2:3], 4, v[18:19]
	s_delay_alu instid0(VALU_DEP_3) | instskip(SKIP_1) | instid1(VALU_DEP_2)
	v_or_b32_e32 v42, 8, v4
	s_wait_alu 0xfffe
	v_add_co_u32 v2, s5, s12, v2
	s_wait_alu 0xf1ff
	s_delay_alu instid0(VALU_DEP_3)
	v_add_co_ci_u32_e64 v3, null, s13, v3, s5
	s_lshl_b64 s[12:13], s[48:49], 7
	v_add_co_u32 v43, s5, v2, v21
	s_wait_alu 0xf1ff
	v_add_co_ci_u32_e64 v44, null, 0, v3, s5
	v_cmp_gt_i64_e64 s5, s[40:41], 0
	s_branch .LBB288_4
.LBB288_2:                              ;   in Loop: Header=BB288_4 Depth=1
	s_wait_alu 0xfffe
	s_or_b32 exec_lo, exec_lo, s30
.LBB288_3:                              ;   in Loop: Header=BB288_4 Depth=1
	s_add_co_i32 s6, s6, 0x10000
	s_delay_alu instid0(SALU_CYCLE_1)
	s_cmp_lt_i32 s6, s33
	s_cbranch_scc0 .LBB288_37
.LBB288_4:                              ; =>This Loop Header: Depth=1
                                        ;     Child Loop BB288_7 Depth 2
	s_lshl_b64 s[30:31], s[6:7], 3
	s_delay_alu instid0(VALU_DEP_1)
	s_and_not1_b32 vcc_lo, exec_lo, s5
	s_wait_alu 0xfffe
	s_add_nc_u64 s[36:37], s[18:19], s[30:31]
	s_add_nc_u64 s[38:39], s[24:25], s[30:31]
	s_clause 0x1
	global_load_b64 v[12:13], v1, s[36:37]
	global_load_b64 v[14:15], v1, s[38:39]
	s_cbranch_vccnz .LBB288_13
; %bb.5:                                ;   in Loop: Header=BB288_4 Depth=1
	s_add_nc_u64 s[36:37], s[8:9], s[30:31]
	s_add_nc_u64 s[30:31], s[46:47], s[30:31]
	s_clause 0x1
	global_load_b64 v[2:3], v1, s[36:37]
	global_load_b64 v[4:5], v1, s[30:31]
	v_mov_b32_e32 v22, 0
	v_mov_b32_e32 v26, 0
	v_mov_b32_e32 v30, 0
	v_dual_mov_b32 v34, 0 :: v_dual_mov_b32 v23, 0
	v_dual_mov_b32 v20, 0 :: v_dual_mov_b32 v27, 0
	;; [unrolled: 1-line block ×5, first 2 shown]
	v_mov_b32_e32 v25, 0
	v_mov_b32_e32 v29, 0
	;; [unrolled: 1-line block ×3, first 2 shown]
	s_mov_b64 s[30:31], 0
	s_wait_loadcnt 0x1
	v_add_co_u32 v16, vcc_lo, v2, v42
	s_wait_alu 0xfffd
	v_add_co_ci_u32_e64 v17, null, v3, v41, vcc_lo
	s_wait_loadcnt 0x0
	v_add_co_u32 v18, vcc_lo, v4, v43
	s_wait_alu 0xfffd
	v_add_co_ci_u32_e64 v19, null, v5, v44, vcc_lo
	s_branch .LBB288_7
.LBB288_6:                              ;   in Loop: Header=BB288_7 Depth=2
	s_wait_alu 0xfffe
	s_or_b32 exec_lo, exec_lo, s36
	ds_store_b128 v40, v[2:5]
	s_wait_dscnt 0x0
	s_barrier_signal -1
	s_barrier_wait -1
	global_inv scope:SCOPE_SE
	ds_load_b128 v[2:5], v37
	ds_load_b128 v[45:48], v36
	ds_load_b128 v[49:52], v36 offset:256
	ds_load_b128 v[53:56], v37 offset:2048
	;; [unrolled: 1-line block ×10, first 2 shown]
	s_add_nc_u64 s[30:31], s[30:31], 8
	v_add_co_u32 v16, vcc_lo, v16, s10
	s_wait_alu 0xfffe
	v_cmp_lt_i64_e64 s36, s[30:31], s[40:41]
	s_wait_alu 0xfffd
	v_add_co_ci_u32_e64 v17, null, s11, v17, vcc_lo
	v_add_co_u32 v18, vcc_lo, v18, s12
	s_wait_alu 0xfffd
	v_add_co_ci_u32_e64 v19, null, s13, v19, vcc_lo
	s_and_b32 vcc_lo, exec_lo, s36
	s_wait_dscnt 0xa
	v_mul_f64_e32 v[89:90], v[4:5], v[47:48]
	v_mul_f64_e32 v[91:92], v[2:3], v[47:48]
	s_wait_dscnt 0x9
	v_mul_f64_e32 v[93:94], v[4:5], v[51:52]
	v_mul_f64_e32 v[95:96], v[2:3], v[51:52]
	;; [unrolled: 3-line block ×3, first 2 shown]
	v_mul_f64_e32 v[99:100], v[55:56], v[51:52]
	v_mul_f64_e32 v[51:52], v[53:54], v[51:52]
	s_wait_dscnt 0x5
	v_mul_f64_e32 v[101:102], v[59:60], v[67:68]
	v_mul_f64_e32 v[103:104], v[57:58], v[67:68]
	s_wait_dscnt 0x4
	v_mul_f64_e32 v[105:106], v[59:60], v[71:72]
	v_mul_f64_e32 v[107:108], v[57:58], v[71:72]
	v_mul_f64_e32 v[109:110], v[63:64], v[67:68]
	v_mul_f64_e32 v[67:68], v[61:62], v[67:68]
	v_mul_f64_e32 v[111:112], v[63:64], v[71:72]
	v_mul_f64_e32 v[71:72], v[61:62], v[71:72]
	s_wait_dscnt 0x2
	v_mul_f64_e32 v[117:118], v[75:76], v[79:80]
	v_mul_f64_e32 v[119:120], v[73:74], v[79:80]
	s_wait_dscnt 0x1
	v_mul_f64_e32 v[121:122], v[75:76], v[83:84]
	v_mul_f64_e32 v[123:124], v[73:74], v[83:84]
	;; [unrolled: 3-line block ×3, first 2 shown]
	v_mul_f64_e32 v[127:128], v[87:88], v[83:84]
	v_mul_f64_e32 v[83:84], v[85:86], v[83:84]
	v_fma_f64 v[89:90], v[2:3], v[45:46], -v[89:90]
	v_fma_f64 v[91:92], v[4:5], v[45:46], v[91:92]
	v_fma_f64 v[93:94], v[2:3], v[49:50], -v[93:94]
	v_fma_f64 v[95:96], v[4:5], v[49:50], v[95:96]
	;; [unrolled: 2-line block ×8, first 2 shown]
	ds_load_b128 v[2:5], v37 offset:48
	ds_load_b128 v[45:48], v37 offset:2096
	;; [unrolled: 1-line block ×4, first 2 shown]
	v_fma_f64 v[117:118], v[73:74], v[77:78], -v[117:118]
	v_fma_f64 v[119:120], v[75:76], v[77:78], v[119:120]
	v_fma_f64 v[73:74], v[73:74], v[81:82], -v[121:122]
	v_fma_f64 v[75:76], v[75:76], v[81:82], v[123:124]
	;; [unrolled: 2-line block ×4, first 2 shown]
	s_wait_dscnt 0x1
	v_mul_f64_e32 v[107:108], v[2:3], v[51:52]
	s_wait_dscnt 0x0
	v_mul_f64_e32 v[109:110], v[4:5], v[55:56]
	v_mul_f64_e32 v[111:112], v[2:3], v[55:56]
	v_add_f64_e32 v[67:68], v[32:33], v[89:90]
	v_add_f64_e32 v[69:70], v[91:92], v[34:35]
	;; [unrolled: 1-line block ×8, first 2 shown]
	v_mul_f64_e32 v[99:100], v[4:5], v[51:52]
	v_mul_f64_e32 v[113:114], v[47:48], v[51:52]
	;; [unrolled: 1-line block ×5, first 2 shown]
	ds_load_b128 v[20:23], v37 offset:64
	ds_load_b128 v[24:27], v36 offset:2048
	;; [unrolled: 1-line block ×4, first 2 shown]
	s_wait_dscnt 0x0
	v_mul_f64_e32 v[123:124], v[34:35], v[26:27]
	v_mul_f64_e32 v[125:126], v[34:35], v[30:31]
	v_fma_f64 v[107:108], v[4:5], v[49:50], v[107:108]
	v_fma_f64 v[109:110], v[2:3], v[53:54], -v[109:110]
	v_fma_f64 v[111:112], v[4:5], v[53:54], v[111:112]
	v_add_f64_e32 v[83:84], v[67:68], v[101:102]
	v_add_f64_e32 v[85:86], v[103:104], v[69:70]
	v_add_f64_e32 v[71:72], v[71:72], v[57:58]
	v_add_f64_e32 v[87:88], v[59:60], v[89:90]
	v_add_f64_e32 v[89:90], v[91:92], v[105:106]
	v_add_f64_e32 v[91:92], v[65:66], v[93:94]
	v_add_f64_e32 v[93:94], v[95:96], v[61:62]
	v_add_f64_e32 v[95:96], v[63:64], v[97:98]
	v_mul_f64_e32 v[97:98], v[22:23], v[26:27]
	v_mul_f64_e32 v[101:102], v[20:21], v[26:27]
	;; [unrolled: 1-line block ×6, first 2 shown]
	v_fma_f64 v[99:100], v[2:3], v[49:50], -v[99:100]
	v_fma_f64 v[113:114], v[45:46], v[49:50], -v[113:114]
	v_fma_f64 v[127:128], v[47:48], v[49:50], v[51:52]
	v_fma_f64 v[115:116], v[45:46], v[53:54], -v[115:116]
	v_fma_f64 v[53:54], v[47:48], v[53:54], v[129:130]
	ds_load_b128 v[55:58], v37 offset:80
	ds_load_b128 v[59:62], v37 offset:2128
	;; [unrolled: 1-line block ×4, first 2 shown]
	v_fma_f64 v[123:124], v[32:33], v[24:25], -v[123:124]
	v_fma_f64 v[125:126], v[32:33], v[28:29], -v[125:126]
	v_add_f64_e32 v[83:84], v[83:84], v[117:118]
	v_add_f64_e32 v[85:86], v[119:120], v[85:86]
	v_add_f64_e32 v[117:118], v[71:72], v[73:74]
	v_add_f64_e32 v[75:76], v[75:76], v[87:88]
	v_add_f64_e32 v[87:88], v[89:90], v[121:122]
	v_add_f64_e32 v[77:78], v[77:78], v[91:92]
	v_add_f64_e32 v[79:80], v[93:94], v[79:80]
	v_add_f64_e32 v[81:82], v[81:82], v[95:96]
	s_wait_dscnt 0x1
	v_mul_f64_e32 v[89:90], v[57:58], v[65:66]
	v_mul_f64_e32 v[91:92], v[55:56], v[65:66]
	s_wait_dscnt 0x0
	v_mul_f64_e32 v[93:94], v[57:58], v[69:70]
	v_mul_f64_e32 v[95:96], v[55:56], v[69:70]
	;; [unrolled: 1-line block ×6, first 2 shown]
	v_fma_f64 v[97:98], v[20:21], v[24:25], -v[97:98]
	v_fma_f64 v[101:102], v[22:23], v[24:25], v[101:102]
	v_fma_f64 v[103:104], v[20:21], v[28:29], -v[103:104]
	v_fma_f64 v[105:106], v[22:23], v[28:29], v[105:106]
	v_fma_f64 v[129:130], v[34:35], v[24:25], v[26:27]
	;; [unrolled: 1-line block ×3, first 2 shown]
	ds_load_b128 v[2:5], v37 offset:96
	ds_load_b128 v[45:48], v36 offset:3072
	;; [unrolled: 1-line block ×8, first 2 shown]
	s_wait_loadcnt_dscnt 0x0
	s_barrier_signal -1
	s_barrier_wait -1
	global_inv scope:SCOPE_SE
	v_add_f64_e32 v[83:84], v[83:84], v[99:100]
	v_add_f64_e32 v[85:86], v[107:108], v[85:86]
	;; [unrolled: 1-line block ×8, first 2 shown]
	v_mul_f64_e32 v[81:82], v[4:5], v[47:48]
	v_mul_f64_e32 v[107:108], v[2:3], v[47:48]
	;; [unrolled: 1-line block ×8, first 2 shown]
	v_fma_f64 v[89:90], v[55:56], v[63:64], -v[89:90]
	v_fma_f64 v[91:92], v[57:58], v[63:64], v[91:92]
	v_fma_f64 v[55:56], v[55:56], v[67:68], -v[93:94]
	v_fma_f64 v[57:58], v[57:58], v[67:68], v[95:96]
	v_fma_f64 v[93:94], v[59:60], v[63:64], -v[119:120]
	v_fma_f64 v[63:64], v[61:62], v[63:64], v[65:66]
	v_fma_f64 v[59:60], v[59:60], v[67:68], -v[121:122]
	v_fma_f64 v[61:62], v[61:62], v[67:68], v[69:70]
	v_mul_f64_e32 v[95:96], v[22:23], v[34:35]
	v_add_f64_e32 v[65:66], v[83:84], v[97:98]
	v_add_f64_e32 v[67:68], v[101:102], v[85:86]
	;; [unrolled: 1-line block ×8, first 2 shown]
	v_mul_f64_e32 v[85:86], v[22:23], v[30:31]
	v_mul_f64_e32 v[87:88], v[20:21], v[30:31]
	v_mul_f64_e32 v[97:98], v[20:21], v[34:35]
	v_mul_f64_e32 v[99:100], v[26:27], v[30:31]
	v_mul_f64_e32 v[30:31], v[24:25], v[30:31]
	v_mul_f64_e32 v[101:102], v[26:27], v[34:35]
	v_mul_f64_e32 v[34:35], v[24:25], v[34:35]
	v_fma_f64 v[81:82], v[2:3], v[45:46], -v[81:82]
	v_fma_f64 v[103:104], v[4:5], v[45:46], v[107:108]
	v_fma_f64 v[2:3], v[2:3], v[49:50], -v[109:110]
	v_fma_f64 v[4:5], v[4:5], v[49:50], v[111:112]
	v_fma_f64 v[105:106], v[71:72], v[45:46], -v[113:114]
	v_fma_f64 v[45:46], v[73:74], v[45:46], v[47:48]
	v_fma_f64 v[47:48], v[71:72], v[49:50], -v[115:116]
	v_fma_f64 v[49:50], v[73:74], v[49:50], v[51:52]
	v_add_f64_e32 v[51:52], v[65:66], v[89:90]
	v_add_f64_e32 v[65:66], v[91:92], v[67:68]
	;; [unrolled: 1-line block ×8, first 2 shown]
	v_fma_f64 v[61:62], v[20:21], v[28:29], -v[85:86]
	v_fma_f64 v[69:70], v[22:23], v[28:29], v[87:88]
	v_fma_f64 v[20:21], v[20:21], v[32:33], -v[95:96]
	v_fma_f64 v[22:23], v[22:23], v[32:33], v[97:98]
	;; [unrolled: 2-line block ×4, first 2 shown]
	v_add_f64_e32 v[24:25], v[51:52], v[81:82]
	v_add_f64_e32 v[26:27], v[103:104], v[65:66]
	;; [unrolled: 1-line block ×16, first 2 shown]
	s_wait_alu 0xfffe
	s_cbranch_vccz .LBB288_14
.LBB288_7:                              ;   Parent Loop BB288_4 Depth=1
                                        ; =>  This Inner Loop Header: Depth=2
	s_wait_alu 0xfffe
	v_add_co_u32 v2, s36, v38, s30
	s_wait_alu 0xf1ff
	v_add_co_ci_u32_e64 v3, null, 0, s31, s36
	s_delay_alu instid0(VALU_DEP_1)
	v_cmp_le_i64_e32 vcc_lo, s[40:41], v[2:3]
	s_or_b32 s36, s35, vcc_lo
	s_wait_alu 0xfffe
	s_and_saveexec_b32 s37, s36
	s_wait_alu 0xfffe
	s_xor_b32 s36, exec_lo, s37
; %bb.8:                                ;   in Loop: Header=BB288_7 Depth=2
	v_dual_mov_b32 v2, v1 :: v_dual_mov_b32 v3, v1
	v_mov_b32_e32 v4, v1
	ds_store_b128 v39, v[1:4]
; %bb.9:                                ;   in Loop: Header=BB288_7 Depth=2
	s_wait_alu 0xfffe
	s_and_not1_saveexec_b32 s36, s36
	s_cbranch_execz .LBB288_11
; %bb.10:                               ;   in Loop: Header=BB288_7 Depth=2
	flat_load_b128 v[2:5], v[18:19]
	s_wait_loadcnt_dscnt 0x0
	ds_store_2addr_b64 v39, v[2:3], v[4:5] offset1:1
.LBB288_11:                             ;   in Loop: Header=BB288_7 Depth=2
	s_wait_alu 0xfffe
	s_or_b32 exec_lo, exec_lo, s36
	v_add_co_u32 v2, s36, v0, s30
	s_wait_alu 0xf1ff
	v_add_co_ci_u32_e64 v3, null, 0, s31, s36
	v_mov_b32_e32 v4, 0
	v_mov_b32_e32 v5, 0
	s_delay_alu instid0(VALU_DEP_3)
	v_cmp_gt_i64_e32 vcc_lo, s[40:41], v[2:3]
	v_mov_b32_e32 v2, 0
	v_mov_b32_e32 v3, 0
	s_and_b32 s37, vcc_lo, s0
	s_wait_alu 0xfffe
	s_and_saveexec_b32 s36, s37
	s_cbranch_execz .LBB288_6
; %bb.12:                               ;   in Loop: Header=BB288_7 Depth=2
	flat_load_b128 v[2:5], v[16:17] offset:-8
	s_wait_loadcnt_dscnt 0x0
	v_xor_b32_e32 v5, 0x80000000, v5
	s_branch .LBB288_6
.LBB288_13:                             ;   in Loop: Header=BB288_4 Depth=1
	v_mov_b32_e32 v32, 0
	v_mov_b32_e32 v28, 0
	v_mov_b32_e32 v24, 0
	v_dual_mov_b32 v20, 0 :: v_dual_mov_b32 v33, 0
	v_dual_mov_b32 v34, 0 :: v_dual_mov_b32 v29, 0
	;; [unrolled: 1-line block ×5, first 2 shown]
	v_mov_b32_e32 v31, 0
	v_mov_b32_e32 v27, 0
	;; [unrolled: 1-line block ×3, first 2 shown]
.LBB288_14:                             ;   in Loop: Header=BB288_4 Depth=1
	s_wait_loadcnt 0x0
	v_add_co_u32 v4, vcc_lo, v14, s20
	s_wait_alu 0xfffd
	v_add_co_ci_u32_e64 v5, null, s21, v15, vcc_lo
	s_and_not1_b32 vcc_lo, exec_lo, s34
	s_mov_b32 s30, -1
	s_wait_alu 0xfffe
	s_cbranch_vccz .LBB288_16
; %bb.15:                               ;   in Loop: Header=BB288_4 Depth=1
	s_and_not1_b32 vcc_lo, exec_lo, s30
	s_wait_alu 0xfffe
	s_cbranch_vccnz .LBB288_3
	s_branch .LBB288_27
.LBB288_16:                             ;   in Loop: Header=BB288_4 Depth=1
	s_and_saveexec_b32 s30, s1
	s_cbranch_execz .LBB288_26
; %bb.17:                               ;   in Loop: Header=BB288_4 Depth=1
	v_lshlrev_b64_e32 v[2:3], 4, v[8:9]
	s_delay_alu instid0(VALU_DEP_1) | instskip(SKIP_1) | instid1(VALU_DEP_2)
	v_add_co_u32 v2, vcc_lo, v4, v2
	s_wait_alu 0xfffd
	v_add_co_ci_u32_e64 v3, null, v5, v3, vcc_lo
	s_and_saveexec_b32 s31, s2
	s_cbranch_execnz .LBB288_20
; %bb.18:                               ;   in Loop: Header=BB288_4 Depth=1
	s_wait_alu 0xfffe
	s_or_b32 exec_lo, exec_lo, s31
	s_and_saveexec_b32 s31, s3
	s_cbranch_execnz .LBB288_21
.LBB288_19:                             ;   in Loop: Header=BB288_4 Depth=1
	s_wait_alu 0xfffe
	s_or_b32 exec_lo, exec_lo, s31
	s_delay_alu instid0(SALU_CYCLE_1)
	s_and_b32 exec_lo, exec_lo, s4
	s_cbranch_execnz .LBB288_22
	s_branch .LBB288_26
.LBB288_20:                             ;   in Loop: Header=BB288_4 Depth=1
	v_mul_f64_e32 v[14:15], s[44:45], v[34:35]
	v_mul_f64_e32 v[16:17], s[42:43], v[34:35]
	v_lshlrev_b64_e32 v[18:19], 4, v[6:7]
	s_delay_alu instid0(VALU_DEP_1) | instskip(SKIP_1) | instid1(VALU_DEP_2)
	v_add_co_u32 v18, vcc_lo, v2, v18
	s_wait_alu 0xfffd
	v_add_co_ci_u32_e64 v19, null, v3, v19, vcc_lo
	v_fma_f64 v[14:15], s[42:43], v[32:33], -v[14:15]
	v_fma_f64 v[16:17], s[44:45], v[32:33], v[16:17]
	flat_store_b128 v[18:19], v[14:17]
	s_wait_alu 0xfffe
	s_or_b32 exec_lo, exec_lo, s31
	s_and_saveexec_b32 s31, s3
	s_cbranch_execz .LBB288_19
.LBB288_21:                             ;   in Loop: Header=BB288_4 Depth=1
	v_mul_f64_e32 v[14:15], s[44:45], v[30:31]
	v_mul_f64_e32 v[16:17], s[42:43], v[30:31]
	v_lshlrev_b64_e32 v[18:19], 4, v[6:7]
	s_delay_alu instid0(VALU_DEP_1) | instskip(SKIP_1) | instid1(VALU_DEP_2)
	v_add_co_u32 v18, vcc_lo, v2, v18
	s_wait_alu 0xfffd
	v_add_co_ci_u32_e64 v19, null, v3, v19, vcc_lo
	v_fma_f64 v[14:15], s[42:43], v[28:29], -v[14:15]
	v_fma_f64 v[16:17], s[44:45], v[28:29], v[16:17]
	flat_store_b128 v[18:19], v[14:17] offset:256
	s_wait_alu 0xfffe
	s_or_b32 exec_lo, exec_lo, s31
	s_delay_alu instid0(SALU_CYCLE_1)
	s_and_b32 exec_lo, exec_lo, s4
	s_cbranch_execz .LBB288_26
.LBB288_22:                             ;   in Loop: Header=BB288_4 Depth=1
	s_lshl_b64 s[36:37], s[26:27], 4
	v_lshlrev_b64_e32 v[14:15], 4, v[6:7]
	s_wait_alu 0xfffe
	v_add_co_u32 v2, vcc_lo, v2, s36
	s_wait_alu 0xfffd
	v_add_co_ci_u32_e64 v3, null, s37, v3, vcc_lo
	s_delay_alu instid0(VALU_DEP_2) | instskip(SKIP_1) | instid1(VALU_DEP_2)
	v_add_co_u32 v2, vcc_lo, v2, v14
	s_wait_alu 0xfffd
	v_add_co_ci_u32_e64 v3, null, v3, v15, vcc_lo
	s_and_saveexec_b32 s31, s2
	s_cbranch_execz .LBB288_24
; %bb.23:                               ;   in Loop: Header=BB288_4 Depth=1
	v_mul_f64_e32 v[14:15], s[44:45], v[26:27]
	v_mul_f64_e32 v[16:17], s[42:43], v[26:27]
	s_delay_alu instid0(VALU_DEP_2) | instskip(NEXT) | instid1(VALU_DEP_2)
	v_fma_f64 v[14:15], s[42:43], v[24:25], -v[14:15]
	v_fma_f64 v[16:17], s[44:45], v[24:25], v[16:17]
	flat_store_b128 v[2:3], v[14:17]
.LBB288_24:                             ;   in Loop: Header=BB288_4 Depth=1
	s_wait_alu 0xfffe
	s_or_b32 exec_lo, exec_lo, s31
	s_delay_alu instid0(SALU_CYCLE_1)
	s_and_b32 exec_lo, exec_lo, s3
	s_cbranch_execz .LBB288_26
; %bb.25:                               ;   in Loop: Header=BB288_4 Depth=1
	v_mul_f64_e32 v[14:15], s[44:45], v[22:23]
	v_mul_f64_e32 v[16:17], s[42:43], v[22:23]
	s_delay_alu instid0(VALU_DEP_2) | instskip(NEXT) | instid1(VALU_DEP_2)
	v_fma_f64 v[14:15], s[42:43], v[20:21], -v[14:15]
	v_fma_f64 v[16:17], s[44:45], v[20:21], v[16:17]
	flat_store_b128 v[2:3], v[14:17] offset:256
.LBB288_26:                             ;   in Loop: Header=BB288_4 Depth=1
	s_wait_alu 0xfffe
	s_or_b32 exec_lo, exec_lo, s30
	s_cbranch_execnz .LBB288_3
.LBB288_27:                             ;   in Loop: Header=BB288_4 Depth=1
	s_and_saveexec_b32 s30, s1
	s_cbranch_execz .LBB288_2
; %bb.28:                               ;   in Loop: Header=BB288_4 Depth=1
	v_add_co_u32 v2, vcc_lo, v12, s22
	v_lshlrev_b64_e32 v[14:15], 4, v[8:9]
	s_wait_alu 0xfffd
	v_add_co_ci_u32_e64 v3, null, s23, v13, vcc_lo
	s_delay_alu instid0(VALU_DEP_3) | instskip(SKIP_1) | instid1(VALU_DEP_2)
	v_add_co_u32 v12, vcc_lo, v2, v10
	s_wait_alu 0xfffd
	v_add_co_ci_u32_e64 v13, null, v3, v11, vcc_lo
	v_add_co_u32 v4, vcc_lo, v4, v14
	v_lshlrev_b64_e32 v[2:3], 4, v[6:7]
	s_wait_alu 0xfffd
	v_add_co_ci_u32_e64 v5, null, v5, v15, vcc_lo
	s_and_saveexec_b32 s31, s2
	s_cbranch_execnz .LBB288_31
; %bb.29:                               ;   in Loop: Header=BB288_4 Depth=1
	s_wait_alu 0xfffe
	s_or_b32 exec_lo, exec_lo, s31
	s_and_saveexec_b32 s31, s3
	s_cbranch_execnz .LBB288_32
.LBB288_30:                             ;   in Loop: Header=BB288_4 Depth=1
	s_wait_alu 0xfffe
	s_or_b32 exec_lo, exec_lo, s31
	s_delay_alu instid0(SALU_CYCLE_1)
	s_and_b32 exec_lo, exec_lo, s4
	s_cbranch_execz .LBB288_2
	s_branch .LBB288_33
.LBB288_31:                             ;   in Loop: Header=BB288_4 Depth=1
	v_add_co_u32 v14, vcc_lo, v12, v2
	s_wait_alu 0xfffd
	v_add_co_ci_u32_e64 v15, null, v13, v3, vcc_lo
	v_mul_f64_e32 v[18:19], s[44:45], v[34:35]
	v_mul_f64_e32 v[34:35], s[42:43], v[34:35]
	flat_load_b128 v[14:17], v[14:15]
	v_fma_f64 v[18:19], s[42:43], v[32:33], -v[18:19]
	v_fma_f64 v[32:33], s[44:45], v[32:33], v[34:35]
	s_wait_loadcnt_dscnt 0x0
	v_mul_f64_e32 v[45:46], s[16:17], v[16:17]
	v_mul_f64_e32 v[16:17], s[14:15], v[16:17]
	s_delay_alu instid0(VALU_DEP_2) | instskip(NEXT) | instid1(VALU_DEP_2)
	v_fma_f64 v[34:35], s[14:15], v[14:15], -v[45:46]
	v_fma_f64 v[16:17], s[16:17], v[14:15], v[16:17]
	s_delay_alu instid0(VALU_DEP_2) | instskip(NEXT) | instid1(VALU_DEP_2)
	v_add_f64_e32 v[14:15], v[18:19], v[34:35]
	v_add_f64_e32 v[16:17], v[32:33], v[16:17]
	v_add_co_u32 v18, vcc_lo, v4, v2
	s_wait_alu 0xfffd
	v_add_co_ci_u32_e64 v19, null, v5, v3, vcc_lo
	flat_store_b128 v[18:19], v[14:17]
	s_wait_alu 0xfffe
	s_or_b32 exec_lo, exec_lo, s31
	s_and_saveexec_b32 s31, s3
	s_cbranch_execz .LBB288_30
.LBB288_32:                             ;   in Loop: Header=BB288_4 Depth=1
	v_add_co_u32 v14, vcc_lo, v12, v2
	s_wait_alu 0xfffd
	v_add_co_ci_u32_e64 v15, null, v13, v3, vcc_lo
	v_mul_f64_e32 v[18:19], s[44:45], v[30:31]
	v_mul_f64_e32 v[30:31], s[42:43], v[30:31]
	flat_load_b128 v[14:17], v[14:15] offset:256
	v_fma_f64 v[18:19], s[42:43], v[28:29], -v[18:19]
	v_fma_f64 v[28:29], s[44:45], v[28:29], v[30:31]
	s_wait_loadcnt_dscnt 0x0
	v_mul_f64_e32 v[32:33], s[16:17], v[16:17]
	v_mul_f64_e32 v[16:17], s[14:15], v[16:17]
	s_delay_alu instid0(VALU_DEP_2) | instskip(NEXT) | instid1(VALU_DEP_2)
	v_fma_f64 v[30:31], s[14:15], v[14:15], -v[32:33]
	v_fma_f64 v[16:17], s[16:17], v[14:15], v[16:17]
	s_delay_alu instid0(VALU_DEP_2) | instskip(NEXT) | instid1(VALU_DEP_2)
	v_add_f64_e32 v[14:15], v[18:19], v[30:31]
	v_add_f64_e32 v[16:17], v[28:29], v[16:17]
	v_add_co_u32 v18, vcc_lo, v4, v2
	s_wait_alu 0xfffd
	v_add_co_ci_u32_e64 v19, null, v5, v3, vcc_lo
	flat_store_b128 v[18:19], v[14:17] offset:256
	s_wait_alu 0xfffe
	s_or_b32 exec_lo, exec_lo, s31
	s_delay_alu instid0(SALU_CYCLE_1)
	s_and_b32 exec_lo, exec_lo, s4
	s_cbranch_execz .LBB288_2
.LBB288_33:                             ;   in Loop: Header=BB288_4 Depth=1
	v_add_co_u32 v12, vcc_lo, v12, s28
	s_lshl_b64 s[36:37], s[26:27], 4
	s_wait_alu 0xfffd
	v_add_co_ci_u32_e64 v13, null, s29, v13, vcc_lo
	s_wait_alu 0xfffe
	v_add_co_u32 v14, vcc_lo, v4, s36
	s_wait_alu 0xfffd
	v_add_co_ci_u32_e64 v15, null, s37, v5, vcc_lo
	v_add_co_u32 v4, vcc_lo, v12, v2
	s_wait_alu 0xfffd
	v_add_co_ci_u32_e64 v5, null, v13, v3, vcc_lo
	;; [unrolled: 3-line block ×3, first 2 shown]
	s_and_saveexec_b32 s31, s2
	s_cbranch_execz .LBB288_35
; %bb.34:                               ;   in Loop: Header=BB288_4 Depth=1
	flat_load_b128 v[12:15], v[4:5]
	v_mul_f64_e32 v[16:17], s[44:45], v[26:27]
	v_mul_f64_e32 v[18:19], s[42:43], v[26:27]
	s_delay_alu instid0(VALU_DEP_2) | instskip(NEXT) | instid1(VALU_DEP_2)
	v_fma_f64 v[16:17], s[42:43], v[24:25], -v[16:17]
	v_fma_f64 v[18:19], s[44:45], v[24:25], v[18:19]
	s_wait_loadcnt_dscnt 0x0
	v_mul_f64_e32 v[26:27], s[16:17], v[14:15]
	v_mul_f64_e32 v[14:15], s[14:15], v[14:15]
	s_delay_alu instid0(VALU_DEP_2) | instskip(NEXT) | instid1(VALU_DEP_2)
	v_fma_f64 v[24:25], s[14:15], v[12:13], -v[26:27]
	v_fma_f64 v[14:15], s[16:17], v[12:13], v[14:15]
	s_delay_alu instid0(VALU_DEP_2) | instskip(NEXT) | instid1(VALU_DEP_2)
	v_add_f64_e32 v[12:13], v[16:17], v[24:25]
	v_add_f64_e32 v[14:15], v[18:19], v[14:15]
	flat_store_b128 v[2:3], v[12:15]
.LBB288_35:                             ;   in Loop: Header=BB288_4 Depth=1
	s_wait_alu 0xfffe
	s_or_b32 exec_lo, exec_lo, s31
	s_delay_alu instid0(SALU_CYCLE_1)
	s_and_b32 exec_lo, exec_lo, s3
	s_cbranch_execz .LBB288_2
; %bb.36:                               ;   in Loop: Header=BB288_4 Depth=1
	flat_load_b128 v[12:15], v[4:5] offset:256
	v_mul_f64_e32 v[4:5], s[44:45], v[22:23]
	v_mul_f64_e32 v[16:17], s[42:43], v[22:23]
	s_delay_alu instid0(VALU_DEP_2) | instskip(NEXT) | instid1(VALU_DEP_2)
	v_fma_f64 v[4:5], s[42:43], v[20:21], -v[4:5]
	v_fma_f64 v[16:17], s[44:45], v[20:21], v[16:17]
	s_wait_loadcnt_dscnt 0x0
	v_mul_f64_e32 v[18:19], s[16:17], v[14:15]
	v_mul_f64_e32 v[14:15], s[14:15], v[14:15]
	s_delay_alu instid0(VALU_DEP_2) | instskip(NEXT) | instid1(VALU_DEP_2)
	v_fma_f64 v[18:19], s[14:15], v[12:13], -v[18:19]
	v_fma_f64 v[14:15], s[16:17], v[12:13], v[14:15]
	s_delay_alu instid0(VALU_DEP_2) | instskip(NEXT) | instid1(VALU_DEP_2)
	v_add_f64_e32 v[12:13], v[4:5], v[18:19]
	v_add_f64_e32 v[14:15], v[16:17], v[14:15]
	flat_store_b128 v[2:3], v[12:15] offset:256
	s_branch .LBB288_2
.LBB288_37:
	s_nop 0
	s_sendmsg sendmsg(MSG_DEALLOC_VGPRS)
	s_endpgm
	.section	.rodata,"a",@progbits
	.p2align	6, 0x0
	.amdhsa_kernel _ZN12_GLOBAL__N_135rocblas_gemm_batched_general_kernelI19rocblas_complex_numIdELi16ELi16ELi32ELi32ELi8ELi32ELi8ELi8ELi32ELc78ELc67EKPKS2_S5_KPS2_EEvlllT_PT11_llSA_llS8_PT12_llPT13_lli
		.amdhsa_group_segment_fixed_size 8192
		.amdhsa_private_segment_fixed_size 0
		.amdhsa_kernarg_size 156
		.amdhsa_user_sgpr_count 2
		.amdhsa_user_sgpr_dispatch_ptr 0
		.amdhsa_user_sgpr_queue_ptr 0
		.amdhsa_user_sgpr_kernarg_segment_ptr 1
		.amdhsa_user_sgpr_dispatch_id 0
		.amdhsa_user_sgpr_private_segment_size 0
		.amdhsa_wavefront_size32 1
		.amdhsa_uses_dynamic_stack 0
		.amdhsa_enable_private_segment 0
		.amdhsa_system_sgpr_workgroup_id_x 1
		.amdhsa_system_sgpr_workgroup_id_y 1
		.amdhsa_system_sgpr_workgroup_id_z 1
		.amdhsa_system_sgpr_workgroup_info 0
		.amdhsa_system_vgpr_workitem_id 1
		.amdhsa_next_free_vgpr 133
		.amdhsa_next_free_sgpr 52
		.amdhsa_reserve_vcc 1
		.amdhsa_float_round_mode_32 0
		.amdhsa_float_round_mode_16_64 0
		.amdhsa_float_denorm_mode_32 3
		.amdhsa_float_denorm_mode_16_64 3
		.amdhsa_fp16_overflow 0
		.amdhsa_workgroup_processor_mode 1
		.amdhsa_memory_ordered 1
		.amdhsa_forward_progress 1
		.amdhsa_inst_pref_size 31
		.amdhsa_round_robin_scheduling 0
		.amdhsa_exception_fp_ieee_invalid_op 0
		.amdhsa_exception_fp_denorm_src 0
		.amdhsa_exception_fp_ieee_div_zero 0
		.amdhsa_exception_fp_ieee_overflow 0
		.amdhsa_exception_fp_ieee_underflow 0
		.amdhsa_exception_fp_ieee_inexact 0
		.amdhsa_exception_int_div_zero 0
	.end_amdhsa_kernel
	.section	.text._ZN12_GLOBAL__N_135rocblas_gemm_batched_general_kernelI19rocblas_complex_numIdELi16ELi16ELi32ELi32ELi8ELi32ELi8ELi8ELi32ELc78ELc67EKPKS2_S5_KPS2_EEvlllT_PT11_llSA_llS8_PT12_llPT13_lli,"axG",@progbits,_ZN12_GLOBAL__N_135rocblas_gemm_batched_general_kernelI19rocblas_complex_numIdELi16ELi16ELi32ELi32ELi8ELi32ELi8ELi8ELi32ELc78ELc67EKPKS2_S5_KPS2_EEvlllT_PT11_llSA_llS8_PT12_llPT13_lli,comdat
.Lfunc_end288:
	.size	_ZN12_GLOBAL__N_135rocblas_gemm_batched_general_kernelI19rocblas_complex_numIdELi16ELi16ELi32ELi32ELi8ELi32ELi8ELi8ELi32ELc78ELc67EKPKS2_S5_KPS2_EEvlllT_PT11_llSA_llS8_PT12_llPT13_lli, .Lfunc_end288-_ZN12_GLOBAL__N_135rocblas_gemm_batched_general_kernelI19rocblas_complex_numIdELi16ELi16ELi32ELi32ELi8ELi32ELi8ELi8ELi32ELc78ELc67EKPKS2_S5_KPS2_EEvlllT_PT11_llSA_llS8_PT12_llPT13_lli
                                        ; -- End function
	.set _ZN12_GLOBAL__N_135rocblas_gemm_batched_general_kernelI19rocblas_complex_numIdELi16ELi16ELi32ELi32ELi8ELi32ELi8ELi8ELi32ELc78ELc67EKPKS2_S5_KPS2_EEvlllT_PT11_llSA_llS8_PT12_llPT13_lli.num_vgpr, 133
	.set _ZN12_GLOBAL__N_135rocblas_gemm_batched_general_kernelI19rocblas_complex_numIdELi16ELi16ELi32ELi32ELi8ELi32ELi8ELi8ELi32ELc78ELc67EKPKS2_S5_KPS2_EEvlllT_PT11_llSA_llS8_PT12_llPT13_lli.num_agpr, 0
	.set _ZN12_GLOBAL__N_135rocblas_gemm_batched_general_kernelI19rocblas_complex_numIdELi16ELi16ELi32ELi32ELi8ELi32ELi8ELi8ELi32ELc78ELc67EKPKS2_S5_KPS2_EEvlllT_PT11_llSA_llS8_PT12_llPT13_lli.numbered_sgpr, 52
	.set _ZN12_GLOBAL__N_135rocblas_gemm_batched_general_kernelI19rocblas_complex_numIdELi16ELi16ELi32ELi32ELi8ELi32ELi8ELi8ELi32ELc78ELc67EKPKS2_S5_KPS2_EEvlllT_PT11_llSA_llS8_PT12_llPT13_lli.num_named_barrier, 0
	.set _ZN12_GLOBAL__N_135rocblas_gemm_batched_general_kernelI19rocblas_complex_numIdELi16ELi16ELi32ELi32ELi8ELi32ELi8ELi8ELi32ELc78ELc67EKPKS2_S5_KPS2_EEvlllT_PT11_llSA_llS8_PT12_llPT13_lli.private_seg_size, 0
	.set _ZN12_GLOBAL__N_135rocblas_gemm_batched_general_kernelI19rocblas_complex_numIdELi16ELi16ELi32ELi32ELi8ELi32ELi8ELi8ELi32ELc78ELc67EKPKS2_S5_KPS2_EEvlllT_PT11_llSA_llS8_PT12_llPT13_lli.uses_vcc, 1
	.set _ZN12_GLOBAL__N_135rocblas_gemm_batched_general_kernelI19rocblas_complex_numIdELi16ELi16ELi32ELi32ELi8ELi32ELi8ELi8ELi32ELc78ELc67EKPKS2_S5_KPS2_EEvlllT_PT11_llSA_llS8_PT12_llPT13_lli.uses_flat_scratch, 0
	.set _ZN12_GLOBAL__N_135rocblas_gemm_batched_general_kernelI19rocblas_complex_numIdELi16ELi16ELi32ELi32ELi8ELi32ELi8ELi8ELi32ELc78ELc67EKPKS2_S5_KPS2_EEvlllT_PT11_llSA_llS8_PT12_llPT13_lli.has_dyn_sized_stack, 0
	.set _ZN12_GLOBAL__N_135rocblas_gemm_batched_general_kernelI19rocblas_complex_numIdELi16ELi16ELi32ELi32ELi8ELi32ELi8ELi8ELi32ELc78ELc67EKPKS2_S5_KPS2_EEvlllT_PT11_llSA_llS8_PT12_llPT13_lli.has_recursion, 0
	.set _ZN12_GLOBAL__N_135rocblas_gemm_batched_general_kernelI19rocblas_complex_numIdELi16ELi16ELi32ELi32ELi8ELi32ELi8ELi8ELi32ELc78ELc67EKPKS2_S5_KPS2_EEvlllT_PT11_llSA_llS8_PT12_llPT13_lli.has_indirect_call, 0
	.section	.AMDGPU.csdata,"",@progbits
; Kernel info:
; codeLenInByte = 3844
; TotalNumSgprs: 54
; NumVgprs: 133
; ScratchSize: 0
; MemoryBound: 1
; FloatMode: 240
; IeeeMode: 1
; LDSByteSize: 8192 bytes/workgroup (compile time only)
; SGPRBlocks: 0
; VGPRBlocks: 16
; NumSGPRsForWavesPerEU: 54
; NumVGPRsForWavesPerEU: 133
; Occupancy: 10
; WaveLimiterHint : 1
; COMPUTE_PGM_RSRC2:SCRATCH_EN: 0
; COMPUTE_PGM_RSRC2:USER_SGPR: 2
; COMPUTE_PGM_RSRC2:TRAP_HANDLER: 0
; COMPUTE_PGM_RSRC2:TGID_X_EN: 1
; COMPUTE_PGM_RSRC2:TGID_Y_EN: 1
; COMPUTE_PGM_RSRC2:TGID_Z_EN: 1
; COMPUTE_PGM_RSRC2:TIDIG_COMP_CNT: 1
	.section	.text._ZN12_GLOBAL__N_135rocblas_gemm_batched_general_kernelI19rocblas_complex_numIdELi16ELi16ELi32ELi32ELi8ELi32ELi8ELi8ELi32ELc84ELc67EKPKS2_S5_KPS2_EEvlllT_PT11_llSA_llS8_PT12_llPT13_lli,"axG",@progbits,_ZN12_GLOBAL__N_135rocblas_gemm_batched_general_kernelI19rocblas_complex_numIdELi16ELi16ELi32ELi32ELi8ELi32ELi8ELi8ELi32ELc84ELc67EKPKS2_S5_KPS2_EEvlllT_PT11_llSA_llS8_PT12_llPT13_lli,comdat
	.globl	_ZN12_GLOBAL__N_135rocblas_gemm_batched_general_kernelI19rocblas_complex_numIdELi16ELi16ELi32ELi32ELi8ELi32ELi8ELi8ELi32ELc84ELc67EKPKS2_S5_KPS2_EEvlllT_PT11_llSA_llS8_PT12_llPT13_lli ; -- Begin function _ZN12_GLOBAL__N_135rocblas_gemm_batched_general_kernelI19rocblas_complex_numIdELi16ELi16ELi32ELi32ELi8ELi32ELi8ELi8ELi32ELc84ELc67EKPKS2_S5_KPS2_EEvlllT_PT11_llSA_llS8_PT12_llPT13_lli
	.p2align	8
	.type	_ZN12_GLOBAL__N_135rocblas_gemm_batched_general_kernelI19rocblas_complex_numIdELi16ELi16ELi32ELi32ELi8ELi32ELi8ELi8ELi32ELc84ELc67EKPKS2_S5_KPS2_EEvlllT_PT11_llSA_llS8_PT12_llPT13_lli,@function
_ZN12_GLOBAL__N_135rocblas_gemm_batched_general_kernelI19rocblas_complex_numIdELi16ELi16ELi32ELi32ELi8ELi32ELi8ELi8ELi32ELc84ELc67EKPKS2_S5_KPS2_EEvlllT_PT11_llSA_llS8_PT12_llPT13_lli: ; @_ZN12_GLOBAL__N_135rocblas_gemm_batched_general_kernelI19rocblas_complex_numIdELi16ELi16ELi32ELi32ELi8ELi32ELi8ELi8ELi32ELc84ELc67EKPKS2_S5_KPS2_EEvlllT_PT11_llSA_llS8_PT12_llPT13_lli
; %bb.0:
	s_load_b32 s33, s[0:1], 0x98
	s_lshr_b32 s6, ttmp7, 16
	s_wait_kmcnt 0x0
	s_cmp_ge_i32 s6, s33
	s_cbranch_scc1 .LBB289_37
; %bb.1:
	s_clause 0x3
	s_load_b512 s[8:23], s[0:1], 0x40
	s_load_b512 s[36:51], s[0:1], 0x0
	s_load_b64 s[28:29], s[0:1], 0x90
	s_load_b128 s[24:27], s[0:1], 0x80
	v_bfe_u32 v2, v0, 10, 10
	v_dual_mov_b32 v1, 0 :: v_dual_and_b32 v6, 0x3ff, v0
	s_and_b32 s5, ttmp7, 0xffff
	s_mov_b32 s2, ttmp9
	s_ashr_i32 s3, ttmp9, 31
	s_lshl_b32 s0, s5, 5
	v_lshl_add_u32 v8, v2, 4, v6
	s_lshl_b64 s[30:31], s[2:3], 5
	v_add_co_u32 v4, s1, s0, v2
	v_dual_mov_b32 v3, s31 :: v_dual_and_b32 v0, 7, v0
	s_delay_alu instid0(VALU_DEP_3)
	v_and_b32_e32 v9, 31, v8
	v_lshl_add_u32 v37, v2, 7, 0x1000
	v_lshrrev_b32_e32 v38, 5, v8
	s_wait_kmcnt 0x0
	v_cmp_eq_f64_e64 s3, s[14:15], 0
	v_cmp_eq_f64_e64 s4, s[16:17], 0
	v_lshrrev_b32_e32 v21, 3, v8
	v_or_b32_e32 v2, s30, v9
	v_lshlrev_b32_e32 v16, 4, v9
	v_mad_co_u64_u32 v[8:9], null, v4, s26, 0
	v_lshlrev_b32_e32 v36, 4, v6
	s_wait_alu 0xf1ff
	v_add_co_ci_u32_e64 v5, null, 0, 0, s1
	v_add_co_u32 v6, s1, s30, v6
	v_lshlrev_b32_e32 v14, 4, v0
	s_wait_alu 0xf1ff
	v_add_co_ci_u32_e64 v7, null, s31, 0, s1
	s_delay_alu instid0(VALU_DEP_3) | instskip(SKIP_1) | instid1(VALU_DEP_3)
	v_add_co_u32 v10, vcc_lo, v6, 16
	v_add_co_u32 v12, s0, v21, s0
	v_add_co_ci_u32_e64 v11, null, 0, v7, vcc_lo
	s_wait_alu 0xf1ff
	v_add_co_ci_u32_e64 v13, null, 0, 0, s0
	v_cmp_gt_i64_e32 vcc_lo, s[36:37], v[2:3]
	v_mov_b32_e32 v3, v9
	v_lshl_or_b32 v17, v21, 7, v14
	v_mad_co_u64_u32 v[14:15], null, s10, v0, 0
	v_cmp_gt_i64_e64 s0, s[38:39], v[12:13]
	s_delay_alu instid0(VALU_DEP_4) | instskip(NEXT) | instid1(VALU_DEP_4)
	v_mad_co_u64_u32 v[12:13], null, v4, s27, v[3:4]
	v_add_nc_u32_e32 v40, 0x1000, v17
	v_cmp_gt_i64_e64 s1, s[38:39], v[4:5]
	s_mov_b32 s7, 0
	v_mov_b32_e32 v9, v15
	s_lshl_b32 s34, s5, 9
	s_mov_b32 s35, s7
	s_lshl_b64 s[12:13], s[12:13], 4
	v_cmp_gt_i64_e64 s2, s[36:37], v[6:7]
	v_mad_co_u64_u32 v[18:19], null, s11, v0, v[9:10]
	v_mov_b32_e32 v9, v12
	v_lshl_or_b32 v39, v38, 9, v16
	v_mad_co_u64_u32 v[16:17], null, v4, s20, 0
	s_and_b32 s30, s3, s4
	v_add_co_u32 v19, s3, v4, 16
	v_mov_b32_e32 v15, v18
	v_add_co_ci_u32_e64 v20, null, 0, v5, s3
	v_mov_b32_e32 v3, v17
	v_cmp_gt_i64_e64 s3, s[36:37], v[10:11]
	v_mul_lo_u32 v12, s49, v2
	v_mad_co_u64_u32 v[10:11], null, s48, v2, 0
	s_delay_alu instid0(VALU_DEP_4)
	v_mad_co_u64_u32 v[3:4], null, v4, s21, v[3:4]
	v_lshlrev_b64_e32 v[4:5], 4, v[14:15]
	s_add_nc_u64 s[12:13], s[12:13], s[34:35]
	v_cmp_gt_i64_e64 s4, s[38:39], v[19:20]
	s_lshl_b64 s[34:35], s[20:21], 4
	s_lshl_b64 s[26:27], s[26:27], 4
	s_lshl_b64 s[10:11], s[10:11], 7
	v_add_co_u32 v2, s5, s12, v4
	s_mul_i32 s12, s48, s31
	v_mov_b32_e32 v17, v3
	v_lshlrev_b32_e32 v3, 4, v21
	s_wait_alu 0xfffe
	v_add3_u32 v11, v11, s12, v12
	v_add_co_ci_u32_e64 v4, null, s13, v5, s5
	s_lshl_b64 s[12:13], s[50:51], 4
	v_add_co_u32 v5, s5, v2, v3
	v_lshlrev_b64_e32 v[2:3], 4, v[10:11]
	s_wait_alu 0xf1ff
	v_add_co_ci_u32_e64 v41, null, 0, v4, s5
	v_lshlrev_b32_e32 v4, 4, v38
	v_lshlrev_b64_e32 v[10:11], 4, v[16:17]
	v_or_b32_e32 v42, 8, v5
	s_wait_alu 0xfffe
	v_add_co_u32 v2, s5, v2, s12
	s_wait_alu 0xf1ff
	v_add_co_ci_u32_e64 v3, null, s13, v3, s5
	s_xor_b32 s31, vcc_lo, -1
	v_add_co_u32 v43, s5, v2, v4
	s_wait_alu 0xf1ff
	v_add_co_ci_u32_e64 v44, null, 0, v3, s5
	v_cmp_gt_i64_e64 s5, s[40:41], 0
	s_lshl_b64 s[12:13], s[28:29], 4
	s_lshl_b64 s[20:21], s[22:23], 4
	;; [unrolled: 1-line block ×3, first 2 shown]
	s_branch .LBB289_4
.LBB289_2:                              ;   in Loop: Header=BB289_4 Depth=1
	s_wait_alu 0xfffe
	s_or_b32 exec_lo, exec_lo, s28
.LBB289_3:                              ;   in Loop: Header=BB289_4 Depth=1
	s_add_co_i32 s6, s6, 0x10000
	s_delay_alu instid0(SALU_CYCLE_1)
	s_cmp_lt_i32 s6, s33
	s_cbranch_scc0 .LBB289_37
.LBB289_4:                              ; =>This Loop Header: Depth=1
                                        ;     Child Loop BB289_7 Depth 2
	s_lshl_b64 s[28:29], s[6:7], 3
	s_and_not1_b32 vcc_lo, exec_lo, s5
	s_wait_alu 0xfffe
	s_add_nc_u64 s[34:35], s[18:19], s[28:29]
	s_add_nc_u64 s[36:37], s[24:25], s[28:29]
	s_clause 0x1
	global_load_b64 v[12:13], v1, s[34:35]
	global_load_b64 v[14:15], v1, s[36:37]
	s_cbranch_vccnz .LBB289_13
; %bb.5:                                ;   in Loop: Header=BB289_4 Depth=1
	s_add_nc_u64 s[34:35], s[8:9], s[28:29]
	s_add_nc_u64 s[28:29], s[46:47], s[28:29]
	s_clause 0x1
	global_load_b64 v[2:3], v1, s[34:35]
	global_load_b64 v[4:5], v1, s[28:29]
	v_mov_b32_e32 v22, 0
	v_mov_b32_e32 v26, 0
	;; [unrolled: 1-line block ×3, first 2 shown]
	v_dual_mov_b32 v34, 0 :: v_dual_mov_b32 v23, 0
	v_dual_mov_b32 v20, 0 :: v_dual_mov_b32 v27, 0
	;; [unrolled: 1-line block ×5, first 2 shown]
	v_mov_b32_e32 v25, 0
	v_mov_b32_e32 v29, 0
	;; [unrolled: 1-line block ×3, first 2 shown]
	s_mov_b64 s[28:29], 0
	s_wait_loadcnt 0x1
	v_add_co_u32 v16, vcc_lo, v2, v42
	s_wait_alu 0xfffd
	v_add_co_ci_u32_e64 v17, null, v3, v41, vcc_lo
	s_wait_loadcnt 0x0
	v_add_co_u32 v18, vcc_lo, v4, v43
	s_wait_alu 0xfffd
	v_add_co_ci_u32_e64 v19, null, v5, v44, vcc_lo
	s_branch .LBB289_7
.LBB289_6:                              ;   in Loop: Header=BB289_7 Depth=2
	s_wait_alu 0xfffe
	s_or_b32 exec_lo, exec_lo, s34
	ds_store_b128 v40, v[2:5]
	s_wait_dscnt 0x0
	s_barrier_signal -1
	s_barrier_wait -1
	global_inv scope:SCOPE_SE
	ds_load_b128 v[2:5], v37
	ds_load_b128 v[45:48], v36
	ds_load_b128 v[49:52], v36 offset:256
	ds_load_b128 v[53:56], v37 offset:2048
	;; [unrolled: 1-line block ×10, first 2 shown]
	s_add_nc_u64 s[28:29], s[28:29], 8
	v_add_co_u32 v16, vcc_lo, v16, s10
	s_wait_alu 0xfffe
	v_cmp_lt_i64_e64 s34, s[28:29], s[40:41]
	s_wait_alu 0xfffd
	v_add_co_ci_u32_e64 v17, null, s11, v17, vcc_lo
	v_add_co_u32 v18, vcc_lo, 0x80, v18
	s_wait_alu 0xfffd
	v_add_co_ci_u32_e64 v19, null, 0, v19, vcc_lo
	s_and_b32 vcc_lo, exec_lo, s34
	s_wait_dscnt 0xa
	v_mul_f64_e32 v[89:90], v[4:5], v[47:48]
	v_mul_f64_e32 v[91:92], v[2:3], v[47:48]
	s_wait_dscnt 0x9
	v_mul_f64_e32 v[93:94], v[4:5], v[51:52]
	v_mul_f64_e32 v[95:96], v[2:3], v[51:52]
	;; [unrolled: 3-line block ×3, first 2 shown]
	v_mul_f64_e32 v[99:100], v[55:56], v[51:52]
	v_mul_f64_e32 v[51:52], v[53:54], v[51:52]
	s_wait_dscnt 0x5
	v_mul_f64_e32 v[101:102], v[59:60], v[67:68]
	v_mul_f64_e32 v[103:104], v[57:58], v[67:68]
	s_wait_dscnt 0x4
	v_mul_f64_e32 v[105:106], v[59:60], v[71:72]
	v_mul_f64_e32 v[107:108], v[57:58], v[71:72]
	;; [unrolled: 1-line block ×6, first 2 shown]
	s_wait_dscnt 0x2
	v_mul_f64_e32 v[117:118], v[75:76], v[79:80]
	v_mul_f64_e32 v[119:120], v[73:74], v[79:80]
	s_wait_dscnt 0x1
	v_mul_f64_e32 v[121:122], v[75:76], v[83:84]
	v_mul_f64_e32 v[123:124], v[73:74], v[83:84]
	;; [unrolled: 3-line block ×3, first 2 shown]
	v_mul_f64_e32 v[127:128], v[87:88], v[83:84]
	v_mul_f64_e32 v[83:84], v[85:86], v[83:84]
	v_fma_f64 v[89:90], v[2:3], v[45:46], -v[89:90]
	v_fma_f64 v[91:92], v[4:5], v[45:46], v[91:92]
	v_fma_f64 v[93:94], v[2:3], v[49:50], -v[93:94]
	v_fma_f64 v[95:96], v[4:5], v[49:50], v[95:96]
	;; [unrolled: 2-line block ×8, first 2 shown]
	ds_load_b128 v[2:5], v37 offset:48
	ds_load_b128 v[45:48], v37 offset:2096
	;; [unrolled: 1-line block ×4, first 2 shown]
	v_fma_f64 v[117:118], v[73:74], v[77:78], -v[117:118]
	v_fma_f64 v[119:120], v[75:76], v[77:78], v[119:120]
	v_fma_f64 v[73:74], v[73:74], v[81:82], -v[121:122]
	v_fma_f64 v[75:76], v[75:76], v[81:82], v[123:124]
	;; [unrolled: 2-line block ×4, first 2 shown]
	s_wait_dscnt 0x1
	v_mul_f64_e32 v[107:108], v[2:3], v[51:52]
	s_wait_dscnt 0x0
	v_mul_f64_e32 v[109:110], v[4:5], v[55:56]
	v_mul_f64_e32 v[111:112], v[2:3], v[55:56]
	v_add_f64_e32 v[67:68], v[32:33], v[89:90]
	v_add_f64_e32 v[69:70], v[91:92], v[34:35]
	v_add_f64_e32 v[71:72], v[28:29], v[93:94]
	v_add_f64_e32 v[89:90], v[95:96], v[30:31]
	v_add_f64_e32 v[91:92], v[24:25], v[97:98]
	v_add_f64_e32 v[93:94], v[113:114], v[26:27]
	v_add_f64_e32 v[95:96], v[20:21], v[99:100]
	v_add_f64_e32 v[97:98], v[115:116], v[22:23]
	v_mul_f64_e32 v[99:100], v[4:5], v[51:52]
	v_mul_f64_e32 v[113:114], v[47:48], v[51:52]
	;; [unrolled: 1-line block ×5, first 2 shown]
	ds_load_b128 v[20:23], v37 offset:64
	ds_load_b128 v[24:27], v36 offset:2048
	;; [unrolled: 1-line block ×4, first 2 shown]
	s_wait_dscnt 0x0
	v_mul_f64_e32 v[123:124], v[34:35], v[26:27]
	v_mul_f64_e32 v[125:126], v[34:35], v[30:31]
	v_fma_f64 v[107:108], v[4:5], v[49:50], v[107:108]
	v_fma_f64 v[109:110], v[2:3], v[53:54], -v[109:110]
	v_fma_f64 v[111:112], v[4:5], v[53:54], v[111:112]
	v_add_f64_e32 v[83:84], v[67:68], v[101:102]
	v_add_f64_e32 v[85:86], v[103:104], v[69:70]
	;; [unrolled: 1-line block ×8, first 2 shown]
	v_mul_f64_e32 v[97:98], v[22:23], v[26:27]
	v_mul_f64_e32 v[101:102], v[20:21], v[26:27]
	;; [unrolled: 1-line block ×6, first 2 shown]
	v_fma_f64 v[99:100], v[2:3], v[49:50], -v[99:100]
	v_fma_f64 v[113:114], v[45:46], v[49:50], -v[113:114]
	v_fma_f64 v[127:128], v[47:48], v[49:50], v[51:52]
	v_fma_f64 v[115:116], v[45:46], v[53:54], -v[115:116]
	v_fma_f64 v[53:54], v[47:48], v[53:54], v[129:130]
	ds_load_b128 v[55:58], v37 offset:80
	ds_load_b128 v[59:62], v37 offset:2128
	;; [unrolled: 1-line block ×4, first 2 shown]
	v_fma_f64 v[123:124], v[32:33], v[24:25], -v[123:124]
	v_fma_f64 v[125:126], v[32:33], v[28:29], -v[125:126]
	v_add_f64_e32 v[83:84], v[83:84], v[117:118]
	v_add_f64_e32 v[85:86], v[119:120], v[85:86]
	;; [unrolled: 1-line block ×8, first 2 shown]
	s_wait_dscnt 0x1
	v_mul_f64_e32 v[89:90], v[57:58], v[65:66]
	v_mul_f64_e32 v[91:92], v[55:56], v[65:66]
	s_wait_dscnt 0x0
	v_mul_f64_e32 v[93:94], v[57:58], v[69:70]
	v_mul_f64_e32 v[95:96], v[55:56], v[69:70]
	;; [unrolled: 1-line block ×6, first 2 shown]
	v_fma_f64 v[97:98], v[20:21], v[24:25], -v[97:98]
	v_fma_f64 v[101:102], v[22:23], v[24:25], v[101:102]
	v_fma_f64 v[103:104], v[20:21], v[28:29], -v[103:104]
	v_fma_f64 v[105:106], v[22:23], v[28:29], v[105:106]
	v_fma_f64 v[129:130], v[34:35], v[24:25], v[26:27]
	;; [unrolled: 1-line block ×3, first 2 shown]
	ds_load_b128 v[2:5], v37 offset:96
	ds_load_b128 v[45:48], v36 offset:3072
	;; [unrolled: 1-line block ×8, first 2 shown]
	s_wait_loadcnt_dscnt 0x0
	s_barrier_signal -1
	s_barrier_wait -1
	global_inv scope:SCOPE_SE
	v_add_f64_e32 v[83:84], v[83:84], v[99:100]
	v_add_f64_e32 v[85:86], v[107:108], v[85:86]
	;; [unrolled: 1-line block ×8, first 2 shown]
	v_mul_f64_e32 v[81:82], v[4:5], v[47:48]
	v_mul_f64_e32 v[107:108], v[2:3], v[47:48]
	;; [unrolled: 1-line block ×8, first 2 shown]
	v_fma_f64 v[89:90], v[55:56], v[63:64], -v[89:90]
	v_fma_f64 v[91:92], v[57:58], v[63:64], v[91:92]
	v_fma_f64 v[55:56], v[55:56], v[67:68], -v[93:94]
	v_fma_f64 v[57:58], v[57:58], v[67:68], v[95:96]
	;; [unrolled: 2-line block ×4, first 2 shown]
	v_mul_f64_e32 v[95:96], v[22:23], v[34:35]
	v_add_f64_e32 v[65:66], v[83:84], v[97:98]
	v_add_f64_e32 v[67:68], v[101:102], v[85:86]
	;; [unrolled: 1-line block ×8, first 2 shown]
	v_mul_f64_e32 v[85:86], v[22:23], v[30:31]
	v_mul_f64_e32 v[87:88], v[20:21], v[30:31]
	;; [unrolled: 1-line block ×7, first 2 shown]
	v_fma_f64 v[81:82], v[2:3], v[45:46], -v[81:82]
	v_fma_f64 v[103:104], v[4:5], v[45:46], v[107:108]
	v_fma_f64 v[2:3], v[2:3], v[49:50], -v[109:110]
	v_fma_f64 v[4:5], v[4:5], v[49:50], v[111:112]
	v_fma_f64 v[105:106], v[71:72], v[45:46], -v[113:114]
	v_fma_f64 v[45:46], v[73:74], v[45:46], v[47:48]
	v_fma_f64 v[47:48], v[71:72], v[49:50], -v[115:116]
	v_fma_f64 v[49:50], v[73:74], v[49:50], v[51:52]
	v_add_f64_e32 v[51:52], v[65:66], v[89:90]
	v_add_f64_e32 v[65:66], v[91:92], v[67:68]
	v_add_f64_e32 v[55:56], v[69:70], v[55:56]
	v_add_f64_e32 v[57:58], v[57:58], v[75:76]
	v_add_f64_e32 v[67:68], v[83:84], v[93:94]
	v_add_f64_e32 v[63:64], v[63:64], v[77:78]
	v_add_f64_e32 v[59:60], v[79:80], v[59:60]
	v_add_f64_e32 v[53:54], v[61:62], v[53:54]
	v_fma_f64 v[61:62], v[20:21], v[28:29], -v[85:86]
	v_fma_f64 v[69:70], v[22:23], v[28:29], v[87:88]
	v_fma_f64 v[20:21], v[20:21], v[32:33], -v[95:96]
	v_fma_f64 v[22:23], v[22:23], v[32:33], v[97:98]
	;; [unrolled: 2-line block ×4, first 2 shown]
	v_add_f64_e32 v[24:25], v[51:52], v[81:82]
	v_add_f64_e32 v[26:27], v[103:104], v[65:66]
	;; [unrolled: 1-line block ×16, first 2 shown]
	s_wait_alu 0xfffe
	s_cbranch_vccz .LBB289_14
.LBB289_7:                              ;   Parent Loop BB289_4 Depth=1
                                        ; =>  This Inner Loop Header: Depth=2
	s_wait_alu 0xfffe
	v_add_co_u32 v2, s34, v38, s28
	s_wait_alu 0xf1ff
	v_add_co_ci_u32_e64 v3, null, 0, s29, s34
	s_delay_alu instid0(VALU_DEP_1)
	v_cmp_le_i64_e32 vcc_lo, s[40:41], v[2:3]
	s_or_b32 s34, s31, vcc_lo
	s_wait_alu 0xfffe
	s_and_saveexec_b32 s35, s34
	s_wait_alu 0xfffe
	s_xor_b32 s34, exec_lo, s35
; %bb.8:                                ;   in Loop: Header=BB289_7 Depth=2
	v_dual_mov_b32 v2, v1 :: v_dual_mov_b32 v3, v1
	v_mov_b32_e32 v4, v1
	ds_store_b128 v39, v[1:4]
; %bb.9:                                ;   in Loop: Header=BB289_7 Depth=2
	s_wait_alu 0xfffe
	s_and_not1_saveexec_b32 s34, s34
	s_cbranch_execz .LBB289_11
; %bb.10:                               ;   in Loop: Header=BB289_7 Depth=2
	flat_load_b128 v[2:5], v[18:19]
	s_wait_loadcnt_dscnt 0x0
	ds_store_2addr_b64 v39, v[2:3], v[4:5] offset1:1
.LBB289_11:                             ;   in Loop: Header=BB289_7 Depth=2
	s_wait_alu 0xfffe
	s_or_b32 exec_lo, exec_lo, s34
	v_add_co_u32 v2, s34, v0, s28
	s_wait_alu 0xf1ff
	v_add_co_ci_u32_e64 v3, null, 0, s29, s34
	v_mov_b32_e32 v4, 0
	v_mov_b32_e32 v5, 0
	s_delay_alu instid0(VALU_DEP_3)
	v_cmp_gt_i64_e32 vcc_lo, s[40:41], v[2:3]
	v_mov_b32_e32 v2, 0
	v_mov_b32_e32 v3, 0
	s_and_b32 s35, vcc_lo, s0
	s_wait_alu 0xfffe
	s_and_saveexec_b32 s34, s35
	s_cbranch_execz .LBB289_6
; %bb.12:                               ;   in Loop: Header=BB289_7 Depth=2
	flat_load_b128 v[2:5], v[16:17] offset:-8
	s_wait_loadcnt_dscnt 0x0
	v_xor_b32_e32 v5, 0x80000000, v5
	s_branch .LBB289_6
.LBB289_13:                             ;   in Loop: Header=BB289_4 Depth=1
	v_mov_b32_e32 v32, 0
	v_mov_b32_e32 v28, 0
	v_mov_b32_e32 v24, 0
	v_dual_mov_b32 v20, 0 :: v_dual_mov_b32 v33, 0
	v_dual_mov_b32 v34, 0 :: v_dual_mov_b32 v29, 0
	;; [unrolled: 1-line block ×5, first 2 shown]
	v_mov_b32_e32 v31, 0
	v_mov_b32_e32 v27, 0
	;; [unrolled: 1-line block ×3, first 2 shown]
.LBB289_14:                             ;   in Loop: Header=BB289_4 Depth=1
	s_wait_loadcnt 0x0
	v_add_co_u32 v4, vcc_lo, v14, s12
	s_wait_alu 0xfffd
	v_add_co_ci_u32_e64 v5, null, s13, v15, vcc_lo
	s_and_not1_b32 vcc_lo, exec_lo, s30
	s_mov_b32 s28, -1
	s_wait_alu 0xfffe
	s_cbranch_vccz .LBB289_16
; %bb.15:                               ;   in Loop: Header=BB289_4 Depth=1
	s_and_not1_b32 vcc_lo, exec_lo, s28
	s_wait_alu 0xfffe
	s_cbranch_vccnz .LBB289_3
	s_branch .LBB289_27
.LBB289_16:                             ;   in Loop: Header=BB289_4 Depth=1
	s_and_saveexec_b32 s28, s1
	s_cbranch_execz .LBB289_26
; %bb.17:                               ;   in Loop: Header=BB289_4 Depth=1
	v_lshlrev_b64_e32 v[2:3], 4, v[8:9]
	s_delay_alu instid0(VALU_DEP_1) | instskip(SKIP_1) | instid1(VALU_DEP_2)
	v_add_co_u32 v2, vcc_lo, v4, v2
	s_wait_alu 0xfffd
	v_add_co_ci_u32_e64 v3, null, v5, v3, vcc_lo
	s_and_saveexec_b32 s29, s2
	s_cbranch_execnz .LBB289_20
; %bb.18:                               ;   in Loop: Header=BB289_4 Depth=1
	s_wait_alu 0xfffe
	s_or_b32 exec_lo, exec_lo, s29
	s_and_saveexec_b32 s29, s3
	s_cbranch_execnz .LBB289_21
.LBB289_19:                             ;   in Loop: Header=BB289_4 Depth=1
	s_wait_alu 0xfffe
	s_or_b32 exec_lo, exec_lo, s29
	s_delay_alu instid0(SALU_CYCLE_1)
	s_and_b32 exec_lo, exec_lo, s4
	s_cbranch_execnz .LBB289_22
	s_branch .LBB289_26
.LBB289_20:                             ;   in Loop: Header=BB289_4 Depth=1
	v_mul_f64_e32 v[14:15], s[44:45], v[34:35]
	v_mul_f64_e32 v[16:17], s[42:43], v[34:35]
	v_lshlrev_b64_e32 v[18:19], 4, v[6:7]
	s_delay_alu instid0(VALU_DEP_1) | instskip(SKIP_1) | instid1(VALU_DEP_2)
	v_add_co_u32 v18, vcc_lo, v2, v18
	s_wait_alu 0xfffd
	v_add_co_ci_u32_e64 v19, null, v3, v19, vcc_lo
	v_fma_f64 v[14:15], s[42:43], v[32:33], -v[14:15]
	v_fma_f64 v[16:17], s[44:45], v[32:33], v[16:17]
	flat_store_b128 v[18:19], v[14:17]
	s_wait_alu 0xfffe
	s_or_b32 exec_lo, exec_lo, s29
	s_and_saveexec_b32 s29, s3
	s_cbranch_execz .LBB289_19
.LBB289_21:                             ;   in Loop: Header=BB289_4 Depth=1
	v_mul_f64_e32 v[14:15], s[44:45], v[30:31]
	v_mul_f64_e32 v[16:17], s[42:43], v[30:31]
	v_lshlrev_b64_e32 v[18:19], 4, v[6:7]
	s_delay_alu instid0(VALU_DEP_1) | instskip(SKIP_1) | instid1(VALU_DEP_2)
	v_add_co_u32 v18, vcc_lo, v2, v18
	s_wait_alu 0xfffd
	v_add_co_ci_u32_e64 v19, null, v3, v19, vcc_lo
	v_fma_f64 v[14:15], s[42:43], v[28:29], -v[14:15]
	v_fma_f64 v[16:17], s[44:45], v[28:29], v[16:17]
	flat_store_b128 v[18:19], v[14:17] offset:256
	s_wait_alu 0xfffe
	s_or_b32 exec_lo, exec_lo, s29
	s_delay_alu instid0(SALU_CYCLE_1)
	s_and_b32 exec_lo, exec_lo, s4
	s_cbranch_execz .LBB289_26
.LBB289_22:                             ;   in Loop: Header=BB289_4 Depth=1
	s_lshl_b64 s[34:35], s[26:27], 4
	v_lshlrev_b64_e32 v[14:15], 4, v[6:7]
	s_wait_alu 0xfffe
	v_add_co_u32 v2, vcc_lo, v2, s34
	s_wait_alu 0xfffd
	v_add_co_ci_u32_e64 v3, null, s35, v3, vcc_lo
	s_delay_alu instid0(VALU_DEP_2) | instskip(SKIP_1) | instid1(VALU_DEP_2)
	v_add_co_u32 v2, vcc_lo, v2, v14
	s_wait_alu 0xfffd
	v_add_co_ci_u32_e64 v3, null, v3, v15, vcc_lo
	s_and_saveexec_b32 s29, s2
	s_cbranch_execz .LBB289_24
; %bb.23:                               ;   in Loop: Header=BB289_4 Depth=1
	v_mul_f64_e32 v[14:15], s[44:45], v[26:27]
	v_mul_f64_e32 v[16:17], s[42:43], v[26:27]
	s_delay_alu instid0(VALU_DEP_2) | instskip(NEXT) | instid1(VALU_DEP_2)
	v_fma_f64 v[14:15], s[42:43], v[24:25], -v[14:15]
	v_fma_f64 v[16:17], s[44:45], v[24:25], v[16:17]
	flat_store_b128 v[2:3], v[14:17]
.LBB289_24:                             ;   in Loop: Header=BB289_4 Depth=1
	s_wait_alu 0xfffe
	s_or_b32 exec_lo, exec_lo, s29
	s_delay_alu instid0(SALU_CYCLE_1)
	s_and_b32 exec_lo, exec_lo, s3
	s_cbranch_execz .LBB289_26
; %bb.25:                               ;   in Loop: Header=BB289_4 Depth=1
	v_mul_f64_e32 v[14:15], s[44:45], v[22:23]
	v_mul_f64_e32 v[16:17], s[42:43], v[22:23]
	s_delay_alu instid0(VALU_DEP_2) | instskip(NEXT) | instid1(VALU_DEP_2)
	v_fma_f64 v[14:15], s[42:43], v[20:21], -v[14:15]
	v_fma_f64 v[16:17], s[44:45], v[20:21], v[16:17]
	flat_store_b128 v[2:3], v[14:17] offset:256
.LBB289_26:                             ;   in Loop: Header=BB289_4 Depth=1
	s_wait_alu 0xfffe
	s_or_b32 exec_lo, exec_lo, s28
	s_cbranch_execnz .LBB289_3
.LBB289_27:                             ;   in Loop: Header=BB289_4 Depth=1
	s_and_saveexec_b32 s28, s1
	s_cbranch_execz .LBB289_2
; %bb.28:                               ;   in Loop: Header=BB289_4 Depth=1
	v_add_co_u32 v2, vcc_lo, v12, s20
	v_lshlrev_b64_e32 v[14:15], 4, v[8:9]
	s_wait_alu 0xfffd
	v_add_co_ci_u32_e64 v3, null, s21, v13, vcc_lo
	s_delay_alu instid0(VALU_DEP_3) | instskip(SKIP_1) | instid1(VALU_DEP_2)
	v_add_co_u32 v12, vcc_lo, v2, v10
	s_wait_alu 0xfffd
	v_add_co_ci_u32_e64 v13, null, v3, v11, vcc_lo
	v_add_co_u32 v4, vcc_lo, v4, v14
	v_lshlrev_b64_e32 v[2:3], 4, v[6:7]
	s_wait_alu 0xfffd
	v_add_co_ci_u32_e64 v5, null, v5, v15, vcc_lo
	s_and_saveexec_b32 s29, s2
	s_cbranch_execnz .LBB289_31
; %bb.29:                               ;   in Loop: Header=BB289_4 Depth=1
	s_wait_alu 0xfffe
	s_or_b32 exec_lo, exec_lo, s29
	s_and_saveexec_b32 s29, s3
	s_cbranch_execnz .LBB289_32
.LBB289_30:                             ;   in Loop: Header=BB289_4 Depth=1
	s_wait_alu 0xfffe
	s_or_b32 exec_lo, exec_lo, s29
	s_delay_alu instid0(SALU_CYCLE_1)
	s_and_b32 exec_lo, exec_lo, s4
	s_cbranch_execz .LBB289_2
	s_branch .LBB289_33
.LBB289_31:                             ;   in Loop: Header=BB289_4 Depth=1
	v_add_co_u32 v14, vcc_lo, v12, v2
	s_wait_alu 0xfffd
	v_add_co_ci_u32_e64 v15, null, v13, v3, vcc_lo
	v_mul_f64_e32 v[18:19], s[44:45], v[34:35]
	v_mul_f64_e32 v[34:35], s[42:43], v[34:35]
	flat_load_b128 v[14:17], v[14:15]
	v_fma_f64 v[18:19], s[42:43], v[32:33], -v[18:19]
	v_fma_f64 v[32:33], s[44:45], v[32:33], v[34:35]
	s_wait_loadcnt_dscnt 0x0
	v_mul_f64_e32 v[45:46], s[16:17], v[16:17]
	v_mul_f64_e32 v[16:17], s[14:15], v[16:17]
	s_delay_alu instid0(VALU_DEP_2) | instskip(NEXT) | instid1(VALU_DEP_2)
	v_fma_f64 v[34:35], s[14:15], v[14:15], -v[45:46]
	v_fma_f64 v[16:17], s[16:17], v[14:15], v[16:17]
	s_delay_alu instid0(VALU_DEP_2) | instskip(NEXT) | instid1(VALU_DEP_2)
	v_add_f64_e32 v[14:15], v[18:19], v[34:35]
	v_add_f64_e32 v[16:17], v[32:33], v[16:17]
	v_add_co_u32 v18, vcc_lo, v4, v2
	s_wait_alu 0xfffd
	v_add_co_ci_u32_e64 v19, null, v5, v3, vcc_lo
	flat_store_b128 v[18:19], v[14:17]
	s_wait_alu 0xfffe
	s_or_b32 exec_lo, exec_lo, s29
	s_and_saveexec_b32 s29, s3
	s_cbranch_execz .LBB289_30
.LBB289_32:                             ;   in Loop: Header=BB289_4 Depth=1
	v_add_co_u32 v14, vcc_lo, v12, v2
	s_wait_alu 0xfffd
	v_add_co_ci_u32_e64 v15, null, v13, v3, vcc_lo
	v_mul_f64_e32 v[18:19], s[44:45], v[30:31]
	v_mul_f64_e32 v[30:31], s[42:43], v[30:31]
	flat_load_b128 v[14:17], v[14:15] offset:256
	v_fma_f64 v[18:19], s[42:43], v[28:29], -v[18:19]
	v_fma_f64 v[28:29], s[44:45], v[28:29], v[30:31]
	s_wait_loadcnt_dscnt 0x0
	v_mul_f64_e32 v[32:33], s[16:17], v[16:17]
	v_mul_f64_e32 v[16:17], s[14:15], v[16:17]
	s_delay_alu instid0(VALU_DEP_2) | instskip(NEXT) | instid1(VALU_DEP_2)
	v_fma_f64 v[30:31], s[14:15], v[14:15], -v[32:33]
	v_fma_f64 v[16:17], s[16:17], v[14:15], v[16:17]
	s_delay_alu instid0(VALU_DEP_2) | instskip(NEXT) | instid1(VALU_DEP_2)
	v_add_f64_e32 v[14:15], v[18:19], v[30:31]
	v_add_f64_e32 v[16:17], v[28:29], v[16:17]
	v_add_co_u32 v18, vcc_lo, v4, v2
	s_wait_alu 0xfffd
	v_add_co_ci_u32_e64 v19, null, v5, v3, vcc_lo
	flat_store_b128 v[18:19], v[14:17] offset:256
	s_wait_alu 0xfffe
	s_or_b32 exec_lo, exec_lo, s29
	s_delay_alu instid0(SALU_CYCLE_1)
	s_and_b32 exec_lo, exec_lo, s4
	s_cbranch_execz .LBB289_2
.LBB289_33:                             ;   in Loop: Header=BB289_4 Depth=1
	v_add_co_u32 v12, vcc_lo, v12, s22
	s_lshl_b64 s[34:35], s[26:27], 4
	s_wait_alu 0xfffd
	v_add_co_ci_u32_e64 v13, null, s23, v13, vcc_lo
	s_wait_alu 0xfffe
	v_add_co_u32 v14, vcc_lo, v4, s34
	s_wait_alu 0xfffd
	v_add_co_ci_u32_e64 v15, null, s35, v5, vcc_lo
	v_add_co_u32 v4, vcc_lo, v12, v2
	s_wait_alu 0xfffd
	v_add_co_ci_u32_e64 v5, null, v13, v3, vcc_lo
	;; [unrolled: 3-line block ×3, first 2 shown]
	s_and_saveexec_b32 s29, s2
	s_cbranch_execz .LBB289_35
; %bb.34:                               ;   in Loop: Header=BB289_4 Depth=1
	flat_load_b128 v[12:15], v[4:5]
	v_mul_f64_e32 v[16:17], s[44:45], v[26:27]
	v_mul_f64_e32 v[18:19], s[42:43], v[26:27]
	s_delay_alu instid0(VALU_DEP_2) | instskip(NEXT) | instid1(VALU_DEP_2)
	v_fma_f64 v[16:17], s[42:43], v[24:25], -v[16:17]
	v_fma_f64 v[18:19], s[44:45], v[24:25], v[18:19]
	s_wait_loadcnt_dscnt 0x0
	v_mul_f64_e32 v[26:27], s[16:17], v[14:15]
	v_mul_f64_e32 v[14:15], s[14:15], v[14:15]
	s_delay_alu instid0(VALU_DEP_2) | instskip(NEXT) | instid1(VALU_DEP_2)
	v_fma_f64 v[24:25], s[14:15], v[12:13], -v[26:27]
	v_fma_f64 v[14:15], s[16:17], v[12:13], v[14:15]
	s_delay_alu instid0(VALU_DEP_2) | instskip(NEXT) | instid1(VALU_DEP_2)
	v_add_f64_e32 v[12:13], v[16:17], v[24:25]
	v_add_f64_e32 v[14:15], v[18:19], v[14:15]
	flat_store_b128 v[2:3], v[12:15]
.LBB289_35:                             ;   in Loop: Header=BB289_4 Depth=1
	s_wait_alu 0xfffe
	s_or_b32 exec_lo, exec_lo, s29
	s_delay_alu instid0(SALU_CYCLE_1)
	s_and_b32 exec_lo, exec_lo, s3
	s_cbranch_execz .LBB289_2
; %bb.36:                               ;   in Loop: Header=BB289_4 Depth=1
	flat_load_b128 v[12:15], v[4:5] offset:256
	v_mul_f64_e32 v[4:5], s[44:45], v[22:23]
	v_mul_f64_e32 v[16:17], s[42:43], v[22:23]
	s_delay_alu instid0(VALU_DEP_2) | instskip(NEXT) | instid1(VALU_DEP_2)
	v_fma_f64 v[4:5], s[42:43], v[20:21], -v[4:5]
	v_fma_f64 v[16:17], s[44:45], v[20:21], v[16:17]
	s_wait_loadcnt_dscnt 0x0
	v_mul_f64_e32 v[18:19], s[16:17], v[14:15]
	v_mul_f64_e32 v[14:15], s[14:15], v[14:15]
	s_delay_alu instid0(VALU_DEP_2) | instskip(NEXT) | instid1(VALU_DEP_2)
	v_fma_f64 v[18:19], s[14:15], v[12:13], -v[18:19]
	v_fma_f64 v[14:15], s[16:17], v[12:13], v[14:15]
	s_delay_alu instid0(VALU_DEP_2) | instskip(NEXT) | instid1(VALU_DEP_2)
	v_add_f64_e32 v[12:13], v[4:5], v[18:19]
	v_add_f64_e32 v[14:15], v[16:17], v[14:15]
	flat_store_b128 v[2:3], v[12:15] offset:256
	s_branch .LBB289_2
.LBB289_37:
	s_nop 0
	s_sendmsg sendmsg(MSG_DEALLOC_VGPRS)
	s_endpgm
	.section	.rodata,"a",@progbits
	.p2align	6, 0x0
	.amdhsa_kernel _ZN12_GLOBAL__N_135rocblas_gemm_batched_general_kernelI19rocblas_complex_numIdELi16ELi16ELi32ELi32ELi8ELi32ELi8ELi8ELi32ELc84ELc67EKPKS2_S5_KPS2_EEvlllT_PT11_llSA_llS8_PT12_llPT13_lli
		.amdhsa_group_segment_fixed_size 8192
		.amdhsa_private_segment_fixed_size 0
		.amdhsa_kernarg_size 156
		.amdhsa_user_sgpr_count 2
		.amdhsa_user_sgpr_dispatch_ptr 0
		.amdhsa_user_sgpr_queue_ptr 0
		.amdhsa_user_sgpr_kernarg_segment_ptr 1
		.amdhsa_user_sgpr_dispatch_id 0
		.amdhsa_user_sgpr_private_segment_size 0
		.amdhsa_wavefront_size32 1
		.amdhsa_uses_dynamic_stack 0
		.amdhsa_enable_private_segment 0
		.amdhsa_system_sgpr_workgroup_id_x 1
		.amdhsa_system_sgpr_workgroup_id_y 1
		.amdhsa_system_sgpr_workgroup_id_z 1
		.amdhsa_system_sgpr_workgroup_info 0
		.amdhsa_system_vgpr_workitem_id 1
		.amdhsa_next_free_vgpr 133
		.amdhsa_next_free_sgpr 52
		.amdhsa_reserve_vcc 1
		.amdhsa_float_round_mode_32 0
		.amdhsa_float_round_mode_16_64 0
		.amdhsa_float_denorm_mode_32 3
		.amdhsa_float_denorm_mode_16_64 3
		.amdhsa_fp16_overflow 0
		.amdhsa_workgroup_processor_mode 1
		.amdhsa_memory_ordered 1
		.amdhsa_forward_progress 1
		.amdhsa_inst_pref_size 30
		.amdhsa_round_robin_scheduling 0
		.amdhsa_exception_fp_ieee_invalid_op 0
		.amdhsa_exception_fp_denorm_src 0
		.amdhsa_exception_fp_ieee_div_zero 0
		.amdhsa_exception_fp_ieee_overflow 0
		.amdhsa_exception_fp_ieee_underflow 0
		.amdhsa_exception_fp_ieee_inexact 0
		.amdhsa_exception_int_div_zero 0
	.end_amdhsa_kernel
	.section	.text._ZN12_GLOBAL__N_135rocblas_gemm_batched_general_kernelI19rocblas_complex_numIdELi16ELi16ELi32ELi32ELi8ELi32ELi8ELi8ELi32ELc84ELc67EKPKS2_S5_KPS2_EEvlllT_PT11_llSA_llS8_PT12_llPT13_lli,"axG",@progbits,_ZN12_GLOBAL__N_135rocblas_gemm_batched_general_kernelI19rocblas_complex_numIdELi16ELi16ELi32ELi32ELi8ELi32ELi8ELi8ELi32ELc84ELc67EKPKS2_S5_KPS2_EEvlllT_PT11_llSA_llS8_PT12_llPT13_lli,comdat
.Lfunc_end289:
	.size	_ZN12_GLOBAL__N_135rocblas_gemm_batched_general_kernelI19rocblas_complex_numIdELi16ELi16ELi32ELi32ELi8ELi32ELi8ELi8ELi32ELc84ELc67EKPKS2_S5_KPS2_EEvlllT_PT11_llSA_llS8_PT12_llPT13_lli, .Lfunc_end289-_ZN12_GLOBAL__N_135rocblas_gemm_batched_general_kernelI19rocblas_complex_numIdELi16ELi16ELi32ELi32ELi8ELi32ELi8ELi8ELi32ELc84ELc67EKPKS2_S5_KPS2_EEvlllT_PT11_llSA_llS8_PT12_llPT13_lli
                                        ; -- End function
	.set _ZN12_GLOBAL__N_135rocblas_gemm_batched_general_kernelI19rocblas_complex_numIdELi16ELi16ELi32ELi32ELi8ELi32ELi8ELi8ELi32ELc84ELc67EKPKS2_S5_KPS2_EEvlllT_PT11_llSA_llS8_PT12_llPT13_lli.num_vgpr, 133
	.set _ZN12_GLOBAL__N_135rocblas_gemm_batched_general_kernelI19rocblas_complex_numIdELi16ELi16ELi32ELi32ELi8ELi32ELi8ELi8ELi32ELc84ELc67EKPKS2_S5_KPS2_EEvlllT_PT11_llSA_llS8_PT12_llPT13_lli.num_agpr, 0
	.set _ZN12_GLOBAL__N_135rocblas_gemm_batched_general_kernelI19rocblas_complex_numIdELi16ELi16ELi32ELi32ELi8ELi32ELi8ELi8ELi32ELc84ELc67EKPKS2_S5_KPS2_EEvlllT_PT11_llSA_llS8_PT12_llPT13_lli.numbered_sgpr, 52
	.set _ZN12_GLOBAL__N_135rocblas_gemm_batched_general_kernelI19rocblas_complex_numIdELi16ELi16ELi32ELi32ELi8ELi32ELi8ELi8ELi32ELc84ELc67EKPKS2_S5_KPS2_EEvlllT_PT11_llSA_llS8_PT12_llPT13_lli.num_named_barrier, 0
	.set _ZN12_GLOBAL__N_135rocblas_gemm_batched_general_kernelI19rocblas_complex_numIdELi16ELi16ELi32ELi32ELi8ELi32ELi8ELi8ELi32ELc84ELc67EKPKS2_S5_KPS2_EEvlllT_PT11_llSA_llS8_PT12_llPT13_lli.private_seg_size, 0
	.set _ZN12_GLOBAL__N_135rocblas_gemm_batched_general_kernelI19rocblas_complex_numIdELi16ELi16ELi32ELi32ELi8ELi32ELi8ELi8ELi32ELc84ELc67EKPKS2_S5_KPS2_EEvlllT_PT11_llSA_llS8_PT12_llPT13_lli.uses_vcc, 1
	.set _ZN12_GLOBAL__N_135rocblas_gemm_batched_general_kernelI19rocblas_complex_numIdELi16ELi16ELi32ELi32ELi8ELi32ELi8ELi8ELi32ELc84ELc67EKPKS2_S5_KPS2_EEvlllT_PT11_llSA_llS8_PT12_llPT13_lli.uses_flat_scratch, 0
	.set _ZN12_GLOBAL__N_135rocblas_gemm_batched_general_kernelI19rocblas_complex_numIdELi16ELi16ELi32ELi32ELi8ELi32ELi8ELi8ELi32ELc84ELc67EKPKS2_S5_KPS2_EEvlllT_PT11_llSA_llS8_PT12_llPT13_lli.has_dyn_sized_stack, 0
	.set _ZN12_GLOBAL__N_135rocblas_gemm_batched_general_kernelI19rocblas_complex_numIdELi16ELi16ELi32ELi32ELi8ELi32ELi8ELi8ELi32ELc84ELc67EKPKS2_S5_KPS2_EEvlllT_PT11_llSA_llS8_PT12_llPT13_lli.has_recursion, 0
	.set _ZN12_GLOBAL__N_135rocblas_gemm_batched_general_kernelI19rocblas_complex_numIdELi16ELi16ELi32ELi32ELi8ELi32ELi8ELi8ELi32ELc84ELc67EKPKS2_S5_KPS2_EEvlllT_PT11_llSA_llS8_PT12_llPT13_lli.has_indirect_call, 0
	.section	.AMDGPU.csdata,"",@progbits
; Kernel info:
; codeLenInByte = 3836
; TotalNumSgprs: 54
; NumVgprs: 133
; ScratchSize: 0
; MemoryBound: 1
; FloatMode: 240
; IeeeMode: 1
; LDSByteSize: 8192 bytes/workgroup (compile time only)
; SGPRBlocks: 0
; VGPRBlocks: 16
; NumSGPRsForWavesPerEU: 54
; NumVGPRsForWavesPerEU: 133
; Occupancy: 10
; WaveLimiterHint : 1
; COMPUTE_PGM_RSRC2:SCRATCH_EN: 0
; COMPUTE_PGM_RSRC2:USER_SGPR: 2
; COMPUTE_PGM_RSRC2:TRAP_HANDLER: 0
; COMPUTE_PGM_RSRC2:TGID_X_EN: 1
; COMPUTE_PGM_RSRC2:TGID_Y_EN: 1
; COMPUTE_PGM_RSRC2:TGID_Z_EN: 1
; COMPUTE_PGM_RSRC2:TIDIG_COMP_CNT: 1
	.section	.AMDGPU.gpr_maximums,"",@progbits
	.set amdgpu.max_num_vgpr, 0
	.set amdgpu.max_num_agpr, 0
	.set amdgpu.max_num_sgpr, 0
	.section	.AMDGPU.csdata,"",@progbits
	.type	__hip_cuid_b9a5aa7b68003644,@object ; @__hip_cuid_b9a5aa7b68003644
	.section	.bss,"aw",@nobits
	.globl	__hip_cuid_b9a5aa7b68003644
__hip_cuid_b9a5aa7b68003644:
	.byte	0                               ; 0x0
	.size	__hip_cuid_b9a5aa7b68003644, 1

	.ident	"AMD clang version 22.0.0git (https://github.com/RadeonOpenCompute/llvm-project roc-7.2.4 26084 f58b06dce1f9c15707c5f808fd002e18c2accf7e)"
	.section	".note.GNU-stack","",@progbits
	.addrsig
	.addrsig_sym __hip_cuid_b9a5aa7b68003644
	.amdgpu_metadata
---
amdhsa.kernels:
  - .args:
      - .offset:         0
        .size:           4
        .value_kind:     by_value
      - .offset:         4
        .size:           4
        .value_kind:     by_value
      - .offset:         8
        .size:           2
        .value_kind:     by_value
      - .address_space:  global
        .offset:         16
        .size:           8
        .value_kind:     global_buffer
      - .offset:         24
        .size:           8
        .value_kind:     by_value
      - .offset:         32
        .size:           8
        .value_kind:     by_value
      - .offset:         40
        .size:           8
        .value_kind:     by_value
      - .offset:         48
        .size:           4
        .value_kind:     by_value
    .group_segment_fixed_size: 0
    .kernarg_segment_align: 8
    .kernarg_segment_size: 52
    .language:       OpenCL C
    .language_version:
      - 2
      - 0
    .max_flat_workgroup_size: 1024
    .name:           _ZN12_GLOBAL__N_125rocblas_gemm_scale_kernelILi32ELi32EDF16_PDF16_EEviiT1_T2_llli
    .private_segment_fixed_size: 0
    .sgpr_count:     16
    .sgpr_spill_count: 0
    .symbol:         _ZN12_GLOBAL__N_125rocblas_gemm_scale_kernelILi32ELi32EDF16_PDF16_EEviiT1_T2_llli.kd
    .uniform_work_group_size: 1
    .uses_dynamic_stack: false
    .vgpr_count:     7
    .vgpr_spill_count: 0
    .wavefront_size: 32
    .workgroup_processor_mode: 1
  - .args:
      - .offset:         0
        .size:           4
        .value_kind:     by_value
      - .offset:         4
        .size:           4
        .value_kind:     by_value
      - .offset:         8
        .size:           2
        .value_kind:     by_value
      - .address_space:  global
        .offset:         16
        .size:           8
        .value_kind:     global_buffer
      - .offset:         24
        .size:           8
        .value_kind:     by_value
      - .offset:         32
        .size:           8
        .value_kind:     by_value
      - .offset:         40
        .size:           8
        .value_kind:     by_value
      - .address_space:  global
        .offset:         48
        .size:           8
        .value_kind:     global_buffer
      - .offset:         56
        .size:           8
        .value_kind:     by_value
      - .offset:         64
        .size:           8
        .value_kind:     by_value
      - .offset:         72
        .size:           8
        .value_kind:     by_value
      - .offset:         80
        .size:           4
        .value_kind:     by_value
    .group_segment_fixed_size: 0
    .kernarg_segment_align: 8
    .kernarg_segment_size: 84
    .language:       OpenCL C
    .language_version:
      - 2
      - 0
    .max_flat_workgroup_size: 1024
    .name:           _ZN12_GLOBAL__N_120gemm_ex_scale_kernelILi32ELi32EDF16_PKDF16_PDF16_EEviiT1_T2_lllT3_llli
    .private_segment_fixed_size: 0
    .sgpr_count:     24
    .sgpr_spill_count: 0
    .symbol:         _ZN12_GLOBAL__N_120gemm_ex_scale_kernelILi32ELi32EDF16_PKDF16_PDF16_EEviiT1_T2_lllT3_llli.kd
    .uniform_work_group_size: 1
    .uses_dynamic_stack: false
    .vgpr_count:     12
    .vgpr_spill_count: 0
    .wavefront_size: 32
    .workgroup_processor_mode: 1
  - .args:
      - .offset:         0
        .size:           8
        .value_kind:     by_value
      - .offset:         8
        .size:           8
        .value_kind:     by_value
      - .offset:         16
        .size:           8
        .value_kind:     by_value
      - .offset:         24
        .size:           2
        .value_kind:     by_value
      - .address_space:  global
        .offset:         32
        .size:           8
        .value_kind:     global_buffer
      - .offset:         40
        .size:           8
        .value_kind:     by_value
      - .offset:         48
        .size:           8
        .value_kind:     by_value
      - .address_space:  global
        .offset:         56
        .size:           8
        .value_kind:     global_buffer
      - .offset:         64
        .size:           8
        .value_kind:     by_value
      - .offset:         72
        .size:           8
        .value_kind:     by_value
      - .offset:         80
        .size:           2
        .value_kind:     by_value
      - .address_space:  global
        .offset:         88
        .size:           8
        .value_kind:     global_buffer
      - .offset:         96
        .size:           8
        .value_kind:     by_value
      - .offset:         104
        .size:           8
        .value_kind:     by_value
      - .address_space:  global
        .offset:         112
        .size:           8
        .value_kind:     global_buffer
      - .offset:         120
        .size:           8
        .value_kind:     by_value
      - .offset:         128
        .size:           8
        .value_kind:     by_value
      - .offset:         136
        .size:           4
        .value_kind:     by_value
    .group_segment_fixed_size: 1024
    .kernarg_segment_align: 8
    .kernarg_segment_size: 140
    .language:       OpenCL C
    .language_version:
      - 2
      - 0
    .max_flat_workgroup_size: 256
    .name:           _ZN12_GLOBAL__N_127rocblas_gemm_batched_kernelIDF16_Li16ELi16ELi64ELi64ELi4ELi64ELi4ELi4ELi64ELc78ELc78EKDF16_S1_DF16_EEvlllT_PT11_llS4_llS2_PT12_llPT13_lli
    .private_segment_fixed_size: 0
    .sgpr_count:     38
    .sgpr_spill_count: 0
    .symbol:         _ZN12_GLOBAL__N_127rocblas_gemm_batched_kernelIDF16_Li16ELi16ELi64ELi64ELi4ELi64ELi4ELi4ELi64ELc78ELc78EKDF16_S1_DF16_EEvlllT_PT11_llS4_llS2_PT12_llPT13_lli.kd
    .uniform_work_group_size: 1
    .uses_dynamic_stack: false
    .vgpr_count:     44
    .vgpr_spill_count: 0
    .wavefront_size: 32
    .workgroup_processor_mode: 1
  - .args:
      - .offset:         0
        .size:           8
        .value_kind:     by_value
      - .offset:         8
        .size:           8
        .value_kind:     by_value
      - .offset:         16
        .size:           8
        .value_kind:     by_value
      - .offset:         24
        .size:           2
        .value_kind:     by_value
      - .address_space:  global
        .offset:         32
        .size:           8
        .value_kind:     global_buffer
      - .offset:         40
        .size:           8
        .value_kind:     by_value
      - .offset:         48
        .size:           8
        .value_kind:     by_value
      - .address_space:  global
        .offset:         56
        .size:           8
        .value_kind:     global_buffer
      - .offset:         64
        .size:           8
        .value_kind:     by_value
      - .offset:         72
        .size:           8
        .value_kind:     by_value
      - .offset:         80
        .size:           2
        .value_kind:     by_value
      - .address_space:  global
        .offset:         88
        .size:           8
        .value_kind:     global_buffer
      - .offset:         96
        .size:           8
        .value_kind:     by_value
      - .offset:         104
        .size:           8
        .value_kind:     by_value
      - .address_space:  global
        .offset:         112
        .size:           8
        .value_kind:     global_buffer
      - .offset:         120
        .size:           8
        .value_kind:     by_value
      - .offset:         128
        .size:           8
        .value_kind:     by_value
      - .offset:         136
        .size:           4
        .value_kind:     by_value
    .group_segment_fixed_size: 1024
    .kernarg_segment_align: 8
    .kernarg_segment_size: 140
    .language:       OpenCL C
    .language_version:
      - 2
      - 0
    .max_flat_workgroup_size: 256
    .name:           _ZN12_GLOBAL__N_127rocblas_gemm_batched_kernelIDF16_Li16ELi16ELi64ELi64ELi4ELi64ELi4ELi4ELi64ELc84ELc78EKDF16_S1_DF16_EEvlllT_PT11_llS4_llS2_PT12_llPT13_lli
    .private_segment_fixed_size: 0
    .sgpr_count:     42
    .sgpr_spill_count: 0
    .symbol:         _ZN12_GLOBAL__N_127rocblas_gemm_batched_kernelIDF16_Li16ELi16ELi64ELi64ELi4ELi64ELi4ELi4ELi64ELc84ELc78EKDF16_S1_DF16_EEvlllT_PT11_llS4_llS2_PT12_llPT13_lli.kd
    .uniform_work_group_size: 1
    .uses_dynamic_stack: false
    .vgpr_count:     44
    .vgpr_spill_count: 0
    .wavefront_size: 32
    .workgroup_processor_mode: 1
  - .args:
      - .offset:         0
        .size:           8
        .value_kind:     by_value
      - .offset:         8
        .size:           8
        .value_kind:     by_value
      - .offset:         16
        .size:           8
        .value_kind:     by_value
      - .offset:         24
        .size:           2
        .value_kind:     by_value
      - .address_space:  global
        .offset:         32
        .size:           8
        .value_kind:     global_buffer
      - .offset:         40
        .size:           8
        .value_kind:     by_value
      - .offset:         48
        .size:           8
        .value_kind:     by_value
      - .address_space:  global
        .offset:         56
        .size:           8
        .value_kind:     global_buffer
      - .offset:         64
        .size:           8
        .value_kind:     by_value
      - .offset:         72
        .size:           8
        .value_kind:     by_value
      - .offset:         80
        .size:           2
        .value_kind:     by_value
      - .address_space:  global
        .offset:         88
        .size:           8
        .value_kind:     global_buffer
      - .offset:         96
        .size:           8
        .value_kind:     by_value
      - .offset:         104
        .size:           8
        .value_kind:     by_value
      - .address_space:  global
        .offset:         112
        .size:           8
        .value_kind:     global_buffer
      - .offset:         120
        .size:           8
        .value_kind:     by_value
      - .offset:         128
        .size:           8
        .value_kind:     by_value
      - .offset:         136
        .size:           4
        .value_kind:     by_value
    .group_segment_fixed_size: 1024
    .kernarg_segment_align: 8
    .kernarg_segment_size: 140
    .language:       OpenCL C
    .language_version:
      - 2
      - 0
    .max_flat_workgroup_size: 256
    .name:           _ZN12_GLOBAL__N_127rocblas_gemm_batched_kernelIDF16_Li16ELi16ELi64ELi64ELi4ELi64ELi4ELi4ELi64ELc78ELc84EKDF16_S1_DF16_EEvlllT_PT11_llS4_llS2_PT12_llPT13_lli
    .private_segment_fixed_size: 0
    .sgpr_count:     39
    .sgpr_spill_count: 0
    .symbol:         _ZN12_GLOBAL__N_127rocblas_gemm_batched_kernelIDF16_Li16ELi16ELi64ELi64ELi4ELi64ELi4ELi4ELi64ELc78ELc84EKDF16_S1_DF16_EEvlllT_PT11_llS4_llS2_PT12_llPT13_lli.kd
    .uniform_work_group_size: 1
    .uses_dynamic_stack: false
    .vgpr_count:     44
    .vgpr_spill_count: 0
    .wavefront_size: 32
    .workgroup_processor_mode: 1
  - .args:
      - .offset:         0
        .size:           8
        .value_kind:     by_value
      - .offset:         8
        .size:           8
        .value_kind:     by_value
      - .offset:         16
        .size:           8
        .value_kind:     by_value
      - .offset:         24
        .size:           2
        .value_kind:     by_value
      - .address_space:  global
        .offset:         32
        .size:           8
        .value_kind:     global_buffer
      - .offset:         40
        .size:           8
        .value_kind:     by_value
      - .offset:         48
        .size:           8
        .value_kind:     by_value
      - .address_space:  global
        .offset:         56
        .size:           8
        .value_kind:     global_buffer
      - .offset:         64
        .size:           8
        .value_kind:     by_value
      - .offset:         72
        .size:           8
        .value_kind:     by_value
      - .offset:         80
        .size:           2
        .value_kind:     by_value
      - .address_space:  global
        .offset:         88
        .size:           8
        .value_kind:     global_buffer
      - .offset:         96
        .size:           8
        .value_kind:     by_value
      - .offset:         104
        .size:           8
        .value_kind:     by_value
      - .address_space:  global
        .offset:         112
        .size:           8
        .value_kind:     global_buffer
      - .offset:         120
        .size:           8
        .value_kind:     by_value
      - .offset:         128
        .size:           8
        .value_kind:     by_value
      - .offset:         136
        .size:           4
        .value_kind:     by_value
    .group_segment_fixed_size: 1024
    .kernarg_segment_align: 8
    .kernarg_segment_size: 140
    .language:       OpenCL C
    .language_version:
      - 2
      - 0
    .max_flat_workgroup_size: 256
    .name:           _ZN12_GLOBAL__N_127rocblas_gemm_batched_kernelIDF16_Li16ELi16ELi64ELi64ELi4ELi64ELi4ELi4ELi64ELc84ELc84EKDF16_S1_DF16_EEvlllT_PT11_llS4_llS2_PT12_llPT13_lli
    .private_segment_fixed_size: 0
    .sgpr_count:     40
    .sgpr_spill_count: 0
    .symbol:         _ZN12_GLOBAL__N_127rocblas_gemm_batched_kernelIDF16_Li16ELi16ELi64ELi64ELi4ELi64ELi4ELi4ELi64ELc84ELc84EKDF16_S1_DF16_EEvlllT_PT11_llS4_llS2_PT12_llPT13_lli.kd
    .uniform_work_group_size: 1
    .uses_dynamic_stack: false
    .vgpr_count:     44
    .vgpr_spill_count: 0
    .wavefront_size: 32
    .workgroup_processor_mode: 1
  - .args:
      - .offset:         0
        .size:           8
        .value_kind:     by_value
      - .offset:         8
        .size:           8
        .value_kind:     by_value
      - .offset:         16
        .size:           8
        .value_kind:     by_value
      - .offset:         24
        .size:           2
        .value_kind:     by_value
      - .address_space:  global
        .offset:         32
        .size:           8
        .value_kind:     global_buffer
      - .offset:         40
        .size:           8
        .value_kind:     by_value
      - .offset:         48
        .size:           8
        .value_kind:     by_value
      - .address_space:  global
        .offset:         56
        .size:           8
        .value_kind:     global_buffer
      - .offset:         64
        .size:           8
        .value_kind:     by_value
      - .offset:         72
        .size:           8
        .value_kind:     by_value
      - .offset:         80
        .size:           2
        .value_kind:     by_value
      - .address_space:  global
        .offset:         88
        .size:           8
        .value_kind:     global_buffer
      - .offset:         96
        .size:           8
        .value_kind:     by_value
      - .offset:         104
        .size:           8
        .value_kind:     by_value
      - .address_space:  global
        .offset:         112
        .size:           8
        .value_kind:     global_buffer
      - .offset:         120
        .size:           8
        .value_kind:     by_value
      - .offset:         128
        .size:           8
        .value_kind:     by_value
      - .offset:         136
        .size:           4
        .value_kind:     by_value
    .group_segment_fixed_size: 1024
    .kernarg_segment_align: 8
    .kernarg_segment_size: 140
    .language:       OpenCL C
    .language_version:
      - 2
      - 0
    .max_flat_workgroup_size: 256
    .name:           _ZN12_GLOBAL__N_127rocblas_gemm_batched_kernelIDF16_Li16ELi16ELi64ELi64ELi4ELi64ELi4ELi4ELi64ELc67ELc67EKDF16_S1_DF16_EEvlllT_PT11_llS4_llS2_PT12_llPT13_lli
    .private_segment_fixed_size: 0
    .sgpr_count:     40
    .sgpr_spill_count: 0
    .symbol:         _ZN12_GLOBAL__N_127rocblas_gemm_batched_kernelIDF16_Li16ELi16ELi64ELi64ELi4ELi64ELi4ELi4ELi64ELc67ELc67EKDF16_S1_DF16_EEvlllT_PT11_llS4_llS2_PT12_llPT13_lli.kd
    .uniform_work_group_size: 1
    .uses_dynamic_stack: false
    .vgpr_count:     44
    .vgpr_spill_count: 0
    .wavefront_size: 32
    .workgroup_processor_mode: 1
  - .args:
      - .offset:         0
        .size:           8
        .value_kind:     by_value
      - .offset:         8
        .size:           8
        .value_kind:     by_value
      - .offset:         16
        .size:           8
        .value_kind:     by_value
      - .offset:         24
        .size:           2
        .value_kind:     by_value
      - .address_space:  global
        .offset:         32
        .size:           8
        .value_kind:     global_buffer
      - .offset:         40
        .size:           8
        .value_kind:     by_value
      - .offset:         48
        .size:           8
        .value_kind:     by_value
      - .address_space:  global
        .offset:         56
        .size:           8
        .value_kind:     global_buffer
      - .offset:         64
        .size:           8
        .value_kind:     by_value
      - .offset:         72
        .size:           8
        .value_kind:     by_value
      - .offset:         80
        .size:           2
        .value_kind:     by_value
      - .address_space:  global
        .offset:         88
        .size:           8
        .value_kind:     global_buffer
      - .offset:         96
        .size:           8
        .value_kind:     by_value
      - .offset:         104
        .size:           8
        .value_kind:     by_value
      - .address_space:  global
        .offset:         112
        .size:           8
        .value_kind:     global_buffer
      - .offset:         120
        .size:           8
        .value_kind:     by_value
      - .offset:         128
        .size:           8
        .value_kind:     by_value
      - .offset:         136
        .size:           4
        .value_kind:     by_value
    .group_segment_fixed_size: 1024
    .kernarg_segment_align: 8
    .kernarg_segment_size: 140
    .language:       OpenCL C
    .language_version:
      - 2
      - 0
    .max_flat_workgroup_size: 256
    .name:           _ZN12_GLOBAL__N_127rocblas_gemm_batched_kernelIDF16_Li16ELi16ELi64ELi64ELi4ELi64ELi4ELi4ELi64ELc67ELc78EKDF16_S1_DF16_EEvlllT_PT11_llS4_llS2_PT12_llPT13_lli
    .private_segment_fixed_size: 0
    .sgpr_count:     42
    .sgpr_spill_count: 0
    .symbol:         _ZN12_GLOBAL__N_127rocblas_gemm_batched_kernelIDF16_Li16ELi16ELi64ELi64ELi4ELi64ELi4ELi4ELi64ELc67ELc78EKDF16_S1_DF16_EEvlllT_PT11_llS4_llS2_PT12_llPT13_lli.kd
    .uniform_work_group_size: 1
    .uses_dynamic_stack: false
    .vgpr_count:     44
    .vgpr_spill_count: 0
    .wavefront_size: 32
    .workgroup_processor_mode: 1
  - .args:
      - .offset:         0
        .size:           8
        .value_kind:     by_value
      - .offset:         8
        .size:           8
        .value_kind:     by_value
      - .offset:         16
        .size:           8
        .value_kind:     by_value
      - .offset:         24
        .size:           2
        .value_kind:     by_value
      - .address_space:  global
        .offset:         32
        .size:           8
        .value_kind:     global_buffer
      - .offset:         40
        .size:           8
        .value_kind:     by_value
      - .offset:         48
        .size:           8
        .value_kind:     by_value
      - .address_space:  global
        .offset:         56
        .size:           8
        .value_kind:     global_buffer
      - .offset:         64
        .size:           8
        .value_kind:     by_value
      - .offset:         72
        .size:           8
        .value_kind:     by_value
      - .offset:         80
        .size:           2
        .value_kind:     by_value
      - .address_space:  global
        .offset:         88
        .size:           8
        .value_kind:     global_buffer
      - .offset:         96
        .size:           8
        .value_kind:     by_value
      - .offset:         104
        .size:           8
        .value_kind:     by_value
      - .address_space:  global
        .offset:         112
        .size:           8
        .value_kind:     global_buffer
      - .offset:         120
        .size:           8
        .value_kind:     by_value
      - .offset:         128
        .size:           8
        .value_kind:     by_value
      - .offset:         136
        .size:           4
        .value_kind:     by_value
    .group_segment_fixed_size: 1024
    .kernarg_segment_align: 8
    .kernarg_segment_size: 140
    .language:       OpenCL C
    .language_version:
      - 2
      - 0
    .max_flat_workgroup_size: 256
    .name:           _ZN12_GLOBAL__N_127rocblas_gemm_batched_kernelIDF16_Li16ELi16ELi64ELi64ELi4ELi64ELi4ELi4ELi64ELc67ELc84EKDF16_S1_DF16_EEvlllT_PT11_llS4_llS2_PT12_llPT13_lli
    .private_segment_fixed_size: 0
    .sgpr_count:     40
    .sgpr_spill_count: 0
    .symbol:         _ZN12_GLOBAL__N_127rocblas_gemm_batched_kernelIDF16_Li16ELi16ELi64ELi64ELi4ELi64ELi4ELi4ELi64ELc67ELc84EKDF16_S1_DF16_EEvlllT_PT11_llS4_llS2_PT12_llPT13_lli.kd
    .uniform_work_group_size: 1
    .uses_dynamic_stack: false
    .vgpr_count:     44
    .vgpr_spill_count: 0
    .wavefront_size: 32
    .workgroup_processor_mode: 1
  - .args:
      - .offset:         0
        .size:           8
        .value_kind:     by_value
      - .offset:         8
        .size:           8
        .value_kind:     by_value
      - .offset:         16
        .size:           8
        .value_kind:     by_value
      - .offset:         24
        .size:           2
        .value_kind:     by_value
      - .address_space:  global
        .offset:         32
        .size:           8
        .value_kind:     global_buffer
      - .offset:         40
        .size:           8
        .value_kind:     by_value
      - .offset:         48
        .size:           8
        .value_kind:     by_value
      - .address_space:  global
        .offset:         56
        .size:           8
        .value_kind:     global_buffer
      - .offset:         64
        .size:           8
        .value_kind:     by_value
      - .offset:         72
        .size:           8
        .value_kind:     by_value
      - .offset:         80
        .size:           2
        .value_kind:     by_value
      - .address_space:  global
        .offset:         88
        .size:           8
        .value_kind:     global_buffer
      - .offset:         96
        .size:           8
        .value_kind:     by_value
      - .offset:         104
        .size:           8
        .value_kind:     by_value
      - .address_space:  global
        .offset:         112
        .size:           8
        .value_kind:     global_buffer
      - .offset:         120
        .size:           8
        .value_kind:     by_value
      - .offset:         128
        .size:           8
        .value_kind:     by_value
      - .offset:         136
        .size:           4
        .value_kind:     by_value
    .group_segment_fixed_size: 1024
    .kernarg_segment_align: 8
    .kernarg_segment_size: 140
    .language:       OpenCL C
    .language_version:
      - 2
      - 0
    .max_flat_workgroup_size: 256
    .name:           _ZN12_GLOBAL__N_127rocblas_gemm_batched_kernelIDF16_Li16ELi16ELi64ELi64ELi4ELi64ELi4ELi4ELi64ELc78ELc67EKDF16_S1_DF16_EEvlllT_PT11_llS4_llS2_PT12_llPT13_lli
    .private_segment_fixed_size: 0
    .sgpr_count:     39
    .sgpr_spill_count: 0
    .symbol:         _ZN12_GLOBAL__N_127rocblas_gemm_batched_kernelIDF16_Li16ELi16ELi64ELi64ELi4ELi64ELi4ELi4ELi64ELc78ELc67EKDF16_S1_DF16_EEvlllT_PT11_llS4_llS2_PT12_llPT13_lli.kd
    .uniform_work_group_size: 1
    .uses_dynamic_stack: false
    .vgpr_count:     44
    .vgpr_spill_count: 0
    .wavefront_size: 32
    .workgroup_processor_mode: 1
  - .args:
      - .offset:         0
        .size:           8
        .value_kind:     by_value
      - .offset:         8
        .size:           8
        .value_kind:     by_value
      - .offset:         16
        .size:           8
        .value_kind:     by_value
      - .offset:         24
        .size:           2
        .value_kind:     by_value
      - .address_space:  global
        .offset:         32
        .size:           8
        .value_kind:     global_buffer
      - .offset:         40
        .size:           8
        .value_kind:     by_value
      - .offset:         48
        .size:           8
        .value_kind:     by_value
      - .address_space:  global
        .offset:         56
        .size:           8
        .value_kind:     global_buffer
      - .offset:         64
        .size:           8
        .value_kind:     by_value
      - .offset:         72
        .size:           8
        .value_kind:     by_value
      - .offset:         80
        .size:           2
        .value_kind:     by_value
      - .address_space:  global
        .offset:         88
        .size:           8
        .value_kind:     global_buffer
      - .offset:         96
        .size:           8
        .value_kind:     by_value
      - .offset:         104
        .size:           8
        .value_kind:     by_value
      - .address_space:  global
        .offset:         112
        .size:           8
        .value_kind:     global_buffer
      - .offset:         120
        .size:           8
        .value_kind:     by_value
      - .offset:         128
        .size:           8
        .value_kind:     by_value
      - .offset:         136
        .size:           4
        .value_kind:     by_value
    .group_segment_fixed_size: 1024
    .kernarg_segment_align: 8
    .kernarg_segment_size: 140
    .language:       OpenCL C
    .language_version:
      - 2
      - 0
    .max_flat_workgroup_size: 256
    .name:           _ZN12_GLOBAL__N_127rocblas_gemm_batched_kernelIDF16_Li16ELi16ELi64ELi64ELi4ELi64ELi4ELi4ELi64ELc84ELc67EKDF16_S1_DF16_EEvlllT_PT11_llS4_llS2_PT12_llPT13_lli
    .private_segment_fixed_size: 0
    .sgpr_count:     40
    .sgpr_spill_count: 0
    .symbol:         _ZN12_GLOBAL__N_127rocblas_gemm_batched_kernelIDF16_Li16ELi16ELi64ELi64ELi4ELi64ELi4ELi4ELi64ELc84ELc67EKDF16_S1_DF16_EEvlllT_PT11_llS4_llS2_PT12_llPT13_lli.kd
    .uniform_work_group_size: 1
    .uses_dynamic_stack: false
    .vgpr_count:     44
    .vgpr_spill_count: 0
    .wavefront_size: 32
    .workgroup_processor_mode: 1
  - .args:
      - .offset:         0
        .size:           8
        .value_kind:     by_value
      - .offset:         8
        .size:           8
        .value_kind:     by_value
      - .offset:         16
        .size:           8
        .value_kind:     by_value
      - .offset:         24
        .size:           2
        .value_kind:     by_value
      - .address_space:  global
        .offset:         32
        .size:           8
        .value_kind:     global_buffer
      - .offset:         40
        .size:           8
        .value_kind:     by_value
      - .offset:         48
        .size:           8
        .value_kind:     by_value
      - .address_space:  global
        .offset:         56
        .size:           8
        .value_kind:     global_buffer
      - .offset:         64
        .size:           8
        .value_kind:     by_value
      - .offset:         72
        .size:           8
        .value_kind:     by_value
      - .offset:         80
        .size:           2
        .value_kind:     by_value
      - .address_space:  global
        .offset:         88
        .size:           8
        .value_kind:     global_buffer
      - .offset:         96
        .size:           8
        .value_kind:     by_value
      - .offset:         104
        .size:           8
        .value_kind:     by_value
      - .address_space:  global
        .offset:         112
        .size:           8
        .value_kind:     global_buffer
      - .offset:         120
        .size:           8
        .value_kind:     by_value
      - .offset:         128
        .size:           8
        .value_kind:     by_value
      - .offset:         136
        .size:           4
        .value_kind:     by_value
    .group_segment_fixed_size: 1024
    .kernarg_segment_align: 8
    .kernarg_segment_size: 140
    .language:       OpenCL C
    .language_version:
      - 2
      - 0
    .max_flat_workgroup_size: 256
    .name:           _ZN12_GLOBAL__N_127rocblas_gemm_batched_kernelIDF16_Li16ELi16ELi32ELi32ELi8ELi32ELi8ELi8ELi32ELc78ELc78EKDF16_S1_DF16_EEvlllT_PT11_llS4_llS2_PT12_llPT13_lli
    .private_segment_fixed_size: 0
    .sgpr_count:     38
    .sgpr_spill_count: 0
    .symbol:         _ZN12_GLOBAL__N_127rocblas_gemm_batched_kernelIDF16_Li16ELi16ELi32ELi32ELi8ELi32ELi8ELi8ELi32ELc78ELc78EKDF16_S1_DF16_EEvlllT_PT11_llS4_llS2_PT12_llPT13_lli.kd
    .uniform_work_group_size: 1
    .uses_dynamic_stack: false
    .vgpr_count:     36
    .vgpr_spill_count: 0
    .wavefront_size: 32
    .workgroup_processor_mode: 1
  - .args:
      - .offset:         0
        .size:           8
        .value_kind:     by_value
      - .offset:         8
        .size:           8
        .value_kind:     by_value
      - .offset:         16
        .size:           8
        .value_kind:     by_value
      - .offset:         24
        .size:           2
        .value_kind:     by_value
      - .address_space:  global
        .offset:         32
        .size:           8
        .value_kind:     global_buffer
      - .offset:         40
        .size:           8
        .value_kind:     by_value
      - .offset:         48
        .size:           8
        .value_kind:     by_value
      - .address_space:  global
        .offset:         56
        .size:           8
        .value_kind:     global_buffer
      - .offset:         64
        .size:           8
        .value_kind:     by_value
      - .offset:         72
        .size:           8
        .value_kind:     by_value
      - .offset:         80
        .size:           2
        .value_kind:     by_value
      - .address_space:  global
        .offset:         88
        .size:           8
        .value_kind:     global_buffer
      - .offset:         96
        .size:           8
        .value_kind:     by_value
      - .offset:         104
        .size:           8
        .value_kind:     by_value
      - .address_space:  global
        .offset:         112
        .size:           8
        .value_kind:     global_buffer
      - .offset:         120
        .size:           8
        .value_kind:     by_value
      - .offset:         128
        .size:           8
        .value_kind:     by_value
      - .offset:         136
        .size:           4
        .value_kind:     by_value
    .group_segment_fixed_size: 1024
    .kernarg_segment_align: 8
    .kernarg_segment_size: 140
    .language:       OpenCL C
    .language_version:
      - 2
      - 0
    .max_flat_workgroup_size: 256
    .name:           _ZN12_GLOBAL__N_127rocblas_gemm_batched_kernelIDF16_Li16ELi16ELi32ELi32ELi8ELi32ELi8ELi8ELi32ELc84ELc78EKDF16_S1_DF16_EEvlllT_PT11_llS4_llS2_PT12_llPT13_lli
    .private_segment_fixed_size: 0
    .sgpr_count:     38
    .sgpr_spill_count: 0
    .symbol:         _ZN12_GLOBAL__N_127rocblas_gemm_batched_kernelIDF16_Li16ELi16ELi32ELi32ELi8ELi32ELi8ELi8ELi32ELc84ELc78EKDF16_S1_DF16_EEvlllT_PT11_llS4_llS2_PT12_llPT13_lli.kd
    .uniform_work_group_size: 1
    .uses_dynamic_stack: false
    .vgpr_count:     36
    .vgpr_spill_count: 0
    .wavefront_size: 32
    .workgroup_processor_mode: 1
  - .args:
      - .offset:         0
        .size:           8
        .value_kind:     by_value
      - .offset:         8
        .size:           8
        .value_kind:     by_value
      - .offset:         16
        .size:           8
        .value_kind:     by_value
      - .offset:         24
        .size:           2
        .value_kind:     by_value
      - .address_space:  global
        .offset:         32
        .size:           8
        .value_kind:     global_buffer
      - .offset:         40
        .size:           8
        .value_kind:     by_value
      - .offset:         48
        .size:           8
        .value_kind:     by_value
      - .address_space:  global
        .offset:         56
        .size:           8
        .value_kind:     global_buffer
      - .offset:         64
        .size:           8
        .value_kind:     by_value
      - .offset:         72
        .size:           8
        .value_kind:     by_value
      - .offset:         80
        .size:           2
        .value_kind:     by_value
      - .address_space:  global
        .offset:         88
        .size:           8
        .value_kind:     global_buffer
      - .offset:         96
        .size:           8
        .value_kind:     by_value
      - .offset:         104
        .size:           8
        .value_kind:     by_value
      - .address_space:  global
        .offset:         112
        .size:           8
        .value_kind:     global_buffer
      - .offset:         120
        .size:           8
        .value_kind:     by_value
      - .offset:         128
        .size:           8
        .value_kind:     by_value
      - .offset:         136
        .size:           4
        .value_kind:     by_value
    .group_segment_fixed_size: 1024
    .kernarg_segment_align: 8
    .kernarg_segment_size: 140
    .language:       OpenCL C
    .language_version:
      - 2
      - 0
    .max_flat_workgroup_size: 256
    .name:           _ZN12_GLOBAL__N_127rocblas_gemm_batched_kernelIDF16_Li16ELi16ELi32ELi32ELi8ELi32ELi8ELi8ELi32ELc78ELc84EKDF16_S1_DF16_EEvlllT_PT11_llS4_llS2_PT12_llPT13_lli
    .private_segment_fixed_size: 0
    .sgpr_count:     40
    .sgpr_spill_count: 0
    .symbol:         _ZN12_GLOBAL__N_127rocblas_gemm_batched_kernelIDF16_Li16ELi16ELi32ELi32ELi8ELi32ELi8ELi8ELi32ELc78ELc84EKDF16_S1_DF16_EEvlllT_PT11_llS4_llS2_PT12_llPT13_lli.kd
    .uniform_work_group_size: 1
    .uses_dynamic_stack: false
    .vgpr_count:     36
    .vgpr_spill_count: 0
    .wavefront_size: 32
    .workgroup_processor_mode: 1
  - .args:
      - .offset:         0
        .size:           8
        .value_kind:     by_value
      - .offset:         8
        .size:           8
        .value_kind:     by_value
      - .offset:         16
        .size:           8
        .value_kind:     by_value
      - .offset:         24
        .size:           2
        .value_kind:     by_value
      - .address_space:  global
        .offset:         32
        .size:           8
        .value_kind:     global_buffer
      - .offset:         40
        .size:           8
        .value_kind:     by_value
      - .offset:         48
        .size:           8
        .value_kind:     by_value
      - .address_space:  global
        .offset:         56
        .size:           8
        .value_kind:     global_buffer
      - .offset:         64
        .size:           8
        .value_kind:     by_value
      - .offset:         72
        .size:           8
        .value_kind:     by_value
      - .offset:         80
        .size:           2
        .value_kind:     by_value
      - .address_space:  global
        .offset:         88
        .size:           8
        .value_kind:     global_buffer
      - .offset:         96
        .size:           8
        .value_kind:     by_value
      - .offset:         104
        .size:           8
        .value_kind:     by_value
      - .address_space:  global
        .offset:         112
        .size:           8
        .value_kind:     global_buffer
      - .offset:         120
        .size:           8
        .value_kind:     by_value
      - .offset:         128
        .size:           8
        .value_kind:     by_value
      - .offset:         136
        .size:           4
        .value_kind:     by_value
    .group_segment_fixed_size: 1024
    .kernarg_segment_align: 8
    .kernarg_segment_size: 140
    .language:       OpenCL C
    .language_version:
      - 2
      - 0
    .max_flat_workgroup_size: 256
    .name:           _ZN12_GLOBAL__N_127rocblas_gemm_batched_kernelIDF16_Li16ELi16ELi32ELi32ELi8ELi32ELi8ELi8ELi32ELc84ELc84EKDF16_S1_DF16_EEvlllT_PT11_llS4_llS2_PT12_llPT13_lli
    .private_segment_fixed_size: 0
    .sgpr_count:     40
    .sgpr_spill_count: 0
    .symbol:         _ZN12_GLOBAL__N_127rocblas_gemm_batched_kernelIDF16_Li16ELi16ELi32ELi32ELi8ELi32ELi8ELi8ELi32ELc84ELc84EKDF16_S1_DF16_EEvlllT_PT11_llS4_llS2_PT12_llPT13_lli.kd
    .uniform_work_group_size: 1
    .uses_dynamic_stack: false
    .vgpr_count:     36
    .vgpr_spill_count: 0
    .wavefront_size: 32
    .workgroup_processor_mode: 1
  - .args:
      - .offset:         0
        .size:           8
        .value_kind:     by_value
      - .offset:         8
        .size:           8
        .value_kind:     by_value
      - .offset:         16
        .size:           8
        .value_kind:     by_value
      - .offset:         24
        .size:           2
        .value_kind:     by_value
      - .address_space:  global
        .offset:         32
        .size:           8
        .value_kind:     global_buffer
      - .offset:         40
        .size:           8
        .value_kind:     by_value
      - .offset:         48
        .size:           8
        .value_kind:     by_value
      - .address_space:  global
        .offset:         56
        .size:           8
        .value_kind:     global_buffer
      - .offset:         64
        .size:           8
        .value_kind:     by_value
      - .offset:         72
        .size:           8
        .value_kind:     by_value
      - .offset:         80
        .size:           2
        .value_kind:     by_value
      - .address_space:  global
        .offset:         88
        .size:           8
        .value_kind:     global_buffer
      - .offset:         96
        .size:           8
        .value_kind:     by_value
      - .offset:         104
        .size:           8
        .value_kind:     by_value
      - .address_space:  global
        .offset:         112
        .size:           8
        .value_kind:     global_buffer
      - .offset:         120
        .size:           8
        .value_kind:     by_value
      - .offset:         128
        .size:           8
        .value_kind:     by_value
      - .offset:         136
        .size:           4
        .value_kind:     by_value
    .group_segment_fixed_size: 1024
    .kernarg_segment_align: 8
    .kernarg_segment_size: 140
    .language:       OpenCL C
    .language_version:
      - 2
      - 0
    .max_flat_workgroup_size: 256
    .name:           _ZN12_GLOBAL__N_127rocblas_gemm_batched_kernelIDF16_Li16ELi16ELi32ELi32ELi8ELi32ELi8ELi8ELi32ELc67ELc67EKDF16_S1_DF16_EEvlllT_PT11_llS4_llS2_PT12_llPT13_lli
    .private_segment_fixed_size: 0
    .sgpr_count:     40
    .sgpr_spill_count: 0
    .symbol:         _ZN12_GLOBAL__N_127rocblas_gemm_batched_kernelIDF16_Li16ELi16ELi32ELi32ELi8ELi32ELi8ELi8ELi32ELc67ELc67EKDF16_S1_DF16_EEvlllT_PT11_llS4_llS2_PT12_llPT13_lli.kd
    .uniform_work_group_size: 1
    .uses_dynamic_stack: false
    .vgpr_count:     36
    .vgpr_spill_count: 0
    .wavefront_size: 32
    .workgroup_processor_mode: 1
  - .args:
      - .offset:         0
        .size:           8
        .value_kind:     by_value
      - .offset:         8
        .size:           8
        .value_kind:     by_value
      - .offset:         16
        .size:           8
        .value_kind:     by_value
      - .offset:         24
        .size:           2
        .value_kind:     by_value
      - .address_space:  global
        .offset:         32
        .size:           8
        .value_kind:     global_buffer
      - .offset:         40
        .size:           8
        .value_kind:     by_value
      - .offset:         48
        .size:           8
        .value_kind:     by_value
      - .address_space:  global
        .offset:         56
        .size:           8
        .value_kind:     global_buffer
      - .offset:         64
        .size:           8
        .value_kind:     by_value
      - .offset:         72
        .size:           8
        .value_kind:     by_value
      - .offset:         80
        .size:           2
        .value_kind:     by_value
      - .address_space:  global
        .offset:         88
        .size:           8
        .value_kind:     global_buffer
      - .offset:         96
        .size:           8
        .value_kind:     by_value
      - .offset:         104
        .size:           8
        .value_kind:     by_value
      - .address_space:  global
        .offset:         112
        .size:           8
        .value_kind:     global_buffer
      - .offset:         120
        .size:           8
        .value_kind:     by_value
      - .offset:         128
        .size:           8
        .value_kind:     by_value
      - .offset:         136
        .size:           4
        .value_kind:     by_value
    .group_segment_fixed_size: 1024
    .kernarg_segment_align: 8
    .kernarg_segment_size: 140
    .language:       OpenCL C
    .language_version:
      - 2
      - 0
    .max_flat_workgroup_size: 256
    .name:           _ZN12_GLOBAL__N_127rocblas_gemm_batched_kernelIDF16_Li16ELi16ELi32ELi32ELi8ELi32ELi8ELi8ELi32ELc67ELc78EKDF16_S1_DF16_EEvlllT_PT11_llS4_llS2_PT12_llPT13_lli
    .private_segment_fixed_size: 0
    .sgpr_count:     38
    .sgpr_spill_count: 0
    .symbol:         _ZN12_GLOBAL__N_127rocblas_gemm_batched_kernelIDF16_Li16ELi16ELi32ELi32ELi8ELi32ELi8ELi8ELi32ELc67ELc78EKDF16_S1_DF16_EEvlllT_PT11_llS4_llS2_PT12_llPT13_lli.kd
    .uniform_work_group_size: 1
    .uses_dynamic_stack: false
    .vgpr_count:     36
    .vgpr_spill_count: 0
    .wavefront_size: 32
    .workgroup_processor_mode: 1
  - .args:
      - .offset:         0
        .size:           8
        .value_kind:     by_value
      - .offset:         8
        .size:           8
        .value_kind:     by_value
      - .offset:         16
        .size:           8
        .value_kind:     by_value
      - .offset:         24
        .size:           2
        .value_kind:     by_value
      - .address_space:  global
        .offset:         32
        .size:           8
        .value_kind:     global_buffer
      - .offset:         40
        .size:           8
        .value_kind:     by_value
      - .offset:         48
        .size:           8
        .value_kind:     by_value
      - .address_space:  global
        .offset:         56
        .size:           8
        .value_kind:     global_buffer
      - .offset:         64
        .size:           8
        .value_kind:     by_value
      - .offset:         72
        .size:           8
        .value_kind:     by_value
      - .offset:         80
        .size:           2
        .value_kind:     by_value
      - .address_space:  global
        .offset:         88
        .size:           8
        .value_kind:     global_buffer
      - .offset:         96
        .size:           8
        .value_kind:     by_value
      - .offset:         104
        .size:           8
        .value_kind:     by_value
      - .address_space:  global
        .offset:         112
        .size:           8
        .value_kind:     global_buffer
      - .offset:         120
        .size:           8
        .value_kind:     by_value
      - .offset:         128
        .size:           8
        .value_kind:     by_value
      - .offset:         136
        .size:           4
        .value_kind:     by_value
    .group_segment_fixed_size: 1024
    .kernarg_segment_align: 8
    .kernarg_segment_size: 140
    .language:       OpenCL C
    .language_version:
      - 2
      - 0
    .max_flat_workgroup_size: 256
    .name:           _ZN12_GLOBAL__N_127rocblas_gemm_batched_kernelIDF16_Li16ELi16ELi32ELi32ELi8ELi32ELi8ELi8ELi32ELc67ELc84EKDF16_S1_DF16_EEvlllT_PT11_llS4_llS2_PT12_llPT13_lli
    .private_segment_fixed_size: 0
    .sgpr_count:     40
    .sgpr_spill_count: 0
    .symbol:         _ZN12_GLOBAL__N_127rocblas_gemm_batched_kernelIDF16_Li16ELi16ELi32ELi32ELi8ELi32ELi8ELi8ELi32ELc67ELc84EKDF16_S1_DF16_EEvlllT_PT11_llS4_llS2_PT12_llPT13_lli.kd
    .uniform_work_group_size: 1
    .uses_dynamic_stack: false
    .vgpr_count:     36
    .vgpr_spill_count: 0
    .wavefront_size: 32
    .workgroup_processor_mode: 1
  - .args:
      - .offset:         0
        .size:           8
        .value_kind:     by_value
      - .offset:         8
        .size:           8
        .value_kind:     by_value
      - .offset:         16
        .size:           8
        .value_kind:     by_value
      - .offset:         24
        .size:           2
        .value_kind:     by_value
      - .address_space:  global
        .offset:         32
        .size:           8
        .value_kind:     global_buffer
      - .offset:         40
        .size:           8
        .value_kind:     by_value
      - .offset:         48
        .size:           8
        .value_kind:     by_value
      - .address_space:  global
        .offset:         56
        .size:           8
        .value_kind:     global_buffer
      - .offset:         64
        .size:           8
        .value_kind:     by_value
      - .offset:         72
        .size:           8
        .value_kind:     by_value
      - .offset:         80
        .size:           2
        .value_kind:     by_value
      - .address_space:  global
        .offset:         88
        .size:           8
        .value_kind:     global_buffer
      - .offset:         96
        .size:           8
        .value_kind:     by_value
      - .offset:         104
        .size:           8
        .value_kind:     by_value
      - .address_space:  global
        .offset:         112
        .size:           8
        .value_kind:     global_buffer
      - .offset:         120
        .size:           8
        .value_kind:     by_value
      - .offset:         128
        .size:           8
        .value_kind:     by_value
      - .offset:         136
        .size:           4
        .value_kind:     by_value
    .group_segment_fixed_size: 1024
    .kernarg_segment_align: 8
    .kernarg_segment_size: 140
    .language:       OpenCL C
    .language_version:
      - 2
      - 0
    .max_flat_workgroup_size: 256
    .name:           _ZN12_GLOBAL__N_127rocblas_gemm_batched_kernelIDF16_Li16ELi16ELi32ELi32ELi8ELi32ELi8ELi8ELi32ELc78ELc67EKDF16_S1_DF16_EEvlllT_PT11_llS4_llS2_PT12_llPT13_lli
    .private_segment_fixed_size: 0
    .sgpr_count:     40
    .sgpr_spill_count: 0
    .symbol:         _ZN12_GLOBAL__N_127rocblas_gemm_batched_kernelIDF16_Li16ELi16ELi32ELi32ELi8ELi32ELi8ELi8ELi32ELc78ELc67EKDF16_S1_DF16_EEvlllT_PT11_llS4_llS2_PT12_llPT13_lli.kd
    .uniform_work_group_size: 1
    .uses_dynamic_stack: false
    .vgpr_count:     36
    .vgpr_spill_count: 0
    .wavefront_size: 32
    .workgroup_processor_mode: 1
  - .args:
      - .offset:         0
        .size:           8
        .value_kind:     by_value
      - .offset:         8
        .size:           8
        .value_kind:     by_value
      - .offset:         16
        .size:           8
        .value_kind:     by_value
      - .offset:         24
        .size:           2
        .value_kind:     by_value
      - .address_space:  global
        .offset:         32
        .size:           8
        .value_kind:     global_buffer
      - .offset:         40
        .size:           8
        .value_kind:     by_value
      - .offset:         48
        .size:           8
        .value_kind:     by_value
      - .address_space:  global
        .offset:         56
        .size:           8
        .value_kind:     global_buffer
      - .offset:         64
        .size:           8
        .value_kind:     by_value
      - .offset:         72
        .size:           8
        .value_kind:     by_value
      - .offset:         80
        .size:           2
        .value_kind:     by_value
      - .address_space:  global
        .offset:         88
        .size:           8
        .value_kind:     global_buffer
      - .offset:         96
        .size:           8
        .value_kind:     by_value
      - .offset:         104
        .size:           8
        .value_kind:     by_value
      - .address_space:  global
        .offset:         112
        .size:           8
        .value_kind:     global_buffer
      - .offset:         120
        .size:           8
        .value_kind:     by_value
      - .offset:         128
        .size:           8
        .value_kind:     by_value
      - .offset:         136
        .size:           4
        .value_kind:     by_value
    .group_segment_fixed_size: 1024
    .kernarg_segment_align: 8
    .kernarg_segment_size: 140
    .language:       OpenCL C
    .language_version:
      - 2
      - 0
    .max_flat_workgroup_size: 256
    .name:           _ZN12_GLOBAL__N_127rocblas_gemm_batched_kernelIDF16_Li16ELi16ELi32ELi32ELi8ELi32ELi8ELi8ELi32ELc84ELc67EKDF16_S1_DF16_EEvlllT_PT11_llS4_llS2_PT12_llPT13_lli
    .private_segment_fixed_size: 0
    .sgpr_count:     40
    .sgpr_spill_count: 0
    .symbol:         _ZN12_GLOBAL__N_127rocblas_gemm_batched_kernelIDF16_Li16ELi16ELi32ELi32ELi8ELi32ELi8ELi8ELi32ELc84ELc67EKDF16_S1_DF16_EEvlllT_PT11_llS4_llS2_PT12_llPT13_lli.kd
    .uniform_work_group_size: 1
    .uses_dynamic_stack: false
    .vgpr_count:     36
    .vgpr_spill_count: 0
    .wavefront_size: 32
    .workgroup_processor_mode: 1
  - .args:
      - .offset:         0
        .size:           8
        .value_kind:     by_value
      - .offset:         8
        .size:           8
        .value_kind:     by_value
      - .offset:         16
        .size:           8
        .value_kind:     by_value
      - .offset:         24
        .size:           2
        .value_kind:     by_value
      - .address_space:  global
        .offset:         32
        .size:           8
        .value_kind:     global_buffer
      - .offset:         40
        .size:           8
        .value_kind:     by_value
      - .offset:         48
        .size:           8
        .value_kind:     by_value
      - .address_space:  global
        .offset:         56
        .size:           8
        .value_kind:     global_buffer
      - .offset:         64
        .size:           8
        .value_kind:     by_value
      - .offset:         72
        .size:           8
        .value_kind:     by_value
      - .offset:         80
        .size:           2
        .value_kind:     by_value
      - .address_space:  global
        .offset:         88
        .size:           8
        .value_kind:     global_buffer
      - .offset:         96
        .size:           8
        .value_kind:     by_value
      - .offset:         104
        .size:           8
        .value_kind:     by_value
      - .address_space:  global
        .offset:         112
        .size:           8
        .value_kind:     global_buffer
      - .offset:         120
        .size:           8
        .value_kind:     by_value
      - .offset:         128
        .size:           8
        .value_kind:     by_value
      - .offset:         136
        .size:           4
        .value_kind:     by_value
    .group_segment_fixed_size: 1024
    .kernarg_segment_align: 8
    .kernarg_segment_size: 140
    .language:       OpenCL C
    .language_version:
      - 2
      - 0
    .max_flat_workgroup_size: 256
    .name:           _ZN12_GLOBAL__N_135rocblas_gemm_batched_general_kernelIDF16_Li16ELi16ELi32ELi32ELi8ELi32ELi8ELi8ELi32ELc78ELc78EKDF16_S1_DF16_EEvlllT_PT11_llS4_llS2_PT12_llPT13_lli
    .private_segment_fixed_size: 0
    .sgpr_count:     45
    .sgpr_spill_count: 0
    .symbol:         _ZN12_GLOBAL__N_135rocblas_gemm_batched_general_kernelIDF16_Li16ELi16ELi32ELi32ELi8ELi32ELi8ELi8ELi32ELc78ELc78EKDF16_S1_DF16_EEvlllT_PT11_llS4_llS2_PT12_llPT13_lli.kd
    .uniform_work_group_size: 1
    .uses_dynamic_stack: false
    .vgpr_count:     38
    .vgpr_spill_count: 0
    .wavefront_size: 32
    .workgroup_processor_mode: 1
  - .args:
      - .offset:         0
        .size:           8
        .value_kind:     by_value
      - .offset:         8
        .size:           8
        .value_kind:     by_value
      - .offset:         16
        .size:           8
        .value_kind:     by_value
      - .offset:         24
        .size:           2
        .value_kind:     by_value
      - .address_space:  global
        .offset:         32
        .size:           8
        .value_kind:     global_buffer
      - .offset:         40
        .size:           8
        .value_kind:     by_value
      - .offset:         48
        .size:           8
        .value_kind:     by_value
      - .address_space:  global
        .offset:         56
        .size:           8
        .value_kind:     global_buffer
      - .offset:         64
        .size:           8
        .value_kind:     by_value
      - .offset:         72
        .size:           8
        .value_kind:     by_value
      - .offset:         80
        .size:           2
        .value_kind:     by_value
      - .address_space:  global
        .offset:         88
        .size:           8
        .value_kind:     global_buffer
      - .offset:         96
        .size:           8
        .value_kind:     by_value
      - .offset:         104
        .size:           8
        .value_kind:     by_value
      - .address_space:  global
        .offset:         112
        .size:           8
        .value_kind:     global_buffer
      - .offset:         120
        .size:           8
        .value_kind:     by_value
      - .offset:         128
        .size:           8
        .value_kind:     by_value
      - .offset:         136
        .size:           4
        .value_kind:     by_value
    .group_segment_fixed_size: 1024
    .kernarg_segment_align: 8
    .kernarg_segment_size: 140
    .language:       OpenCL C
    .language_version:
      - 2
      - 0
    .max_flat_workgroup_size: 256
    .name:           _ZN12_GLOBAL__N_135rocblas_gemm_batched_general_kernelIDF16_Li16ELi16ELi32ELi32ELi8ELi32ELi8ELi8ELi32ELc84ELc78EKDF16_S1_DF16_EEvlllT_PT11_llS4_llS2_PT12_llPT13_lli
    .private_segment_fixed_size: 0
    .sgpr_count:     45
    .sgpr_spill_count: 0
    .symbol:         _ZN12_GLOBAL__N_135rocblas_gemm_batched_general_kernelIDF16_Li16ELi16ELi32ELi32ELi8ELi32ELi8ELi8ELi32ELc84ELc78EKDF16_S1_DF16_EEvlllT_PT11_llS4_llS2_PT12_llPT13_lli.kd
    .uniform_work_group_size: 1
    .uses_dynamic_stack: false
    .vgpr_count:     38
    .vgpr_spill_count: 0
    .wavefront_size: 32
    .workgroup_processor_mode: 1
  - .args:
      - .offset:         0
        .size:           8
        .value_kind:     by_value
      - .offset:         8
        .size:           8
        .value_kind:     by_value
      - .offset:         16
        .size:           8
        .value_kind:     by_value
      - .offset:         24
        .size:           2
        .value_kind:     by_value
      - .address_space:  global
        .offset:         32
        .size:           8
        .value_kind:     global_buffer
      - .offset:         40
        .size:           8
        .value_kind:     by_value
      - .offset:         48
        .size:           8
        .value_kind:     by_value
      - .address_space:  global
        .offset:         56
        .size:           8
        .value_kind:     global_buffer
      - .offset:         64
        .size:           8
        .value_kind:     by_value
      - .offset:         72
        .size:           8
        .value_kind:     by_value
      - .offset:         80
        .size:           2
        .value_kind:     by_value
      - .address_space:  global
        .offset:         88
        .size:           8
        .value_kind:     global_buffer
      - .offset:         96
        .size:           8
        .value_kind:     by_value
      - .offset:         104
        .size:           8
        .value_kind:     by_value
      - .address_space:  global
        .offset:         112
        .size:           8
        .value_kind:     global_buffer
      - .offset:         120
        .size:           8
        .value_kind:     by_value
      - .offset:         128
        .size:           8
        .value_kind:     by_value
      - .offset:         136
        .size:           4
        .value_kind:     by_value
    .group_segment_fixed_size: 1024
    .kernarg_segment_align: 8
    .kernarg_segment_size: 140
    .language:       OpenCL C
    .language_version:
      - 2
      - 0
    .max_flat_workgroup_size: 256
    .name:           _ZN12_GLOBAL__N_135rocblas_gemm_batched_general_kernelIDF16_Li16ELi16ELi32ELi32ELi8ELi32ELi8ELi8ELi32ELc78ELc84EKDF16_S1_DF16_EEvlllT_PT11_llS4_llS2_PT12_llPT13_lli
    .private_segment_fixed_size: 0
    .sgpr_count:     48
    .sgpr_spill_count: 0
    .symbol:         _ZN12_GLOBAL__N_135rocblas_gemm_batched_general_kernelIDF16_Li16ELi16ELi32ELi32ELi8ELi32ELi8ELi8ELi32ELc78ELc84EKDF16_S1_DF16_EEvlllT_PT11_llS4_llS2_PT12_llPT13_lli.kd
    .uniform_work_group_size: 1
    .uses_dynamic_stack: false
    .vgpr_count:     38
    .vgpr_spill_count: 0
    .wavefront_size: 32
    .workgroup_processor_mode: 1
  - .args:
      - .offset:         0
        .size:           8
        .value_kind:     by_value
      - .offset:         8
        .size:           8
        .value_kind:     by_value
      - .offset:         16
        .size:           8
        .value_kind:     by_value
      - .offset:         24
        .size:           2
        .value_kind:     by_value
      - .address_space:  global
        .offset:         32
        .size:           8
        .value_kind:     global_buffer
      - .offset:         40
        .size:           8
        .value_kind:     by_value
      - .offset:         48
        .size:           8
        .value_kind:     by_value
      - .address_space:  global
        .offset:         56
        .size:           8
        .value_kind:     global_buffer
      - .offset:         64
        .size:           8
        .value_kind:     by_value
      - .offset:         72
        .size:           8
        .value_kind:     by_value
      - .offset:         80
        .size:           2
        .value_kind:     by_value
      - .address_space:  global
        .offset:         88
        .size:           8
        .value_kind:     global_buffer
      - .offset:         96
        .size:           8
        .value_kind:     by_value
      - .offset:         104
        .size:           8
        .value_kind:     by_value
      - .address_space:  global
        .offset:         112
        .size:           8
        .value_kind:     global_buffer
      - .offset:         120
        .size:           8
        .value_kind:     by_value
      - .offset:         128
        .size:           8
        .value_kind:     by_value
      - .offset:         136
        .size:           4
        .value_kind:     by_value
    .group_segment_fixed_size: 1024
    .kernarg_segment_align: 8
    .kernarg_segment_size: 140
    .language:       OpenCL C
    .language_version:
      - 2
      - 0
    .max_flat_workgroup_size: 256
    .name:           _ZN12_GLOBAL__N_135rocblas_gemm_batched_general_kernelIDF16_Li16ELi16ELi32ELi32ELi8ELi32ELi8ELi8ELi32ELc84ELc84EKDF16_S1_DF16_EEvlllT_PT11_llS4_llS2_PT12_llPT13_lli
    .private_segment_fixed_size: 0
    .sgpr_count:     46
    .sgpr_spill_count: 0
    .symbol:         _ZN12_GLOBAL__N_135rocblas_gemm_batched_general_kernelIDF16_Li16ELi16ELi32ELi32ELi8ELi32ELi8ELi8ELi32ELc84ELc84EKDF16_S1_DF16_EEvlllT_PT11_llS4_llS2_PT12_llPT13_lli.kd
    .uniform_work_group_size: 1
    .uses_dynamic_stack: false
    .vgpr_count:     38
    .vgpr_spill_count: 0
    .wavefront_size: 32
    .workgroup_processor_mode: 1
  - .args:
      - .offset:         0
        .size:           8
        .value_kind:     by_value
      - .offset:         8
        .size:           8
        .value_kind:     by_value
      - .offset:         16
        .size:           8
        .value_kind:     by_value
      - .offset:         24
        .size:           2
        .value_kind:     by_value
      - .address_space:  global
        .offset:         32
        .size:           8
        .value_kind:     global_buffer
      - .offset:         40
        .size:           8
        .value_kind:     by_value
      - .offset:         48
        .size:           8
        .value_kind:     by_value
      - .address_space:  global
        .offset:         56
        .size:           8
        .value_kind:     global_buffer
      - .offset:         64
        .size:           8
        .value_kind:     by_value
      - .offset:         72
        .size:           8
        .value_kind:     by_value
      - .offset:         80
        .size:           2
        .value_kind:     by_value
      - .address_space:  global
        .offset:         88
        .size:           8
        .value_kind:     global_buffer
      - .offset:         96
        .size:           8
        .value_kind:     by_value
      - .offset:         104
        .size:           8
        .value_kind:     by_value
      - .address_space:  global
        .offset:         112
        .size:           8
        .value_kind:     global_buffer
      - .offset:         120
        .size:           8
        .value_kind:     by_value
      - .offset:         128
        .size:           8
        .value_kind:     by_value
      - .offset:         136
        .size:           4
        .value_kind:     by_value
    .group_segment_fixed_size: 1024
    .kernarg_segment_align: 8
    .kernarg_segment_size: 140
    .language:       OpenCL C
    .language_version:
      - 2
      - 0
    .max_flat_workgroup_size: 256
    .name:           _ZN12_GLOBAL__N_135rocblas_gemm_batched_general_kernelIDF16_Li16ELi16ELi32ELi32ELi8ELi32ELi8ELi8ELi32ELc67ELc67EKDF16_S1_DF16_EEvlllT_PT11_llS4_llS2_PT12_llPT13_lli
    .private_segment_fixed_size: 0
    .sgpr_count:     46
    .sgpr_spill_count: 0
    .symbol:         _ZN12_GLOBAL__N_135rocblas_gemm_batched_general_kernelIDF16_Li16ELi16ELi32ELi32ELi8ELi32ELi8ELi8ELi32ELc67ELc67EKDF16_S1_DF16_EEvlllT_PT11_llS4_llS2_PT12_llPT13_lli.kd
    .uniform_work_group_size: 1
    .uses_dynamic_stack: false
    .vgpr_count:     38
    .vgpr_spill_count: 0
    .wavefront_size: 32
    .workgroup_processor_mode: 1
  - .args:
      - .offset:         0
        .size:           8
        .value_kind:     by_value
      - .offset:         8
        .size:           8
        .value_kind:     by_value
      - .offset:         16
        .size:           8
        .value_kind:     by_value
      - .offset:         24
        .size:           2
        .value_kind:     by_value
      - .address_space:  global
        .offset:         32
        .size:           8
        .value_kind:     global_buffer
      - .offset:         40
        .size:           8
        .value_kind:     by_value
      - .offset:         48
        .size:           8
        .value_kind:     by_value
      - .address_space:  global
        .offset:         56
        .size:           8
        .value_kind:     global_buffer
      - .offset:         64
        .size:           8
        .value_kind:     by_value
      - .offset:         72
        .size:           8
        .value_kind:     by_value
      - .offset:         80
        .size:           2
        .value_kind:     by_value
      - .address_space:  global
        .offset:         88
        .size:           8
        .value_kind:     global_buffer
      - .offset:         96
        .size:           8
        .value_kind:     by_value
      - .offset:         104
        .size:           8
        .value_kind:     by_value
      - .address_space:  global
        .offset:         112
        .size:           8
        .value_kind:     global_buffer
      - .offset:         120
        .size:           8
        .value_kind:     by_value
      - .offset:         128
        .size:           8
        .value_kind:     by_value
      - .offset:         136
        .size:           4
        .value_kind:     by_value
    .group_segment_fixed_size: 1024
    .kernarg_segment_align: 8
    .kernarg_segment_size: 140
    .language:       OpenCL C
    .language_version:
      - 2
      - 0
    .max_flat_workgroup_size: 256
    .name:           _ZN12_GLOBAL__N_135rocblas_gemm_batched_general_kernelIDF16_Li16ELi16ELi32ELi32ELi8ELi32ELi8ELi8ELi32ELc67ELc78EKDF16_S1_DF16_EEvlllT_PT11_llS4_llS2_PT12_llPT13_lli
    .private_segment_fixed_size: 0
    .sgpr_count:     45
    .sgpr_spill_count: 0
    .symbol:         _ZN12_GLOBAL__N_135rocblas_gemm_batched_general_kernelIDF16_Li16ELi16ELi32ELi32ELi8ELi32ELi8ELi8ELi32ELc67ELc78EKDF16_S1_DF16_EEvlllT_PT11_llS4_llS2_PT12_llPT13_lli.kd
    .uniform_work_group_size: 1
    .uses_dynamic_stack: false
    .vgpr_count:     38
    .vgpr_spill_count: 0
    .wavefront_size: 32
    .workgroup_processor_mode: 1
  - .args:
      - .offset:         0
        .size:           8
        .value_kind:     by_value
      - .offset:         8
        .size:           8
        .value_kind:     by_value
      - .offset:         16
        .size:           8
        .value_kind:     by_value
      - .offset:         24
        .size:           2
        .value_kind:     by_value
      - .address_space:  global
        .offset:         32
        .size:           8
        .value_kind:     global_buffer
      - .offset:         40
        .size:           8
        .value_kind:     by_value
      - .offset:         48
        .size:           8
        .value_kind:     by_value
      - .address_space:  global
        .offset:         56
        .size:           8
        .value_kind:     global_buffer
      - .offset:         64
        .size:           8
        .value_kind:     by_value
      - .offset:         72
        .size:           8
        .value_kind:     by_value
      - .offset:         80
        .size:           2
        .value_kind:     by_value
      - .address_space:  global
        .offset:         88
        .size:           8
        .value_kind:     global_buffer
      - .offset:         96
        .size:           8
        .value_kind:     by_value
      - .offset:         104
        .size:           8
        .value_kind:     by_value
      - .address_space:  global
        .offset:         112
        .size:           8
        .value_kind:     global_buffer
      - .offset:         120
        .size:           8
        .value_kind:     by_value
      - .offset:         128
        .size:           8
        .value_kind:     by_value
      - .offset:         136
        .size:           4
        .value_kind:     by_value
    .group_segment_fixed_size: 1024
    .kernarg_segment_align: 8
    .kernarg_segment_size: 140
    .language:       OpenCL C
    .language_version:
      - 2
      - 0
    .max_flat_workgroup_size: 256
    .name:           _ZN12_GLOBAL__N_135rocblas_gemm_batched_general_kernelIDF16_Li16ELi16ELi32ELi32ELi8ELi32ELi8ELi8ELi32ELc67ELc84EKDF16_S1_DF16_EEvlllT_PT11_llS4_llS2_PT12_llPT13_lli
    .private_segment_fixed_size: 0
    .sgpr_count:     46
    .sgpr_spill_count: 0
    .symbol:         _ZN12_GLOBAL__N_135rocblas_gemm_batched_general_kernelIDF16_Li16ELi16ELi32ELi32ELi8ELi32ELi8ELi8ELi32ELc67ELc84EKDF16_S1_DF16_EEvlllT_PT11_llS4_llS2_PT12_llPT13_lli.kd
    .uniform_work_group_size: 1
    .uses_dynamic_stack: false
    .vgpr_count:     38
    .vgpr_spill_count: 0
    .wavefront_size: 32
    .workgroup_processor_mode: 1
  - .args:
      - .offset:         0
        .size:           8
        .value_kind:     by_value
      - .offset:         8
        .size:           8
        .value_kind:     by_value
      - .offset:         16
        .size:           8
        .value_kind:     by_value
      - .offset:         24
        .size:           2
        .value_kind:     by_value
      - .address_space:  global
        .offset:         32
        .size:           8
        .value_kind:     global_buffer
      - .offset:         40
        .size:           8
        .value_kind:     by_value
      - .offset:         48
        .size:           8
        .value_kind:     by_value
      - .address_space:  global
        .offset:         56
        .size:           8
        .value_kind:     global_buffer
      - .offset:         64
        .size:           8
        .value_kind:     by_value
      - .offset:         72
        .size:           8
        .value_kind:     by_value
      - .offset:         80
        .size:           2
        .value_kind:     by_value
      - .address_space:  global
        .offset:         88
        .size:           8
        .value_kind:     global_buffer
      - .offset:         96
        .size:           8
        .value_kind:     by_value
      - .offset:         104
        .size:           8
        .value_kind:     by_value
      - .address_space:  global
        .offset:         112
        .size:           8
        .value_kind:     global_buffer
      - .offset:         120
        .size:           8
        .value_kind:     by_value
      - .offset:         128
        .size:           8
        .value_kind:     by_value
      - .offset:         136
        .size:           4
        .value_kind:     by_value
    .group_segment_fixed_size: 1024
    .kernarg_segment_align: 8
    .kernarg_segment_size: 140
    .language:       OpenCL C
    .language_version:
      - 2
      - 0
    .max_flat_workgroup_size: 256
    .name:           _ZN12_GLOBAL__N_135rocblas_gemm_batched_general_kernelIDF16_Li16ELi16ELi32ELi32ELi8ELi32ELi8ELi8ELi32ELc78ELc67EKDF16_S1_DF16_EEvlllT_PT11_llS4_llS2_PT12_llPT13_lli
    .private_segment_fixed_size: 0
    .sgpr_count:     48
    .sgpr_spill_count: 0
    .symbol:         _ZN12_GLOBAL__N_135rocblas_gemm_batched_general_kernelIDF16_Li16ELi16ELi32ELi32ELi8ELi32ELi8ELi8ELi32ELc78ELc67EKDF16_S1_DF16_EEvlllT_PT11_llS4_llS2_PT12_llPT13_lli.kd
    .uniform_work_group_size: 1
    .uses_dynamic_stack: false
    .vgpr_count:     38
    .vgpr_spill_count: 0
    .wavefront_size: 32
    .workgroup_processor_mode: 1
  - .args:
      - .offset:         0
        .size:           8
        .value_kind:     by_value
      - .offset:         8
        .size:           8
        .value_kind:     by_value
      - .offset:         16
        .size:           8
        .value_kind:     by_value
      - .offset:         24
        .size:           2
        .value_kind:     by_value
      - .address_space:  global
        .offset:         32
        .size:           8
        .value_kind:     global_buffer
      - .offset:         40
        .size:           8
        .value_kind:     by_value
      - .offset:         48
        .size:           8
        .value_kind:     by_value
      - .address_space:  global
        .offset:         56
        .size:           8
        .value_kind:     global_buffer
      - .offset:         64
        .size:           8
        .value_kind:     by_value
      - .offset:         72
        .size:           8
        .value_kind:     by_value
      - .offset:         80
        .size:           2
        .value_kind:     by_value
      - .address_space:  global
        .offset:         88
        .size:           8
        .value_kind:     global_buffer
      - .offset:         96
        .size:           8
        .value_kind:     by_value
      - .offset:         104
        .size:           8
        .value_kind:     by_value
      - .address_space:  global
        .offset:         112
        .size:           8
        .value_kind:     global_buffer
      - .offset:         120
        .size:           8
        .value_kind:     by_value
      - .offset:         128
        .size:           8
        .value_kind:     by_value
      - .offset:         136
        .size:           4
        .value_kind:     by_value
    .group_segment_fixed_size: 1024
    .kernarg_segment_align: 8
    .kernarg_segment_size: 140
    .language:       OpenCL C
    .language_version:
      - 2
      - 0
    .max_flat_workgroup_size: 256
    .name:           _ZN12_GLOBAL__N_135rocblas_gemm_batched_general_kernelIDF16_Li16ELi16ELi32ELi32ELi8ELi32ELi8ELi8ELi32ELc84ELc67EKDF16_S1_DF16_EEvlllT_PT11_llS4_llS2_PT12_llPT13_lli
    .private_segment_fixed_size: 0
    .sgpr_count:     46
    .sgpr_spill_count: 0
    .symbol:         _ZN12_GLOBAL__N_135rocblas_gemm_batched_general_kernelIDF16_Li16ELi16ELi32ELi32ELi8ELi32ELi8ELi8ELi32ELc84ELc67EKDF16_S1_DF16_EEvlllT_PT11_llS4_llS2_PT12_llPT13_lli.kd
    .uniform_work_group_size: 1
    .uses_dynamic_stack: false
    .vgpr_count:     38
    .vgpr_spill_count: 0
    .wavefront_size: 32
    .workgroup_processor_mode: 1
  - .args:
      - .offset:         0
        .size:           4
        .value_kind:     by_value
      - .offset:         4
        .size:           4
        .value_kind:     by_value
      - .offset:         8
        .size:           4
        .value_kind:     by_value
      - .address_space:  global
        .offset:         16
        .size:           8
        .value_kind:     global_buffer
      - .offset:         24
        .size:           8
        .value_kind:     by_value
      - .offset:         32
        .size:           8
        .value_kind:     by_value
      - .offset:         40
        .size:           8
        .value_kind:     by_value
      - .offset:         48
        .size:           4
        .value_kind:     by_value
    .group_segment_fixed_size: 0
    .kernarg_segment_align: 8
    .kernarg_segment_size: 52
    .language:       OpenCL C
    .language_version:
      - 2
      - 0
    .max_flat_workgroup_size: 1024
    .name:           _ZN12_GLOBAL__N_125rocblas_gemm_scale_kernelILi32ELi32EfPfEEviiT1_T2_llli
    .private_segment_fixed_size: 0
    .sgpr_count:     16
    .sgpr_spill_count: 0
    .symbol:         _ZN12_GLOBAL__N_125rocblas_gemm_scale_kernelILi32ELi32EfPfEEviiT1_T2_llli.kd
    .uniform_work_group_size: 1
    .uses_dynamic_stack: false
    .vgpr_count:     7
    .vgpr_spill_count: 0
    .wavefront_size: 32
    .workgroup_processor_mode: 1
  - .args:
      - .offset:         0
        .size:           4
        .value_kind:     by_value
      - .offset:         4
        .size:           4
        .value_kind:     by_value
      - .offset:         8
        .size:           4
        .value_kind:     by_value
      - .address_space:  global
        .offset:         16
        .size:           8
        .value_kind:     global_buffer
      - .offset:         24
        .size:           8
        .value_kind:     by_value
      - .offset:         32
        .size:           8
        .value_kind:     by_value
      - .offset:         40
        .size:           8
        .value_kind:     by_value
      - .address_space:  global
        .offset:         48
        .size:           8
        .value_kind:     global_buffer
      - .offset:         56
        .size:           8
        .value_kind:     by_value
      - .offset:         64
        .size:           8
        .value_kind:     by_value
      - .offset:         72
        .size:           8
        .value_kind:     by_value
      - .offset:         80
        .size:           4
        .value_kind:     by_value
    .group_segment_fixed_size: 0
    .kernarg_segment_align: 8
    .kernarg_segment_size: 84
    .language:       OpenCL C
    .language_version:
      - 2
      - 0
    .max_flat_workgroup_size: 1024
    .name:           _ZN12_GLOBAL__N_120gemm_ex_scale_kernelILi32ELi32EfPKfPfEEviiT1_T2_lllT3_llli
    .private_segment_fixed_size: 0
    .sgpr_count:     24
    .sgpr_spill_count: 0
    .symbol:         _ZN12_GLOBAL__N_120gemm_ex_scale_kernelILi32ELi32EfPKfPfEEviiT1_T2_lllT3_llli.kd
    .uniform_work_group_size: 1
    .uses_dynamic_stack: false
    .vgpr_count:     12
    .vgpr_spill_count: 0
    .wavefront_size: 32
    .workgroup_processor_mode: 1
  - .args:
      - .offset:         0
        .size:           8
        .value_kind:     by_value
      - .offset:         8
        .size:           8
        .value_kind:     by_value
      - .offset:         16
        .size:           8
        .value_kind:     by_value
      - .offset:         24
        .size:           4
        .value_kind:     by_value
      - .address_space:  global
        .offset:         32
        .size:           8
        .value_kind:     global_buffer
      - .offset:         40
        .size:           8
        .value_kind:     by_value
      - .offset:         48
        .size:           8
        .value_kind:     by_value
      - .address_space:  global
        .offset:         56
        .size:           8
        .value_kind:     global_buffer
      - .offset:         64
        .size:           8
        .value_kind:     by_value
      - .offset:         72
        .size:           8
        .value_kind:     by_value
      - .offset:         80
        .size:           4
        .value_kind:     by_value
      - .address_space:  global
        .offset:         88
        .size:           8
        .value_kind:     global_buffer
      - .offset:         96
        .size:           8
        .value_kind:     by_value
      - .offset:         104
        .size:           8
        .value_kind:     by_value
      - .address_space:  global
        .offset:         112
        .size:           8
        .value_kind:     global_buffer
      - .offset:         120
        .size:           8
        .value_kind:     by_value
      - .offset:         128
        .size:           8
        .value_kind:     by_value
      - .offset:         136
        .size:           4
        .value_kind:     by_value
    .group_segment_fixed_size: 2048
    .kernarg_segment_align: 8
    .kernarg_segment_size: 140
    .language:       OpenCL C
    .language_version:
      - 2
      - 0
    .max_flat_workgroup_size: 256
    .name:           _ZN12_GLOBAL__N_127rocblas_gemm_batched_kernelIfLi16ELi16ELi64ELi64ELi4ELi64ELi4ELi4ELi64ELc78ELc78EKfS1_fEEvlllT_PT11_llS4_llS2_PT12_llPT13_lli
    .private_segment_fixed_size: 0
    .sgpr_count:     38
    .sgpr_spill_count: 0
    .symbol:         _ZN12_GLOBAL__N_127rocblas_gemm_batched_kernelIfLi16ELi16ELi64ELi64ELi4ELi64ELi4ELi4ELi64ELc78ELc78EKfS1_fEEvlllT_PT11_llS4_llS2_PT12_llPT13_lli.kd
    .uniform_work_group_size: 1
    .uses_dynamic_stack: false
    .vgpr_count:     66
    .vgpr_spill_count: 0
    .wavefront_size: 32
    .workgroup_processor_mode: 1
  - .args:
      - .offset:         0
        .size:           8
        .value_kind:     by_value
      - .offset:         8
        .size:           8
        .value_kind:     by_value
      - .offset:         16
        .size:           8
        .value_kind:     by_value
      - .offset:         24
        .size:           4
        .value_kind:     by_value
      - .address_space:  global
        .offset:         32
        .size:           8
        .value_kind:     global_buffer
      - .offset:         40
        .size:           8
        .value_kind:     by_value
      - .offset:         48
        .size:           8
        .value_kind:     by_value
      - .address_space:  global
        .offset:         56
        .size:           8
        .value_kind:     global_buffer
      - .offset:         64
        .size:           8
        .value_kind:     by_value
      - .offset:         72
        .size:           8
        .value_kind:     by_value
      - .offset:         80
        .size:           4
        .value_kind:     by_value
      - .address_space:  global
        .offset:         88
        .size:           8
        .value_kind:     global_buffer
      - .offset:         96
        .size:           8
        .value_kind:     by_value
      - .offset:         104
        .size:           8
        .value_kind:     by_value
      - .address_space:  global
        .offset:         112
        .size:           8
        .value_kind:     global_buffer
      - .offset:         120
        .size:           8
        .value_kind:     by_value
      - .offset:         128
        .size:           8
        .value_kind:     by_value
      - .offset:         136
        .size:           4
        .value_kind:     by_value
    .group_segment_fixed_size: 2048
    .kernarg_segment_align: 8
    .kernarg_segment_size: 140
    .language:       OpenCL C
    .language_version:
      - 2
      - 0
    .max_flat_workgroup_size: 256
    .name:           _ZN12_GLOBAL__N_127rocblas_gemm_batched_kernelIfLi16ELi16ELi64ELi64ELi4ELi64ELi4ELi4ELi64ELc84ELc78EKfS1_fEEvlllT_PT11_llS4_llS2_PT12_llPT13_lli
    .private_segment_fixed_size: 0
    .sgpr_count:     40
    .sgpr_spill_count: 0
    .symbol:         _ZN12_GLOBAL__N_127rocblas_gemm_batched_kernelIfLi16ELi16ELi64ELi64ELi4ELi64ELi4ELi4ELi64ELc84ELc78EKfS1_fEEvlllT_PT11_llS4_llS2_PT12_llPT13_lli.kd
    .uniform_work_group_size: 1
    .uses_dynamic_stack: false
    .vgpr_count:     66
    .vgpr_spill_count: 0
    .wavefront_size: 32
    .workgroup_processor_mode: 1
  - .args:
      - .offset:         0
        .size:           8
        .value_kind:     by_value
      - .offset:         8
        .size:           8
        .value_kind:     by_value
      - .offset:         16
        .size:           8
        .value_kind:     by_value
      - .offset:         24
        .size:           4
        .value_kind:     by_value
      - .address_space:  global
        .offset:         32
        .size:           8
        .value_kind:     global_buffer
      - .offset:         40
        .size:           8
        .value_kind:     by_value
      - .offset:         48
        .size:           8
        .value_kind:     by_value
      - .address_space:  global
        .offset:         56
        .size:           8
        .value_kind:     global_buffer
      - .offset:         64
        .size:           8
        .value_kind:     by_value
      - .offset:         72
        .size:           8
        .value_kind:     by_value
      - .offset:         80
        .size:           4
        .value_kind:     by_value
      - .address_space:  global
        .offset:         88
        .size:           8
        .value_kind:     global_buffer
      - .offset:         96
        .size:           8
        .value_kind:     by_value
      - .offset:         104
        .size:           8
        .value_kind:     by_value
      - .address_space:  global
        .offset:         112
        .size:           8
        .value_kind:     global_buffer
      - .offset:         120
        .size:           8
        .value_kind:     by_value
      - .offset:         128
        .size:           8
        .value_kind:     by_value
      - .offset:         136
        .size:           4
        .value_kind:     by_value
    .group_segment_fixed_size: 2048
    .kernarg_segment_align: 8
    .kernarg_segment_size: 140
    .language:       OpenCL C
    .language_version:
      - 2
      - 0
    .max_flat_workgroup_size: 256
    .name:           _ZN12_GLOBAL__N_127rocblas_gemm_batched_kernelIfLi16ELi16ELi64ELi64ELi4ELi64ELi4ELi4ELi64ELc78ELc84EKfS1_fEEvlllT_PT11_llS4_llS2_PT12_llPT13_lli
    .private_segment_fixed_size: 0
    .sgpr_count:     39
    .sgpr_spill_count: 0
    .symbol:         _ZN12_GLOBAL__N_127rocblas_gemm_batched_kernelIfLi16ELi16ELi64ELi64ELi4ELi64ELi4ELi4ELi64ELc78ELc84EKfS1_fEEvlllT_PT11_llS4_llS2_PT12_llPT13_lli.kd
    .uniform_work_group_size: 1
    .uses_dynamic_stack: false
    .vgpr_count:     66
    .vgpr_spill_count: 0
    .wavefront_size: 32
    .workgroup_processor_mode: 1
  - .args:
      - .offset:         0
        .size:           8
        .value_kind:     by_value
      - .offset:         8
        .size:           8
        .value_kind:     by_value
      - .offset:         16
        .size:           8
        .value_kind:     by_value
      - .offset:         24
        .size:           4
        .value_kind:     by_value
      - .address_space:  global
        .offset:         32
        .size:           8
        .value_kind:     global_buffer
      - .offset:         40
        .size:           8
        .value_kind:     by_value
      - .offset:         48
        .size:           8
        .value_kind:     by_value
      - .address_space:  global
        .offset:         56
        .size:           8
        .value_kind:     global_buffer
      - .offset:         64
        .size:           8
        .value_kind:     by_value
      - .offset:         72
        .size:           8
        .value_kind:     by_value
      - .offset:         80
        .size:           4
        .value_kind:     by_value
      - .address_space:  global
        .offset:         88
        .size:           8
        .value_kind:     global_buffer
      - .offset:         96
        .size:           8
        .value_kind:     by_value
      - .offset:         104
        .size:           8
        .value_kind:     by_value
      - .address_space:  global
        .offset:         112
        .size:           8
        .value_kind:     global_buffer
      - .offset:         120
        .size:           8
        .value_kind:     by_value
      - .offset:         128
        .size:           8
        .value_kind:     by_value
      - .offset:         136
        .size:           4
        .value_kind:     by_value
    .group_segment_fixed_size: 2048
    .kernarg_segment_align: 8
    .kernarg_segment_size: 140
    .language:       OpenCL C
    .language_version:
      - 2
      - 0
    .max_flat_workgroup_size: 256
    .name:           _ZN12_GLOBAL__N_127rocblas_gemm_batched_kernelIfLi16ELi16ELi64ELi64ELi4ELi64ELi4ELi4ELi64ELc84ELc84EKfS1_fEEvlllT_PT11_llS4_llS2_PT12_llPT13_lli
    .private_segment_fixed_size: 0
    .sgpr_count:     40
    .sgpr_spill_count: 0
    .symbol:         _ZN12_GLOBAL__N_127rocblas_gemm_batched_kernelIfLi16ELi16ELi64ELi64ELi4ELi64ELi4ELi4ELi64ELc84ELc84EKfS1_fEEvlllT_PT11_llS4_llS2_PT12_llPT13_lli.kd
    .uniform_work_group_size: 1
    .uses_dynamic_stack: false
    .vgpr_count:     66
    .vgpr_spill_count: 0
    .wavefront_size: 32
    .workgroup_processor_mode: 1
  - .args:
      - .offset:         0
        .size:           8
        .value_kind:     by_value
      - .offset:         8
        .size:           8
        .value_kind:     by_value
      - .offset:         16
        .size:           8
        .value_kind:     by_value
      - .offset:         24
        .size:           4
        .value_kind:     by_value
      - .address_space:  global
        .offset:         32
        .size:           8
        .value_kind:     global_buffer
      - .offset:         40
        .size:           8
        .value_kind:     by_value
      - .offset:         48
        .size:           8
        .value_kind:     by_value
      - .address_space:  global
        .offset:         56
        .size:           8
        .value_kind:     global_buffer
      - .offset:         64
        .size:           8
        .value_kind:     by_value
      - .offset:         72
        .size:           8
        .value_kind:     by_value
      - .offset:         80
        .size:           4
        .value_kind:     by_value
      - .address_space:  global
        .offset:         88
        .size:           8
        .value_kind:     global_buffer
      - .offset:         96
        .size:           8
        .value_kind:     by_value
      - .offset:         104
        .size:           8
        .value_kind:     by_value
      - .address_space:  global
        .offset:         112
        .size:           8
        .value_kind:     global_buffer
      - .offset:         120
        .size:           8
        .value_kind:     by_value
      - .offset:         128
        .size:           8
        .value_kind:     by_value
      - .offset:         136
        .size:           4
        .value_kind:     by_value
    .group_segment_fixed_size: 2048
    .kernarg_segment_align: 8
    .kernarg_segment_size: 140
    .language:       OpenCL C
    .language_version:
      - 2
      - 0
    .max_flat_workgroup_size: 256
    .name:           _ZN12_GLOBAL__N_127rocblas_gemm_batched_kernelIfLi16ELi16ELi64ELi64ELi4ELi64ELi4ELi4ELi64ELc67ELc67EKfS1_fEEvlllT_PT11_llS4_llS2_PT12_llPT13_lli
    .private_segment_fixed_size: 0
    .sgpr_count:     40
    .sgpr_spill_count: 0
    .symbol:         _ZN12_GLOBAL__N_127rocblas_gemm_batched_kernelIfLi16ELi16ELi64ELi64ELi4ELi64ELi4ELi4ELi64ELc67ELc67EKfS1_fEEvlllT_PT11_llS4_llS2_PT12_llPT13_lli.kd
    .uniform_work_group_size: 1
    .uses_dynamic_stack: false
    .vgpr_count:     66
    .vgpr_spill_count: 0
    .wavefront_size: 32
    .workgroup_processor_mode: 1
  - .args:
      - .offset:         0
        .size:           8
        .value_kind:     by_value
      - .offset:         8
        .size:           8
        .value_kind:     by_value
      - .offset:         16
        .size:           8
        .value_kind:     by_value
      - .offset:         24
        .size:           4
        .value_kind:     by_value
      - .address_space:  global
        .offset:         32
        .size:           8
        .value_kind:     global_buffer
      - .offset:         40
        .size:           8
        .value_kind:     by_value
      - .offset:         48
        .size:           8
        .value_kind:     by_value
      - .address_space:  global
        .offset:         56
        .size:           8
        .value_kind:     global_buffer
      - .offset:         64
        .size:           8
        .value_kind:     by_value
      - .offset:         72
        .size:           8
        .value_kind:     by_value
      - .offset:         80
        .size:           4
        .value_kind:     by_value
      - .address_space:  global
        .offset:         88
        .size:           8
        .value_kind:     global_buffer
      - .offset:         96
        .size:           8
        .value_kind:     by_value
      - .offset:         104
        .size:           8
        .value_kind:     by_value
      - .address_space:  global
        .offset:         112
        .size:           8
        .value_kind:     global_buffer
      - .offset:         120
        .size:           8
        .value_kind:     by_value
      - .offset:         128
        .size:           8
        .value_kind:     by_value
      - .offset:         136
        .size:           4
        .value_kind:     by_value
    .group_segment_fixed_size: 2048
    .kernarg_segment_align: 8
    .kernarg_segment_size: 140
    .language:       OpenCL C
    .language_version:
      - 2
      - 0
    .max_flat_workgroup_size: 256
    .name:           _ZN12_GLOBAL__N_127rocblas_gemm_batched_kernelIfLi16ELi16ELi64ELi64ELi4ELi64ELi4ELi4ELi64ELc67ELc78EKfS1_fEEvlllT_PT11_llS4_llS2_PT12_llPT13_lli
    .private_segment_fixed_size: 0
    .sgpr_count:     40
    .sgpr_spill_count: 0
    .symbol:         _ZN12_GLOBAL__N_127rocblas_gemm_batched_kernelIfLi16ELi16ELi64ELi64ELi4ELi64ELi4ELi4ELi64ELc67ELc78EKfS1_fEEvlllT_PT11_llS4_llS2_PT12_llPT13_lli.kd
    .uniform_work_group_size: 1
    .uses_dynamic_stack: false
    .vgpr_count:     66
    .vgpr_spill_count: 0
    .wavefront_size: 32
    .workgroup_processor_mode: 1
  - .args:
      - .offset:         0
        .size:           8
        .value_kind:     by_value
      - .offset:         8
        .size:           8
        .value_kind:     by_value
      - .offset:         16
        .size:           8
        .value_kind:     by_value
      - .offset:         24
        .size:           4
        .value_kind:     by_value
      - .address_space:  global
        .offset:         32
        .size:           8
        .value_kind:     global_buffer
      - .offset:         40
        .size:           8
        .value_kind:     by_value
      - .offset:         48
        .size:           8
        .value_kind:     by_value
      - .address_space:  global
        .offset:         56
        .size:           8
        .value_kind:     global_buffer
      - .offset:         64
        .size:           8
        .value_kind:     by_value
      - .offset:         72
        .size:           8
        .value_kind:     by_value
      - .offset:         80
        .size:           4
        .value_kind:     by_value
      - .address_space:  global
        .offset:         88
        .size:           8
        .value_kind:     global_buffer
      - .offset:         96
        .size:           8
        .value_kind:     by_value
      - .offset:         104
        .size:           8
        .value_kind:     by_value
      - .address_space:  global
        .offset:         112
        .size:           8
        .value_kind:     global_buffer
      - .offset:         120
        .size:           8
        .value_kind:     by_value
      - .offset:         128
        .size:           8
        .value_kind:     by_value
      - .offset:         136
        .size:           4
        .value_kind:     by_value
    .group_segment_fixed_size: 2048
    .kernarg_segment_align: 8
    .kernarg_segment_size: 140
    .language:       OpenCL C
    .language_version:
      - 2
      - 0
    .max_flat_workgroup_size: 256
    .name:           _ZN12_GLOBAL__N_127rocblas_gemm_batched_kernelIfLi16ELi16ELi64ELi64ELi4ELi64ELi4ELi4ELi64ELc67ELc84EKfS1_fEEvlllT_PT11_llS4_llS2_PT12_llPT13_lli
    .private_segment_fixed_size: 0
    .sgpr_count:     40
    .sgpr_spill_count: 0
    .symbol:         _ZN12_GLOBAL__N_127rocblas_gemm_batched_kernelIfLi16ELi16ELi64ELi64ELi4ELi64ELi4ELi4ELi64ELc67ELc84EKfS1_fEEvlllT_PT11_llS4_llS2_PT12_llPT13_lli.kd
    .uniform_work_group_size: 1
    .uses_dynamic_stack: false
    .vgpr_count:     66
    .vgpr_spill_count: 0
    .wavefront_size: 32
    .workgroup_processor_mode: 1
  - .args:
      - .offset:         0
        .size:           8
        .value_kind:     by_value
      - .offset:         8
        .size:           8
        .value_kind:     by_value
      - .offset:         16
        .size:           8
        .value_kind:     by_value
      - .offset:         24
        .size:           4
        .value_kind:     by_value
      - .address_space:  global
        .offset:         32
        .size:           8
        .value_kind:     global_buffer
      - .offset:         40
        .size:           8
        .value_kind:     by_value
      - .offset:         48
        .size:           8
        .value_kind:     by_value
      - .address_space:  global
        .offset:         56
        .size:           8
        .value_kind:     global_buffer
      - .offset:         64
        .size:           8
        .value_kind:     by_value
      - .offset:         72
        .size:           8
        .value_kind:     by_value
      - .offset:         80
        .size:           4
        .value_kind:     by_value
      - .address_space:  global
        .offset:         88
        .size:           8
        .value_kind:     global_buffer
      - .offset:         96
        .size:           8
        .value_kind:     by_value
      - .offset:         104
        .size:           8
        .value_kind:     by_value
      - .address_space:  global
        .offset:         112
        .size:           8
        .value_kind:     global_buffer
      - .offset:         120
        .size:           8
        .value_kind:     by_value
      - .offset:         128
        .size:           8
        .value_kind:     by_value
      - .offset:         136
        .size:           4
        .value_kind:     by_value
    .group_segment_fixed_size: 2048
    .kernarg_segment_align: 8
    .kernarg_segment_size: 140
    .language:       OpenCL C
    .language_version:
      - 2
      - 0
    .max_flat_workgroup_size: 256
    .name:           _ZN12_GLOBAL__N_127rocblas_gemm_batched_kernelIfLi16ELi16ELi64ELi64ELi4ELi64ELi4ELi4ELi64ELc78ELc67EKfS1_fEEvlllT_PT11_llS4_llS2_PT12_llPT13_lli
    .private_segment_fixed_size: 0
    .sgpr_count:     39
    .sgpr_spill_count: 0
    .symbol:         _ZN12_GLOBAL__N_127rocblas_gemm_batched_kernelIfLi16ELi16ELi64ELi64ELi4ELi64ELi4ELi4ELi64ELc78ELc67EKfS1_fEEvlllT_PT11_llS4_llS2_PT12_llPT13_lli.kd
    .uniform_work_group_size: 1
    .uses_dynamic_stack: false
    .vgpr_count:     66
    .vgpr_spill_count: 0
    .wavefront_size: 32
    .workgroup_processor_mode: 1
  - .args:
      - .offset:         0
        .size:           8
        .value_kind:     by_value
      - .offset:         8
        .size:           8
        .value_kind:     by_value
      - .offset:         16
        .size:           8
        .value_kind:     by_value
      - .offset:         24
        .size:           4
        .value_kind:     by_value
      - .address_space:  global
        .offset:         32
        .size:           8
        .value_kind:     global_buffer
      - .offset:         40
        .size:           8
        .value_kind:     by_value
      - .offset:         48
        .size:           8
        .value_kind:     by_value
      - .address_space:  global
        .offset:         56
        .size:           8
        .value_kind:     global_buffer
      - .offset:         64
        .size:           8
        .value_kind:     by_value
      - .offset:         72
        .size:           8
        .value_kind:     by_value
      - .offset:         80
        .size:           4
        .value_kind:     by_value
      - .address_space:  global
        .offset:         88
        .size:           8
        .value_kind:     global_buffer
      - .offset:         96
        .size:           8
        .value_kind:     by_value
      - .offset:         104
        .size:           8
        .value_kind:     by_value
      - .address_space:  global
        .offset:         112
        .size:           8
        .value_kind:     global_buffer
      - .offset:         120
        .size:           8
        .value_kind:     by_value
      - .offset:         128
        .size:           8
        .value_kind:     by_value
      - .offset:         136
        .size:           4
        .value_kind:     by_value
    .group_segment_fixed_size: 2048
    .kernarg_segment_align: 8
    .kernarg_segment_size: 140
    .language:       OpenCL C
    .language_version:
      - 2
      - 0
    .max_flat_workgroup_size: 256
    .name:           _ZN12_GLOBAL__N_127rocblas_gemm_batched_kernelIfLi16ELi16ELi64ELi64ELi4ELi64ELi4ELi4ELi64ELc84ELc67EKfS1_fEEvlllT_PT11_llS4_llS2_PT12_llPT13_lli
    .private_segment_fixed_size: 0
    .sgpr_count:     40
    .sgpr_spill_count: 0
    .symbol:         _ZN12_GLOBAL__N_127rocblas_gemm_batched_kernelIfLi16ELi16ELi64ELi64ELi4ELi64ELi4ELi4ELi64ELc84ELc67EKfS1_fEEvlllT_PT11_llS4_llS2_PT12_llPT13_lli.kd
    .uniform_work_group_size: 1
    .uses_dynamic_stack: false
    .vgpr_count:     66
    .vgpr_spill_count: 0
    .wavefront_size: 32
    .workgroup_processor_mode: 1
  - .args:
      - .offset:         0
        .size:           8
        .value_kind:     by_value
      - .offset:         8
        .size:           8
        .value_kind:     by_value
      - .offset:         16
        .size:           8
        .value_kind:     by_value
      - .offset:         24
        .size:           4
        .value_kind:     by_value
      - .address_space:  global
        .offset:         32
        .size:           8
        .value_kind:     global_buffer
      - .offset:         40
        .size:           8
        .value_kind:     by_value
      - .offset:         48
        .size:           8
        .value_kind:     by_value
      - .address_space:  global
        .offset:         56
        .size:           8
        .value_kind:     global_buffer
      - .offset:         64
        .size:           8
        .value_kind:     by_value
      - .offset:         72
        .size:           8
        .value_kind:     by_value
      - .offset:         80
        .size:           4
        .value_kind:     by_value
      - .address_space:  global
        .offset:         88
        .size:           8
        .value_kind:     global_buffer
      - .offset:         96
        .size:           8
        .value_kind:     by_value
      - .offset:         104
        .size:           8
        .value_kind:     by_value
      - .address_space:  global
        .offset:         112
        .size:           8
        .value_kind:     global_buffer
      - .offset:         120
        .size:           8
        .value_kind:     by_value
      - .offset:         128
        .size:           8
        .value_kind:     by_value
      - .offset:         136
        .size:           4
        .value_kind:     by_value
    .group_segment_fixed_size: 2048
    .kernarg_segment_align: 8
    .kernarg_segment_size: 140
    .language:       OpenCL C
    .language_version:
      - 2
      - 0
    .max_flat_workgroup_size: 256
    .name:           _ZN12_GLOBAL__N_127rocblas_gemm_batched_kernelIfLi16ELi16ELi32ELi32ELi8ELi32ELi8ELi8ELi32ELc78ELc78EKfS1_fEEvlllT_PT11_llS4_llS2_PT12_llPT13_lli
    .private_segment_fixed_size: 0
    .sgpr_count:     38
    .sgpr_spill_count: 0
    .symbol:         _ZN12_GLOBAL__N_127rocblas_gemm_batched_kernelIfLi16ELi16ELi32ELi32ELi8ELi32ELi8ELi8ELi32ELc78ELc78EKfS1_fEEvlllT_PT11_llS4_llS2_PT12_llPT13_lli.kd
    .uniform_work_group_size: 1
    .uses_dynamic_stack: false
    .vgpr_count:     48
    .vgpr_spill_count: 0
    .wavefront_size: 32
    .workgroup_processor_mode: 1
  - .args:
      - .offset:         0
        .size:           8
        .value_kind:     by_value
      - .offset:         8
        .size:           8
        .value_kind:     by_value
      - .offset:         16
        .size:           8
        .value_kind:     by_value
      - .offset:         24
        .size:           4
        .value_kind:     by_value
      - .address_space:  global
        .offset:         32
        .size:           8
        .value_kind:     global_buffer
      - .offset:         40
        .size:           8
        .value_kind:     by_value
      - .offset:         48
        .size:           8
        .value_kind:     by_value
      - .address_space:  global
        .offset:         56
        .size:           8
        .value_kind:     global_buffer
      - .offset:         64
        .size:           8
        .value_kind:     by_value
      - .offset:         72
        .size:           8
        .value_kind:     by_value
      - .offset:         80
        .size:           4
        .value_kind:     by_value
      - .address_space:  global
        .offset:         88
        .size:           8
        .value_kind:     global_buffer
      - .offset:         96
        .size:           8
        .value_kind:     by_value
      - .offset:         104
        .size:           8
        .value_kind:     by_value
      - .address_space:  global
        .offset:         112
        .size:           8
        .value_kind:     global_buffer
      - .offset:         120
        .size:           8
        .value_kind:     by_value
      - .offset:         128
        .size:           8
        .value_kind:     by_value
      - .offset:         136
        .size:           4
        .value_kind:     by_value
    .group_segment_fixed_size: 2048
    .kernarg_segment_align: 8
    .kernarg_segment_size: 140
    .language:       OpenCL C
    .language_version:
      - 2
      - 0
    .max_flat_workgroup_size: 256
    .name:           _ZN12_GLOBAL__N_127rocblas_gemm_batched_kernelIfLi16ELi16ELi32ELi32ELi8ELi32ELi8ELi8ELi32ELc84ELc78EKfS1_fEEvlllT_PT11_llS4_llS2_PT12_llPT13_lli
    .private_segment_fixed_size: 0
    .sgpr_count:     42
    .sgpr_spill_count: 0
    .symbol:         _ZN12_GLOBAL__N_127rocblas_gemm_batched_kernelIfLi16ELi16ELi32ELi32ELi8ELi32ELi8ELi8ELi32ELc84ELc78EKfS1_fEEvlllT_PT11_llS4_llS2_PT12_llPT13_lli.kd
    .uniform_work_group_size: 1
    .uses_dynamic_stack: false
    .vgpr_count:     48
    .vgpr_spill_count: 0
    .wavefront_size: 32
    .workgroup_processor_mode: 1
  - .args:
      - .offset:         0
        .size:           8
        .value_kind:     by_value
      - .offset:         8
        .size:           8
        .value_kind:     by_value
      - .offset:         16
        .size:           8
        .value_kind:     by_value
      - .offset:         24
        .size:           4
        .value_kind:     by_value
      - .address_space:  global
        .offset:         32
        .size:           8
        .value_kind:     global_buffer
      - .offset:         40
        .size:           8
        .value_kind:     by_value
      - .offset:         48
        .size:           8
        .value_kind:     by_value
      - .address_space:  global
        .offset:         56
        .size:           8
        .value_kind:     global_buffer
      - .offset:         64
        .size:           8
        .value_kind:     by_value
      - .offset:         72
        .size:           8
        .value_kind:     by_value
      - .offset:         80
        .size:           4
        .value_kind:     by_value
      - .address_space:  global
        .offset:         88
        .size:           8
        .value_kind:     global_buffer
      - .offset:         96
        .size:           8
        .value_kind:     by_value
      - .offset:         104
        .size:           8
        .value_kind:     by_value
      - .address_space:  global
        .offset:         112
        .size:           8
        .value_kind:     global_buffer
      - .offset:         120
        .size:           8
        .value_kind:     by_value
      - .offset:         128
        .size:           8
        .value_kind:     by_value
      - .offset:         136
        .size:           4
        .value_kind:     by_value
    .group_segment_fixed_size: 2048
    .kernarg_segment_align: 8
    .kernarg_segment_size: 140
    .language:       OpenCL C
    .language_version:
      - 2
      - 0
    .max_flat_workgroup_size: 256
    .name:           _ZN12_GLOBAL__N_127rocblas_gemm_batched_kernelIfLi16ELi16ELi32ELi32ELi8ELi32ELi8ELi8ELi32ELc78ELc84EKfS1_fEEvlllT_PT11_llS4_llS2_PT12_llPT13_lli
    .private_segment_fixed_size: 0
    .sgpr_count:     39
    .sgpr_spill_count: 0
    .symbol:         _ZN12_GLOBAL__N_127rocblas_gemm_batched_kernelIfLi16ELi16ELi32ELi32ELi8ELi32ELi8ELi8ELi32ELc78ELc84EKfS1_fEEvlllT_PT11_llS4_llS2_PT12_llPT13_lli.kd
    .uniform_work_group_size: 1
    .uses_dynamic_stack: false
    .vgpr_count:     48
    .vgpr_spill_count: 0
    .wavefront_size: 32
    .workgroup_processor_mode: 1
  - .args:
      - .offset:         0
        .size:           8
        .value_kind:     by_value
      - .offset:         8
        .size:           8
        .value_kind:     by_value
      - .offset:         16
        .size:           8
        .value_kind:     by_value
      - .offset:         24
        .size:           4
        .value_kind:     by_value
      - .address_space:  global
        .offset:         32
        .size:           8
        .value_kind:     global_buffer
      - .offset:         40
        .size:           8
        .value_kind:     by_value
      - .offset:         48
        .size:           8
        .value_kind:     by_value
      - .address_space:  global
        .offset:         56
        .size:           8
        .value_kind:     global_buffer
      - .offset:         64
        .size:           8
        .value_kind:     by_value
      - .offset:         72
        .size:           8
        .value_kind:     by_value
      - .offset:         80
        .size:           4
        .value_kind:     by_value
      - .address_space:  global
        .offset:         88
        .size:           8
        .value_kind:     global_buffer
      - .offset:         96
        .size:           8
        .value_kind:     by_value
      - .offset:         104
        .size:           8
        .value_kind:     by_value
      - .address_space:  global
        .offset:         112
        .size:           8
        .value_kind:     global_buffer
      - .offset:         120
        .size:           8
        .value_kind:     by_value
      - .offset:         128
        .size:           8
        .value_kind:     by_value
      - .offset:         136
        .size:           4
        .value_kind:     by_value
    .group_segment_fixed_size: 2048
    .kernarg_segment_align: 8
    .kernarg_segment_size: 140
    .language:       OpenCL C
    .language_version:
      - 2
      - 0
    .max_flat_workgroup_size: 256
    .name:           _ZN12_GLOBAL__N_127rocblas_gemm_batched_kernelIfLi16ELi16ELi32ELi32ELi8ELi32ELi8ELi8ELi32ELc84ELc84EKfS1_fEEvlllT_PT11_llS4_llS2_PT12_llPT13_lli
    .private_segment_fixed_size: 0
    .sgpr_count:     40
    .sgpr_spill_count: 0
    .symbol:         _ZN12_GLOBAL__N_127rocblas_gemm_batched_kernelIfLi16ELi16ELi32ELi32ELi8ELi32ELi8ELi8ELi32ELc84ELc84EKfS1_fEEvlllT_PT11_llS4_llS2_PT12_llPT13_lli.kd
    .uniform_work_group_size: 1
    .uses_dynamic_stack: false
    .vgpr_count:     48
    .vgpr_spill_count: 0
    .wavefront_size: 32
    .workgroup_processor_mode: 1
  - .args:
      - .offset:         0
        .size:           8
        .value_kind:     by_value
      - .offset:         8
        .size:           8
        .value_kind:     by_value
      - .offset:         16
        .size:           8
        .value_kind:     by_value
      - .offset:         24
        .size:           4
        .value_kind:     by_value
      - .address_space:  global
        .offset:         32
        .size:           8
        .value_kind:     global_buffer
      - .offset:         40
        .size:           8
        .value_kind:     by_value
      - .offset:         48
        .size:           8
        .value_kind:     by_value
      - .address_space:  global
        .offset:         56
        .size:           8
        .value_kind:     global_buffer
      - .offset:         64
        .size:           8
        .value_kind:     by_value
      - .offset:         72
        .size:           8
        .value_kind:     by_value
      - .offset:         80
        .size:           4
        .value_kind:     by_value
      - .address_space:  global
        .offset:         88
        .size:           8
        .value_kind:     global_buffer
      - .offset:         96
        .size:           8
        .value_kind:     by_value
      - .offset:         104
        .size:           8
        .value_kind:     by_value
      - .address_space:  global
        .offset:         112
        .size:           8
        .value_kind:     global_buffer
      - .offset:         120
        .size:           8
        .value_kind:     by_value
      - .offset:         128
        .size:           8
        .value_kind:     by_value
      - .offset:         136
        .size:           4
        .value_kind:     by_value
    .group_segment_fixed_size: 2048
    .kernarg_segment_align: 8
    .kernarg_segment_size: 140
    .language:       OpenCL C
    .language_version:
      - 2
      - 0
    .max_flat_workgroup_size: 256
    .name:           _ZN12_GLOBAL__N_127rocblas_gemm_batched_kernelIfLi16ELi16ELi32ELi32ELi8ELi32ELi8ELi8ELi32ELc67ELc67EKfS1_fEEvlllT_PT11_llS4_llS2_PT12_llPT13_lli
    .private_segment_fixed_size: 0
    .sgpr_count:     40
    .sgpr_spill_count: 0
    .symbol:         _ZN12_GLOBAL__N_127rocblas_gemm_batched_kernelIfLi16ELi16ELi32ELi32ELi8ELi32ELi8ELi8ELi32ELc67ELc67EKfS1_fEEvlllT_PT11_llS4_llS2_PT12_llPT13_lli.kd
    .uniform_work_group_size: 1
    .uses_dynamic_stack: false
    .vgpr_count:     48
    .vgpr_spill_count: 0
    .wavefront_size: 32
    .workgroup_processor_mode: 1
  - .args:
      - .offset:         0
        .size:           8
        .value_kind:     by_value
      - .offset:         8
        .size:           8
        .value_kind:     by_value
      - .offset:         16
        .size:           8
        .value_kind:     by_value
      - .offset:         24
        .size:           4
        .value_kind:     by_value
      - .address_space:  global
        .offset:         32
        .size:           8
        .value_kind:     global_buffer
      - .offset:         40
        .size:           8
        .value_kind:     by_value
      - .offset:         48
        .size:           8
        .value_kind:     by_value
      - .address_space:  global
        .offset:         56
        .size:           8
        .value_kind:     global_buffer
      - .offset:         64
        .size:           8
        .value_kind:     by_value
      - .offset:         72
        .size:           8
        .value_kind:     by_value
      - .offset:         80
        .size:           4
        .value_kind:     by_value
      - .address_space:  global
        .offset:         88
        .size:           8
        .value_kind:     global_buffer
      - .offset:         96
        .size:           8
        .value_kind:     by_value
      - .offset:         104
        .size:           8
        .value_kind:     by_value
      - .address_space:  global
        .offset:         112
        .size:           8
        .value_kind:     global_buffer
      - .offset:         120
        .size:           8
        .value_kind:     by_value
      - .offset:         128
        .size:           8
        .value_kind:     by_value
      - .offset:         136
        .size:           4
        .value_kind:     by_value
    .group_segment_fixed_size: 2048
    .kernarg_segment_align: 8
    .kernarg_segment_size: 140
    .language:       OpenCL C
    .language_version:
      - 2
      - 0
    .max_flat_workgroup_size: 256
    .name:           _ZN12_GLOBAL__N_127rocblas_gemm_batched_kernelIfLi16ELi16ELi32ELi32ELi8ELi32ELi8ELi8ELi32ELc67ELc78EKfS1_fEEvlllT_PT11_llS4_llS2_PT12_llPT13_lli
    .private_segment_fixed_size: 0
    .sgpr_count:     42
    .sgpr_spill_count: 0
    .symbol:         _ZN12_GLOBAL__N_127rocblas_gemm_batched_kernelIfLi16ELi16ELi32ELi32ELi8ELi32ELi8ELi8ELi32ELc67ELc78EKfS1_fEEvlllT_PT11_llS4_llS2_PT12_llPT13_lli.kd
    .uniform_work_group_size: 1
    .uses_dynamic_stack: false
    .vgpr_count:     48
    .vgpr_spill_count: 0
    .wavefront_size: 32
    .workgroup_processor_mode: 1
  - .args:
      - .offset:         0
        .size:           8
        .value_kind:     by_value
      - .offset:         8
        .size:           8
        .value_kind:     by_value
      - .offset:         16
        .size:           8
        .value_kind:     by_value
      - .offset:         24
        .size:           4
        .value_kind:     by_value
      - .address_space:  global
        .offset:         32
        .size:           8
        .value_kind:     global_buffer
      - .offset:         40
        .size:           8
        .value_kind:     by_value
      - .offset:         48
        .size:           8
        .value_kind:     by_value
      - .address_space:  global
        .offset:         56
        .size:           8
        .value_kind:     global_buffer
      - .offset:         64
        .size:           8
        .value_kind:     by_value
      - .offset:         72
        .size:           8
        .value_kind:     by_value
      - .offset:         80
        .size:           4
        .value_kind:     by_value
      - .address_space:  global
        .offset:         88
        .size:           8
        .value_kind:     global_buffer
      - .offset:         96
        .size:           8
        .value_kind:     by_value
      - .offset:         104
        .size:           8
        .value_kind:     by_value
      - .address_space:  global
        .offset:         112
        .size:           8
        .value_kind:     global_buffer
      - .offset:         120
        .size:           8
        .value_kind:     by_value
      - .offset:         128
        .size:           8
        .value_kind:     by_value
      - .offset:         136
        .size:           4
        .value_kind:     by_value
    .group_segment_fixed_size: 2048
    .kernarg_segment_align: 8
    .kernarg_segment_size: 140
    .language:       OpenCL C
    .language_version:
      - 2
      - 0
    .max_flat_workgroup_size: 256
    .name:           _ZN12_GLOBAL__N_127rocblas_gemm_batched_kernelIfLi16ELi16ELi32ELi32ELi8ELi32ELi8ELi8ELi32ELc67ELc84EKfS1_fEEvlllT_PT11_llS4_llS2_PT12_llPT13_lli
    .private_segment_fixed_size: 0
    .sgpr_count:     40
    .sgpr_spill_count: 0
    .symbol:         _ZN12_GLOBAL__N_127rocblas_gemm_batched_kernelIfLi16ELi16ELi32ELi32ELi8ELi32ELi8ELi8ELi32ELc67ELc84EKfS1_fEEvlllT_PT11_llS4_llS2_PT12_llPT13_lli.kd
    .uniform_work_group_size: 1
    .uses_dynamic_stack: false
    .vgpr_count:     48
    .vgpr_spill_count: 0
    .wavefront_size: 32
    .workgroup_processor_mode: 1
  - .args:
      - .offset:         0
        .size:           8
        .value_kind:     by_value
      - .offset:         8
        .size:           8
        .value_kind:     by_value
      - .offset:         16
        .size:           8
        .value_kind:     by_value
      - .offset:         24
        .size:           4
        .value_kind:     by_value
      - .address_space:  global
        .offset:         32
        .size:           8
        .value_kind:     global_buffer
      - .offset:         40
        .size:           8
        .value_kind:     by_value
      - .offset:         48
        .size:           8
        .value_kind:     by_value
      - .address_space:  global
        .offset:         56
        .size:           8
        .value_kind:     global_buffer
      - .offset:         64
        .size:           8
        .value_kind:     by_value
      - .offset:         72
        .size:           8
        .value_kind:     by_value
      - .offset:         80
        .size:           4
        .value_kind:     by_value
      - .address_space:  global
        .offset:         88
        .size:           8
        .value_kind:     global_buffer
      - .offset:         96
        .size:           8
        .value_kind:     by_value
      - .offset:         104
        .size:           8
        .value_kind:     by_value
      - .address_space:  global
        .offset:         112
        .size:           8
        .value_kind:     global_buffer
      - .offset:         120
        .size:           8
        .value_kind:     by_value
      - .offset:         128
        .size:           8
        .value_kind:     by_value
      - .offset:         136
        .size:           4
        .value_kind:     by_value
    .group_segment_fixed_size: 2048
    .kernarg_segment_align: 8
    .kernarg_segment_size: 140
    .language:       OpenCL C
    .language_version:
      - 2
      - 0
    .max_flat_workgroup_size: 256
    .name:           _ZN12_GLOBAL__N_127rocblas_gemm_batched_kernelIfLi16ELi16ELi32ELi32ELi8ELi32ELi8ELi8ELi32ELc78ELc67EKfS1_fEEvlllT_PT11_llS4_llS2_PT12_llPT13_lli
    .private_segment_fixed_size: 0
    .sgpr_count:     39
    .sgpr_spill_count: 0
    .symbol:         _ZN12_GLOBAL__N_127rocblas_gemm_batched_kernelIfLi16ELi16ELi32ELi32ELi8ELi32ELi8ELi8ELi32ELc78ELc67EKfS1_fEEvlllT_PT11_llS4_llS2_PT12_llPT13_lli.kd
    .uniform_work_group_size: 1
    .uses_dynamic_stack: false
    .vgpr_count:     48
    .vgpr_spill_count: 0
    .wavefront_size: 32
    .workgroup_processor_mode: 1
  - .args:
      - .offset:         0
        .size:           8
        .value_kind:     by_value
      - .offset:         8
        .size:           8
        .value_kind:     by_value
      - .offset:         16
        .size:           8
        .value_kind:     by_value
      - .offset:         24
        .size:           4
        .value_kind:     by_value
      - .address_space:  global
        .offset:         32
        .size:           8
        .value_kind:     global_buffer
      - .offset:         40
        .size:           8
        .value_kind:     by_value
      - .offset:         48
        .size:           8
        .value_kind:     by_value
      - .address_space:  global
        .offset:         56
        .size:           8
        .value_kind:     global_buffer
      - .offset:         64
        .size:           8
        .value_kind:     by_value
      - .offset:         72
        .size:           8
        .value_kind:     by_value
      - .offset:         80
        .size:           4
        .value_kind:     by_value
      - .address_space:  global
        .offset:         88
        .size:           8
        .value_kind:     global_buffer
      - .offset:         96
        .size:           8
        .value_kind:     by_value
      - .offset:         104
        .size:           8
        .value_kind:     by_value
      - .address_space:  global
        .offset:         112
        .size:           8
        .value_kind:     global_buffer
      - .offset:         120
        .size:           8
        .value_kind:     by_value
      - .offset:         128
        .size:           8
        .value_kind:     by_value
      - .offset:         136
        .size:           4
        .value_kind:     by_value
    .group_segment_fixed_size: 2048
    .kernarg_segment_align: 8
    .kernarg_segment_size: 140
    .language:       OpenCL C
    .language_version:
      - 2
      - 0
    .max_flat_workgroup_size: 256
    .name:           _ZN12_GLOBAL__N_127rocblas_gemm_batched_kernelIfLi16ELi16ELi32ELi32ELi8ELi32ELi8ELi8ELi32ELc84ELc67EKfS1_fEEvlllT_PT11_llS4_llS2_PT12_llPT13_lli
    .private_segment_fixed_size: 0
    .sgpr_count:     40
    .sgpr_spill_count: 0
    .symbol:         _ZN12_GLOBAL__N_127rocblas_gemm_batched_kernelIfLi16ELi16ELi32ELi32ELi8ELi32ELi8ELi8ELi32ELc84ELc67EKfS1_fEEvlllT_PT11_llS4_llS2_PT12_llPT13_lli.kd
    .uniform_work_group_size: 1
    .uses_dynamic_stack: false
    .vgpr_count:     48
    .vgpr_spill_count: 0
    .wavefront_size: 32
    .workgroup_processor_mode: 1
  - .args:
      - .offset:         0
        .size:           8
        .value_kind:     by_value
      - .offset:         8
        .size:           8
        .value_kind:     by_value
      - .offset:         16
        .size:           8
        .value_kind:     by_value
      - .offset:         24
        .size:           4
        .value_kind:     by_value
      - .address_space:  global
        .offset:         32
        .size:           8
        .value_kind:     global_buffer
      - .offset:         40
        .size:           8
        .value_kind:     by_value
      - .offset:         48
        .size:           8
        .value_kind:     by_value
      - .address_space:  global
        .offset:         56
        .size:           8
        .value_kind:     global_buffer
      - .offset:         64
        .size:           8
        .value_kind:     by_value
      - .offset:         72
        .size:           8
        .value_kind:     by_value
      - .offset:         80
        .size:           4
        .value_kind:     by_value
      - .address_space:  global
        .offset:         88
        .size:           8
        .value_kind:     global_buffer
      - .offset:         96
        .size:           8
        .value_kind:     by_value
      - .offset:         104
        .size:           8
        .value_kind:     by_value
      - .address_space:  global
        .offset:         112
        .size:           8
        .value_kind:     global_buffer
      - .offset:         120
        .size:           8
        .value_kind:     by_value
      - .offset:         128
        .size:           8
        .value_kind:     by_value
      - .offset:         136
        .size:           4
        .value_kind:     by_value
    .group_segment_fixed_size: 2048
    .kernarg_segment_align: 8
    .kernarg_segment_size: 140
    .language:       OpenCL C
    .language_version:
      - 2
      - 0
    .max_flat_workgroup_size: 256
    .name:           _ZN12_GLOBAL__N_135rocblas_gemm_batched_general_kernelIfLi16ELi16ELi32ELi32ELi8ELi32ELi8ELi8ELi32ELc78ELc78EKfS1_fEEvlllT_PT11_llS4_llS2_PT12_llPT13_lli
    .private_segment_fixed_size: 0
    .sgpr_count:     45
    .sgpr_spill_count: 0
    .symbol:         _ZN12_GLOBAL__N_135rocblas_gemm_batched_general_kernelIfLi16ELi16ELi32ELi32ELi8ELi32ELi8ELi8ELi32ELc78ELc78EKfS1_fEEvlllT_PT11_llS4_llS2_PT12_llPT13_lli.kd
    .uniform_work_group_size: 1
    .uses_dynamic_stack: false
    .vgpr_count:     52
    .vgpr_spill_count: 0
    .wavefront_size: 32
    .workgroup_processor_mode: 1
  - .args:
      - .offset:         0
        .size:           8
        .value_kind:     by_value
      - .offset:         8
        .size:           8
        .value_kind:     by_value
      - .offset:         16
        .size:           8
        .value_kind:     by_value
      - .offset:         24
        .size:           4
        .value_kind:     by_value
      - .address_space:  global
        .offset:         32
        .size:           8
        .value_kind:     global_buffer
      - .offset:         40
        .size:           8
        .value_kind:     by_value
      - .offset:         48
        .size:           8
        .value_kind:     by_value
      - .address_space:  global
        .offset:         56
        .size:           8
        .value_kind:     global_buffer
      - .offset:         64
        .size:           8
        .value_kind:     by_value
      - .offset:         72
        .size:           8
        .value_kind:     by_value
      - .offset:         80
        .size:           4
        .value_kind:     by_value
      - .address_space:  global
        .offset:         88
        .size:           8
        .value_kind:     global_buffer
      - .offset:         96
        .size:           8
        .value_kind:     by_value
      - .offset:         104
        .size:           8
        .value_kind:     by_value
      - .address_space:  global
        .offset:         112
        .size:           8
        .value_kind:     global_buffer
      - .offset:         120
        .size:           8
        .value_kind:     by_value
      - .offset:         128
        .size:           8
        .value_kind:     by_value
      - .offset:         136
        .size:           4
        .value_kind:     by_value
    .group_segment_fixed_size: 2048
    .kernarg_segment_align: 8
    .kernarg_segment_size: 140
    .language:       OpenCL C
    .language_version:
      - 2
      - 0
    .max_flat_workgroup_size: 256
    .name:           _ZN12_GLOBAL__N_135rocblas_gemm_batched_general_kernelIfLi16ELi16ELi32ELi32ELi8ELi32ELi8ELi8ELi32ELc84ELc78EKfS1_fEEvlllT_PT11_llS4_llS2_PT12_llPT13_lli
    .private_segment_fixed_size: 0
    .sgpr_count:     46
    .sgpr_spill_count: 0
    .symbol:         _ZN12_GLOBAL__N_135rocblas_gemm_batched_general_kernelIfLi16ELi16ELi32ELi32ELi8ELi32ELi8ELi8ELi32ELc84ELc78EKfS1_fEEvlllT_PT11_llS4_llS2_PT12_llPT13_lli.kd
    .uniform_work_group_size: 1
    .uses_dynamic_stack: false
    .vgpr_count:     52
    .vgpr_spill_count: 0
    .wavefront_size: 32
    .workgroup_processor_mode: 1
  - .args:
      - .offset:         0
        .size:           8
        .value_kind:     by_value
      - .offset:         8
        .size:           8
        .value_kind:     by_value
      - .offset:         16
        .size:           8
        .value_kind:     by_value
      - .offset:         24
        .size:           4
        .value_kind:     by_value
      - .address_space:  global
        .offset:         32
        .size:           8
        .value_kind:     global_buffer
      - .offset:         40
        .size:           8
        .value_kind:     by_value
      - .offset:         48
        .size:           8
        .value_kind:     by_value
      - .address_space:  global
        .offset:         56
        .size:           8
        .value_kind:     global_buffer
      - .offset:         64
        .size:           8
        .value_kind:     by_value
      - .offset:         72
        .size:           8
        .value_kind:     by_value
      - .offset:         80
        .size:           4
        .value_kind:     by_value
      - .address_space:  global
        .offset:         88
        .size:           8
        .value_kind:     global_buffer
      - .offset:         96
        .size:           8
        .value_kind:     by_value
      - .offset:         104
        .size:           8
        .value_kind:     by_value
      - .address_space:  global
        .offset:         112
        .size:           8
        .value_kind:     global_buffer
      - .offset:         120
        .size:           8
        .value_kind:     by_value
      - .offset:         128
        .size:           8
        .value_kind:     by_value
      - .offset:         136
        .size:           4
        .value_kind:     by_value
    .group_segment_fixed_size: 2048
    .kernarg_segment_align: 8
    .kernarg_segment_size: 140
    .language:       OpenCL C
    .language_version:
      - 2
      - 0
    .max_flat_workgroup_size: 256
    .name:           _ZN12_GLOBAL__N_135rocblas_gemm_batched_general_kernelIfLi16ELi16ELi32ELi32ELi8ELi32ELi8ELi8ELi32ELc78ELc84EKfS1_fEEvlllT_PT11_llS4_llS2_PT12_llPT13_lli
    .private_segment_fixed_size: 0
    .sgpr_count:     48
    .sgpr_spill_count: 0
    .symbol:         _ZN12_GLOBAL__N_135rocblas_gemm_batched_general_kernelIfLi16ELi16ELi32ELi32ELi8ELi32ELi8ELi8ELi32ELc78ELc84EKfS1_fEEvlllT_PT11_llS4_llS2_PT12_llPT13_lli.kd
    .uniform_work_group_size: 1
    .uses_dynamic_stack: false
    .vgpr_count:     52
    .vgpr_spill_count: 0
    .wavefront_size: 32
    .workgroup_processor_mode: 1
  - .args:
      - .offset:         0
        .size:           8
        .value_kind:     by_value
      - .offset:         8
        .size:           8
        .value_kind:     by_value
      - .offset:         16
        .size:           8
        .value_kind:     by_value
      - .offset:         24
        .size:           4
        .value_kind:     by_value
      - .address_space:  global
        .offset:         32
        .size:           8
        .value_kind:     global_buffer
      - .offset:         40
        .size:           8
        .value_kind:     by_value
      - .offset:         48
        .size:           8
        .value_kind:     by_value
      - .address_space:  global
        .offset:         56
        .size:           8
        .value_kind:     global_buffer
      - .offset:         64
        .size:           8
        .value_kind:     by_value
      - .offset:         72
        .size:           8
        .value_kind:     by_value
      - .offset:         80
        .size:           4
        .value_kind:     by_value
      - .address_space:  global
        .offset:         88
        .size:           8
        .value_kind:     global_buffer
      - .offset:         96
        .size:           8
        .value_kind:     by_value
      - .offset:         104
        .size:           8
        .value_kind:     by_value
      - .address_space:  global
        .offset:         112
        .size:           8
        .value_kind:     global_buffer
      - .offset:         120
        .size:           8
        .value_kind:     by_value
      - .offset:         128
        .size:           8
        .value_kind:     by_value
      - .offset:         136
        .size:           4
        .value_kind:     by_value
    .group_segment_fixed_size: 2048
    .kernarg_segment_align: 8
    .kernarg_segment_size: 140
    .language:       OpenCL C
    .language_version:
      - 2
      - 0
    .max_flat_workgroup_size: 256
    .name:           _ZN12_GLOBAL__N_135rocblas_gemm_batched_general_kernelIfLi16ELi16ELi32ELi32ELi8ELi32ELi8ELi8ELi32ELc84ELc84EKfS1_fEEvlllT_PT11_llS4_llS2_PT12_llPT13_lli
    .private_segment_fixed_size: 0
    .sgpr_count:     46
    .sgpr_spill_count: 0
    .symbol:         _ZN12_GLOBAL__N_135rocblas_gemm_batched_general_kernelIfLi16ELi16ELi32ELi32ELi8ELi32ELi8ELi8ELi32ELc84ELc84EKfS1_fEEvlllT_PT11_llS4_llS2_PT12_llPT13_lli.kd
    .uniform_work_group_size: 1
    .uses_dynamic_stack: false
    .vgpr_count:     52
    .vgpr_spill_count: 0
    .wavefront_size: 32
    .workgroup_processor_mode: 1
  - .args:
      - .offset:         0
        .size:           8
        .value_kind:     by_value
      - .offset:         8
        .size:           8
        .value_kind:     by_value
      - .offset:         16
        .size:           8
        .value_kind:     by_value
      - .offset:         24
        .size:           4
        .value_kind:     by_value
      - .address_space:  global
        .offset:         32
        .size:           8
        .value_kind:     global_buffer
      - .offset:         40
        .size:           8
        .value_kind:     by_value
      - .offset:         48
        .size:           8
        .value_kind:     by_value
      - .address_space:  global
        .offset:         56
        .size:           8
        .value_kind:     global_buffer
      - .offset:         64
        .size:           8
        .value_kind:     by_value
      - .offset:         72
        .size:           8
        .value_kind:     by_value
      - .offset:         80
        .size:           4
        .value_kind:     by_value
      - .address_space:  global
        .offset:         88
        .size:           8
        .value_kind:     global_buffer
      - .offset:         96
        .size:           8
        .value_kind:     by_value
      - .offset:         104
        .size:           8
        .value_kind:     by_value
      - .address_space:  global
        .offset:         112
        .size:           8
        .value_kind:     global_buffer
      - .offset:         120
        .size:           8
        .value_kind:     by_value
      - .offset:         128
        .size:           8
        .value_kind:     by_value
      - .offset:         136
        .size:           4
        .value_kind:     by_value
    .group_segment_fixed_size: 2048
    .kernarg_segment_align: 8
    .kernarg_segment_size: 140
    .language:       OpenCL C
    .language_version:
      - 2
      - 0
    .max_flat_workgroup_size: 256
    .name:           _ZN12_GLOBAL__N_135rocblas_gemm_batched_general_kernelIfLi16ELi16ELi32ELi32ELi8ELi32ELi8ELi8ELi32ELc67ELc67EKfS1_fEEvlllT_PT11_llS4_llS2_PT12_llPT13_lli
    .private_segment_fixed_size: 0
    .sgpr_count:     46
    .sgpr_spill_count: 0
    .symbol:         _ZN12_GLOBAL__N_135rocblas_gemm_batched_general_kernelIfLi16ELi16ELi32ELi32ELi8ELi32ELi8ELi8ELi32ELc67ELc67EKfS1_fEEvlllT_PT11_llS4_llS2_PT12_llPT13_lli.kd
    .uniform_work_group_size: 1
    .uses_dynamic_stack: false
    .vgpr_count:     52
    .vgpr_spill_count: 0
    .wavefront_size: 32
    .workgroup_processor_mode: 1
  - .args:
      - .offset:         0
        .size:           8
        .value_kind:     by_value
      - .offset:         8
        .size:           8
        .value_kind:     by_value
      - .offset:         16
        .size:           8
        .value_kind:     by_value
      - .offset:         24
        .size:           4
        .value_kind:     by_value
      - .address_space:  global
        .offset:         32
        .size:           8
        .value_kind:     global_buffer
      - .offset:         40
        .size:           8
        .value_kind:     by_value
      - .offset:         48
        .size:           8
        .value_kind:     by_value
      - .address_space:  global
        .offset:         56
        .size:           8
        .value_kind:     global_buffer
      - .offset:         64
        .size:           8
        .value_kind:     by_value
      - .offset:         72
        .size:           8
        .value_kind:     by_value
      - .offset:         80
        .size:           4
        .value_kind:     by_value
      - .address_space:  global
        .offset:         88
        .size:           8
        .value_kind:     global_buffer
      - .offset:         96
        .size:           8
        .value_kind:     by_value
      - .offset:         104
        .size:           8
        .value_kind:     by_value
      - .address_space:  global
        .offset:         112
        .size:           8
        .value_kind:     global_buffer
      - .offset:         120
        .size:           8
        .value_kind:     by_value
      - .offset:         128
        .size:           8
        .value_kind:     by_value
      - .offset:         136
        .size:           4
        .value_kind:     by_value
    .group_segment_fixed_size: 2048
    .kernarg_segment_align: 8
    .kernarg_segment_size: 140
    .language:       OpenCL C
    .language_version:
      - 2
      - 0
    .max_flat_workgroup_size: 256
    .name:           _ZN12_GLOBAL__N_135rocblas_gemm_batched_general_kernelIfLi16ELi16ELi32ELi32ELi8ELi32ELi8ELi8ELi32ELc67ELc78EKfS1_fEEvlllT_PT11_llS4_llS2_PT12_llPT13_lli
    .private_segment_fixed_size: 0
    .sgpr_count:     46
    .sgpr_spill_count: 0
    .symbol:         _ZN12_GLOBAL__N_135rocblas_gemm_batched_general_kernelIfLi16ELi16ELi32ELi32ELi8ELi32ELi8ELi8ELi32ELc67ELc78EKfS1_fEEvlllT_PT11_llS4_llS2_PT12_llPT13_lli.kd
    .uniform_work_group_size: 1
    .uses_dynamic_stack: false
    .vgpr_count:     52
    .vgpr_spill_count: 0
    .wavefront_size: 32
    .workgroup_processor_mode: 1
  - .args:
      - .offset:         0
        .size:           8
        .value_kind:     by_value
      - .offset:         8
        .size:           8
        .value_kind:     by_value
      - .offset:         16
        .size:           8
        .value_kind:     by_value
      - .offset:         24
        .size:           4
        .value_kind:     by_value
      - .address_space:  global
        .offset:         32
        .size:           8
        .value_kind:     global_buffer
      - .offset:         40
        .size:           8
        .value_kind:     by_value
      - .offset:         48
        .size:           8
        .value_kind:     by_value
      - .address_space:  global
        .offset:         56
        .size:           8
        .value_kind:     global_buffer
      - .offset:         64
        .size:           8
        .value_kind:     by_value
      - .offset:         72
        .size:           8
        .value_kind:     by_value
      - .offset:         80
        .size:           4
        .value_kind:     by_value
      - .address_space:  global
        .offset:         88
        .size:           8
        .value_kind:     global_buffer
      - .offset:         96
        .size:           8
        .value_kind:     by_value
      - .offset:         104
        .size:           8
        .value_kind:     by_value
      - .address_space:  global
        .offset:         112
        .size:           8
        .value_kind:     global_buffer
      - .offset:         120
        .size:           8
        .value_kind:     by_value
      - .offset:         128
        .size:           8
        .value_kind:     by_value
      - .offset:         136
        .size:           4
        .value_kind:     by_value
    .group_segment_fixed_size: 2048
    .kernarg_segment_align: 8
    .kernarg_segment_size: 140
    .language:       OpenCL C
    .language_version:
      - 2
      - 0
    .max_flat_workgroup_size: 256
    .name:           _ZN12_GLOBAL__N_135rocblas_gemm_batched_general_kernelIfLi16ELi16ELi32ELi32ELi8ELi32ELi8ELi8ELi32ELc67ELc84EKfS1_fEEvlllT_PT11_llS4_llS2_PT12_llPT13_lli
    .private_segment_fixed_size: 0
    .sgpr_count:     46
    .sgpr_spill_count: 0
    .symbol:         _ZN12_GLOBAL__N_135rocblas_gemm_batched_general_kernelIfLi16ELi16ELi32ELi32ELi8ELi32ELi8ELi8ELi32ELc67ELc84EKfS1_fEEvlllT_PT11_llS4_llS2_PT12_llPT13_lli.kd
    .uniform_work_group_size: 1
    .uses_dynamic_stack: false
    .vgpr_count:     52
    .vgpr_spill_count: 0
    .wavefront_size: 32
    .workgroup_processor_mode: 1
  - .args:
      - .offset:         0
        .size:           8
        .value_kind:     by_value
      - .offset:         8
        .size:           8
        .value_kind:     by_value
      - .offset:         16
        .size:           8
        .value_kind:     by_value
      - .offset:         24
        .size:           4
        .value_kind:     by_value
      - .address_space:  global
        .offset:         32
        .size:           8
        .value_kind:     global_buffer
      - .offset:         40
        .size:           8
        .value_kind:     by_value
      - .offset:         48
        .size:           8
        .value_kind:     by_value
      - .address_space:  global
        .offset:         56
        .size:           8
        .value_kind:     global_buffer
      - .offset:         64
        .size:           8
        .value_kind:     by_value
      - .offset:         72
        .size:           8
        .value_kind:     by_value
      - .offset:         80
        .size:           4
        .value_kind:     by_value
      - .address_space:  global
        .offset:         88
        .size:           8
        .value_kind:     global_buffer
      - .offset:         96
        .size:           8
        .value_kind:     by_value
      - .offset:         104
        .size:           8
        .value_kind:     by_value
      - .address_space:  global
        .offset:         112
        .size:           8
        .value_kind:     global_buffer
      - .offset:         120
        .size:           8
        .value_kind:     by_value
      - .offset:         128
        .size:           8
        .value_kind:     by_value
      - .offset:         136
        .size:           4
        .value_kind:     by_value
    .group_segment_fixed_size: 2048
    .kernarg_segment_align: 8
    .kernarg_segment_size: 140
    .language:       OpenCL C
    .language_version:
      - 2
      - 0
    .max_flat_workgroup_size: 256
    .name:           _ZN12_GLOBAL__N_135rocblas_gemm_batched_general_kernelIfLi16ELi16ELi32ELi32ELi8ELi32ELi8ELi8ELi32ELc78ELc67EKfS1_fEEvlllT_PT11_llS4_llS2_PT12_llPT13_lli
    .private_segment_fixed_size: 0
    .sgpr_count:     48
    .sgpr_spill_count: 0
    .symbol:         _ZN12_GLOBAL__N_135rocblas_gemm_batched_general_kernelIfLi16ELi16ELi32ELi32ELi8ELi32ELi8ELi8ELi32ELc78ELc67EKfS1_fEEvlllT_PT11_llS4_llS2_PT12_llPT13_lli.kd
    .uniform_work_group_size: 1
    .uses_dynamic_stack: false
    .vgpr_count:     52
    .vgpr_spill_count: 0
    .wavefront_size: 32
    .workgroup_processor_mode: 1
  - .args:
      - .offset:         0
        .size:           8
        .value_kind:     by_value
      - .offset:         8
        .size:           8
        .value_kind:     by_value
      - .offset:         16
        .size:           8
        .value_kind:     by_value
      - .offset:         24
        .size:           4
        .value_kind:     by_value
      - .address_space:  global
        .offset:         32
        .size:           8
        .value_kind:     global_buffer
      - .offset:         40
        .size:           8
        .value_kind:     by_value
      - .offset:         48
        .size:           8
        .value_kind:     by_value
      - .address_space:  global
        .offset:         56
        .size:           8
        .value_kind:     global_buffer
      - .offset:         64
        .size:           8
        .value_kind:     by_value
      - .offset:         72
        .size:           8
        .value_kind:     by_value
      - .offset:         80
        .size:           4
        .value_kind:     by_value
      - .address_space:  global
        .offset:         88
        .size:           8
        .value_kind:     global_buffer
      - .offset:         96
        .size:           8
        .value_kind:     by_value
      - .offset:         104
        .size:           8
        .value_kind:     by_value
      - .address_space:  global
        .offset:         112
        .size:           8
        .value_kind:     global_buffer
      - .offset:         120
        .size:           8
        .value_kind:     by_value
      - .offset:         128
        .size:           8
        .value_kind:     by_value
      - .offset:         136
        .size:           4
        .value_kind:     by_value
    .group_segment_fixed_size: 2048
    .kernarg_segment_align: 8
    .kernarg_segment_size: 140
    .language:       OpenCL C
    .language_version:
      - 2
      - 0
    .max_flat_workgroup_size: 256
    .name:           _ZN12_GLOBAL__N_135rocblas_gemm_batched_general_kernelIfLi16ELi16ELi32ELi32ELi8ELi32ELi8ELi8ELi32ELc84ELc67EKfS1_fEEvlllT_PT11_llS4_llS2_PT12_llPT13_lli
    .private_segment_fixed_size: 0
    .sgpr_count:     46
    .sgpr_spill_count: 0
    .symbol:         _ZN12_GLOBAL__N_135rocblas_gemm_batched_general_kernelIfLi16ELi16ELi32ELi32ELi8ELi32ELi8ELi8ELi32ELc84ELc67EKfS1_fEEvlllT_PT11_llS4_llS2_PT12_llPT13_lli.kd
    .uniform_work_group_size: 1
    .uses_dynamic_stack: false
    .vgpr_count:     52
    .vgpr_spill_count: 0
    .wavefront_size: 32
    .workgroup_processor_mode: 1
  - .args:
      - .offset:         0
        .size:           4
        .value_kind:     by_value
      - .offset:         4
        .size:           4
        .value_kind:     by_value
      - .offset:         8
        .size:           8
        .value_kind:     by_value
      - .address_space:  global
        .offset:         16
        .size:           8
        .value_kind:     global_buffer
      - .offset:         24
        .size:           8
        .value_kind:     by_value
      - .offset:         32
        .size:           8
        .value_kind:     by_value
      - .offset:         40
        .size:           8
        .value_kind:     by_value
      - .offset:         48
        .size:           4
        .value_kind:     by_value
    .group_segment_fixed_size: 0
    .kernarg_segment_align: 8
    .kernarg_segment_size: 52
    .language:       OpenCL C
    .language_version:
      - 2
      - 0
    .max_flat_workgroup_size: 1024
    .name:           _ZN12_GLOBAL__N_125rocblas_gemm_scale_kernelILi32ELi32EdPdEEviiT1_T2_llli
    .private_segment_fixed_size: 0
    .sgpr_count:     20
    .sgpr_spill_count: 0
    .symbol:         _ZN12_GLOBAL__N_125rocblas_gemm_scale_kernelILi32ELi32EdPdEEviiT1_T2_llli.kd
    .uniform_work_group_size: 1
    .uses_dynamic_stack: false
    .vgpr_count:     8
    .vgpr_spill_count: 0
    .wavefront_size: 32
    .workgroup_processor_mode: 1
  - .args:
      - .offset:         0
        .size:           4
        .value_kind:     by_value
      - .offset:         4
        .size:           4
        .value_kind:     by_value
      - .offset:         8
        .size:           8
        .value_kind:     by_value
      - .address_space:  global
        .offset:         16
        .size:           8
        .value_kind:     global_buffer
      - .offset:         24
        .size:           8
        .value_kind:     by_value
      - .offset:         32
        .size:           8
        .value_kind:     by_value
      - .offset:         40
        .size:           8
        .value_kind:     by_value
      - .address_space:  global
        .offset:         48
        .size:           8
        .value_kind:     global_buffer
      - .offset:         56
        .size:           8
        .value_kind:     by_value
      - .offset:         64
        .size:           8
        .value_kind:     by_value
      - .offset:         72
        .size:           8
        .value_kind:     by_value
      - .offset:         80
        .size:           4
        .value_kind:     by_value
    .group_segment_fixed_size: 0
    .kernarg_segment_align: 8
    .kernarg_segment_size: 84
    .language:       OpenCL C
    .language_version:
      - 2
      - 0
    .max_flat_workgroup_size: 1024
    .name:           _ZN12_GLOBAL__N_120gemm_ex_scale_kernelILi32ELi32EdPKdPdEEviiT1_T2_lllT3_llli
    .private_segment_fixed_size: 0
    .sgpr_count:     26
    .sgpr_spill_count: 0
    .symbol:         _ZN12_GLOBAL__N_120gemm_ex_scale_kernelILi32ELi32EdPKdPdEEviiT1_T2_lllT3_llli.kd
    .uniform_work_group_size: 1
    .uses_dynamic_stack: false
    .vgpr_count:     11
    .vgpr_spill_count: 0
    .wavefront_size: 32
    .workgroup_processor_mode: 1
  - .args:
      - .offset:         0
        .size:           8
        .value_kind:     by_value
      - .offset:         8
        .size:           8
        .value_kind:     by_value
      - .offset:         16
        .size:           8
        .value_kind:     by_value
      - .offset:         24
        .size:           8
        .value_kind:     by_value
      - .address_space:  global
        .offset:         32
        .size:           8
        .value_kind:     global_buffer
      - .offset:         40
        .size:           8
        .value_kind:     by_value
      - .offset:         48
        .size:           8
        .value_kind:     by_value
      - .address_space:  global
        .offset:         56
        .size:           8
        .value_kind:     global_buffer
      - .offset:         64
        .size:           8
        .value_kind:     by_value
      - .offset:         72
        .size:           8
        .value_kind:     by_value
      - .offset:         80
        .size:           8
        .value_kind:     by_value
      - .address_space:  global
        .offset:         88
        .size:           8
        .value_kind:     global_buffer
      - .offset:         96
        .size:           8
        .value_kind:     by_value
      - .offset:         104
        .size:           8
        .value_kind:     by_value
      - .address_space:  global
        .offset:         112
        .size:           8
        .value_kind:     global_buffer
      - .offset:         120
        .size:           8
        .value_kind:     by_value
      - .offset:         128
        .size:           8
        .value_kind:     by_value
      - .offset:         136
        .size:           4
        .value_kind:     by_value
    .group_segment_fixed_size: 4096
    .kernarg_segment_align: 8
    .kernarg_segment_size: 140
    .language:       OpenCL C
    .language_version:
      - 2
      - 0
    .max_flat_workgroup_size: 256
    .name:           _ZN12_GLOBAL__N_127rocblas_gemm_batched_kernelIdLi16ELi16ELi64ELi64ELi4ELi64ELi4ELi4ELi64ELc78ELc78EKdS1_dEEvlllT_PT11_llS4_llS2_PT12_llPT13_lli
    .private_segment_fixed_size: 0
    .sgpr_count:     46
    .sgpr_spill_count: 0
    .symbol:         _ZN12_GLOBAL__N_127rocblas_gemm_batched_kernelIdLi16ELi16ELi64ELi64ELi4ELi64ELi4ELi4ELi64ELc78ELc78EKdS1_dEEvlllT_PT11_llS4_llS2_PT12_llPT13_lli.kd
    .uniform_work_group_size: 1
    .uses_dynamic_stack: false
    .vgpr_count:     90
    .vgpr_spill_count: 0
    .wavefront_size: 32
    .workgroup_processor_mode: 1
  - .args:
      - .offset:         0
        .size:           8
        .value_kind:     by_value
      - .offset:         8
        .size:           8
        .value_kind:     by_value
      - .offset:         16
        .size:           8
        .value_kind:     by_value
      - .offset:         24
        .size:           8
        .value_kind:     by_value
      - .address_space:  global
        .offset:         32
        .size:           8
        .value_kind:     global_buffer
      - .offset:         40
        .size:           8
        .value_kind:     by_value
      - .offset:         48
        .size:           8
        .value_kind:     by_value
      - .address_space:  global
        .offset:         56
        .size:           8
        .value_kind:     global_buffer
      - .offset:         64
        .size:           8
        .value_kind:     by_value
      - .offset:         72
        .size:           8
        .value_kind:     by_value
      - .offset:         80
        .size:           8
        .value_kind:     by_value
      - .address_space:  global
        .offset:         88
        .size:           8
        .value_kind:     global_buffer
      - .offset:         96
        .size:           8
        .value_kind:     by_value
      - .offset:         104
        .size:           8
        .value_kind:     by_value
      - .address_space:  global
        .offset:         112
        .size:           8
        .value_kind:     global_buffer
      - .offset:         120
        .size:           8
        .value_kind:     by_value
      - .offset:         128
        .size:           8
        .value_kind:     by_value
      - .offset:         136
        .size:           4
        .value_kind:     by_value
    .group_segment_fixed_size: 4096
    .kernarg_segment_align: 8
    .kernarg_segment_size: 140
    .language:       OpenCL C
    .language_version:
      - 2
      - 0
    .max_flat_workgroup_size: 256
    .name:           _ZN12_GLOBAL__N_127rocblas_gemm_batched_kernelIdLi16ELi16ELi64ELi64ELi4ELi64ELi4ELi4ELi64ELc84ELc78EKdS1_dEEvlllT_PT11_llS4_llS2_PT12_llPT13_lli
    .private_segment_fixed_size: 0
    .sgpr_count:     46
    .sgpr_spill_count: 0
    .symbol:         _ZN12_GLOBAL__N_127rocblas_gemm_batched_kernelIdLi16ELi16ELi64ELi64ELi4ELi64ELi4ELi4ELi64ELc84ELc78EKdS1_dEEvlllT_PT11_llS4_llS2_PT12_llPT13_lli.kd
    .uniform_work_group_size: 1
    .uses_dynamic_stack: false
    .vgpr_count:     90
    .vgpr_spill_count: 0
    .wavefront_size: 32
    .workgroup_processor_mode: 1
  - .args:
      - .offset:         0
        .size:           8
        .value_kind:     by_value
      - .offset:         8
        .size:           8
        .value_kind:     by_value
      - .offset:         16
        .size:           8
        .value_kind:     by_value
      - .offset:         24
        .size:           8
        .value_kind:     by_value
      - .address_space:  global
        .offset:         32
        .size:           8
        .value_kind:     global_buffer
      - .offset:         40
        .size:           8
        .value_kind:     by_value
      - .offset:         48
        .size:           8
        .value_kind:     by_value
      - .address_space:  global
        .offset:         56
        .size:           8
        .value_kind:     global_buffer
      - .offset:         64
        .size:           8
        .value_kind:     by_value
      - .offset:         72
        .size:           8
        .value_kind:     by_value
      - .offset:         80
        .size:           8
        .value_kind:     by_value
      - .address_space:  global
        .offset:         88
        .size:           8
        .value_kind:     global_buffer
      - .offset:         96
        .size:           8
        .value_kind:     by_value
      - .offset:         104
        .size:           8
        .value_kind:     by_value
      - .address_space:  global
        .offset:         112
        .size:           8
        .value_kind:     global_buffer
      - .offset:         120
        .size:           8
        .value_kind:     by_value
      - .offset:         128
        .size:           8
        .value_kind:     by_value
      - .offset:         136
        .size:           4
        .value_kind:     by_value
    .group_segment_fixed_size: 4096
    .kernarg_segment_align: 8
    .kernarg_segment_size: 140
    .language:       OpenCL C
    .language_version:
      - 2
      - 0
    .max_flat_workgroup_size: 256
    .name:           _ZN12_GLOBAL__N_127rocblas_gemm_batched_kernelIdLi16ELi16ELi64ELi64ELi4ELi64ELi4ELi4ELi64ELc78ELc84EKdS1_dEEvlllT_PT11_llS4_llS2_PT12_llPT13_lli
    .private_segment_fixed_size: 0
    .sgpr_count:     46
    .sgpr_spill_count: 0
    .symbol:         _ZN12_GLOBAL__N_127rocblas_gemm_batched_kernelIdLi16ELi16ELi64ELi64ELi4ELi64ELi4ELi4ELi64ELc78ELc84EKdS1_dEEvlllT_PT11_llS4_llS2_PT12_llPT13_lli.kd
    .uniform_work_group_size: 1
    .uses_dynamic_stack: false
    .vgpr_count:     90
    .vgpr_spill_count: 0
    .wavefront_size: 32
    .workgroup_processor_mode: 1
  - .args:
      - .offset:         0
        .size:           8
        .value_kind:     by_value
      - .offset:         8
        .size:           8
        .value_kind:     by_value
      - .offset:         16
        .size:           8
        .value_kind:     by_value
      - .offset:         24
        .size:           8
        .value_kind:     by_value
      - .address_space:  global
        .offset:         32
        .size:           8
        .value_kind:     global_buffer
      - .offset:         40
        .size:           8
        .value_kind:     by_value
      - .offset:         48
        .size:           8
        .value_kind:     by_value
      - .address_space:  global
        .offset:         56
        .size:           8
        .value_kind:     global_buffer
      - .offset:         64
        .size:           8
        .value_kind:     by_value
      - .offset:         72
        .size:           8
        .value_kind:     by_value
      - .offset:         80
        .size:           8
        .value_kind:     by_value
      - .address_space:  global
        .offset:         88
        .size:           8
        .value_kind:     global_buffer
      - .offset:         96
        .size:           8
        .value_kind:     by_value
      - .offset:         104
        .size:           8
        .value_kind:     by_value
      - .address_space:  global
        .offset:         112
        .size:           8
        .value_kind:     global_buffer
      - .offset:         120
        .size:           8
        .value_kind:     by_value
      - .offset:         128
        .size:           8
        .value_kind:     by_value
      - .offset:         136
        .size:           4
        .value_kind:     by_value
    .group_segment_fixed_size: 4096
    .kernarg_segment_align: 8
    .kernarg_segment_size: 140
    .language:       OpenCL C
    .language_version:
      - 2
      - 0
    .max_flat_workgroup_size: 256
    .name:           _ZN12_GLOBAL__N_127rocblas_gemm_batched_kernelIdLi16ELi16ELi64ELi64ELi4ELi64ELi4ELi4ELi64ELc84ELc84EKdS1_dEEvlllT_PT11_llS4_llS2_PT12_llPT13_lli
    .private_segment_fixed_size: 0
    .sgpr_count:     46
    .sgpr_spill_count: 0
    .symbol:         _ZN12_GLOBAL__N_127rocblas_gemm_batched_kernelIdLi16ELi16ELi64ELi64ELi4ELi64ELi4ELi4ELi64ELc84ELc84EKdS1_dEEvlllT_PT11_llS4_llS2_PT12_llPT13_lli.kd
    .uniform_work_group_size: 1
    .uses_dynamic_stack: false
    .vgpr_count:     90
    .vgpr_spill_count: 0
    .wavefront_size: 32
    .workgroup_processor_mode: 1
  - .args:
      - .offset:         0
        .size:           8
        .value_kind:     by_value
      - .offset:         8
        .size:           8
        .value_kind:     by_value
      - .offset:         16
        .size:           8
        .value_kind:     by_value
      - .offset:         24
        .size:           8
        .value_kind:     by_value
      - .address_space:  global
        .offset:         32
        .size:           8
        .value_kind:     global_buffer
      - .offset:         40
        .size:           8
        .value_kind:     by_value
      - .offset:         48
        .size:           8
        .value_kind:     by_value
      - .address_space:  global
        .offset:         56
        .size:           8
        .value_kind:     global_buffer
      - .offset:         64
        .size:           8
        .value_kind:     by_value
      - .offset:         72
        .size:           8
        .value_kind:     by_value
      - .offset:         80
        .size:           8
        .value_kind:     by_value
      - .address_space:  global
        .offset:         88
        .size:           8
        .value_kind:     global_buffer
      - .offset:         96
        .size:           8
        .value_kind:     by_value
      - .offset:         104
        .size:           8
        .value_kind:     by_value
      - .address_space:  global
        .offset:         112
        .size:           8
        .value_kind:     global_buffer
      - .offset:         120
        .size:           8
        .value_kind:     by_value
      - .offset:         128
        .size:           8
        .value_kind:     by_value
      - .offset:         136
        .size:           4
        .value_kind:     by_value
    .group_segment_fixed_size: 4096
    .kernarg_segment_align: 8
    .kernarg_segment_size: 140
    .language:       OpenCL C
    .language_version:
      - 2
      - 0
    .max_flat_workgroup_size: 256
    .name:           _ZN12_GLOBAL__N_127rocblas_gemm_batched_kernelIdLi16ELi16ELi64ELi64ELi4ELi64ELi4ELi4ELi64ELc67ELc67EKdS1_dEEvlllT_PT11_llS4_llS2_PT12_llPT13_lli
    .private_segment_fixed_size: 0
    .sgpr_count:     46
    .sgpr_spill_count: 0
    .symbol:         _ZN12_GLOBAL__N_127rocblas_gemm_batched_kernelIdLi16ELi16ELi64ELi64ELi4ELi64ELi4ELi4ELi64ELc67ELc67EKdS1_dEEvlllT_PT11_llS4_llS2_PT12_llPT13_lli.kd
    .uniform_work_group_size: 1
    .uses_dynamic_stack: false
    .vgpr_count:     90
    .vgpr_spill_count: 0
    .wavefront_size: 32
    .workgroup_processor_mode: 1
  - .args:
      - .offset:         0
        .size:           8
        .value_kind:     by_value
      - .offset:         8
        .size:           8
        .value_kind:     by_value
      - .offset:         16
        .size:           8
        .value_kind:     by_value
      - .offset:         24
        .size:           8
        .value_kind:     by_value
      - .address_space:  global
        .offset:         32
        .size:           8
        .value_kind:     global_buffer
      - .offset:         40
        .size:           8
        .value_kind:     by_value
      - .offset:         48
        .size:           8
        .value_kind:     by_value
      - .address_space:  global
        .offset:         56
        .size:           8
        .value_kind:     global_buffer
      - .offset:         64
        .size:           8
        .value_kind:     by_value
      - .offset:         72
        .size:           8
        .value_kind:     by_value
      - .offset:         80
        .size:           8
        .value_kind:     by_value
      - .address_space:  global
        .offset:         88
        .size:           8
        .value_kind:     global_buffer
      - .offset:         96
        .size:           8
        .value_kind:     by_value
      - .offset:         104
        .size:           8
        .value_kind:     by_value
      - .address_space:  global
        .offset:         112
        .size:           8
        .value_kind:     global_buffer
      - .offset:         120
        .size:           8
        .value_kind:     by_value
      - .offset:         128
        .size:           8
        .value_kind:     by_value
      - .offset:         136
        .size:           4
        .value_kind:     by_value
    .group_segment_fixed_size: 4096
    .kernarg_segment_align: 8
    .kernarg_segment_size: 140
    .language:       OpenCL C
    .language_version:
      - 2
      - 0
    .max_flat_workgroup_size: 256
    .name:           _ZN12_GLOBAL__N_127rocblas_gemm_batched_kernelIdLi16ELi16ELi64ELi64ELi4ELi64ELi4ELi4ELi64ELc67ELc78EKdS1_dEEvlllT_PT11_llS4_llS2_PT12_llPT13_lli
    .private_segment_fixed_size: 0
    .sgpr_count:     46
    .sgpr_spill_count: 0
    .symbol:         _ZN12_GLOBAL__N_127rocblas_gemm_batched_kernelIdLi16ELi16ELi64ELi64ELi4ELi64ELi4ELi4ELi64ELc67ELc78EKdS1_dEEvlllT_PT11_llS4_llS2_PT12_llPT13_lli.kd
    .uniform_work_group_size: 1
    .uses_dynamic_stack: false
    .vgpr_count:     90
    .vgpr_spill_count: 0
    .wavefront_size: 32
    .workgroup_processor_mode: 1
  - .args:
      - .offset:         0
        .size:           8
        .value_kind:     by_value
      - .offset:         8
        .size:           8
        .value_kind:     by_value
      - .offset:         16
        .size:           8
        .value_kind:     by_value
      - .offset:         24
        .size:           8
        .value_kind:     by_value
      - .address_space:  global
        .offset:         32
        .size:           8
        .value_kind:     global_buffer
      - .offset:         40
        .size:           8
        .value_kind:     by_value
      - .offset:         48
        .size:           8
        .value_kind:     by_value
      - .address_space:  global
        .offset:         56
        .size:           8
        .value_kind:     global_buffer
      - .offset:         64
        .size:           8
        .value_kind:     by_value
      - .offset:         72
        .size:           8
        .value_kind:     by_value
      - .offset:         80
        .size:           8
        .value_kind:     by_value
      - .address_space:  global
        .offset:         88
        .size:           8
        .value_kind:     global_buffer
      - .offset:         96
        .size:           8
        .value_kind:     by_value
      - .offset:         104
        .size:           8
        .value_kind:     by_value
      - .address_space:  global
        .offset:         112
        .size:           8
        .value_kind:     global_buffer
      - .offset:         120
        .size:           8
        .value_kind:     by_value
      - .offset:         128
        .size:           8
        .value_kind:     by_value
      - .offset:         136
        .size:           4
        .value_kind:     by_value
    .group_segment_fixed_size: 4096
    .kernarg_segment_align: 8
    .kernarg_segment_size: 140
    .language:       OpenCL C
    .language_version:
      - 2
      - 0
    .max_flat_workgroup_size: 256
    .name:           _ZN12_GLOBAL__N_127rocblas_gemm_batched_kernelIdLi16ELi16ELi64ELi64ELi4ELi64ELi4ELi4ELi64ELc67ELc84EKdS1_dEEvlllT_PT11_llS4_llS2_PT12_llPT13_lli
    .private_segment_fixed_size: 0
    .sgpr_count:     46
    .sgpr_spill_count: 0
    .symbol:         _ZN12_GLOBAL__N_127rocblas_gemm_batched_kernelIdLi16ELi16ELi64ELi64ELi4ELi64ELi4ELi4ELi64ELc67ELc84EKdS1_dEEvlllT_PT11_llS4_llS2_PT12_llPT13_lli.kd
    .uniform_work_group_size: 1
    .uses_dynamic_stack: false
    .vgpr_count:     90
    .vgpr_spill_count: 0
    .wavefront_size: 32
    .workgroup_processor_mode: 1
  - .args:
      - .offset:         0
        .size:           8
        .value_kind:     by_value
      - .offset:         8
        .size:           8
        .value_kind:     by_value
      - .offset:         16
        .size:           8
        .value_kind:     by_value
      - .offset:         24
        .size:           8
        .value_kind:     by_value
      - .address_space:  global
        .offset:         32
        .size:           8
        .value_kind:     global_buffer
      - .offset:         40
        .size:           8
        .value_kind:     by_value
      - .offset:         48
        .size:           8
        .value_kind:     by_value
      - .address_space:  global
        .offset:         56
        .size:           8
        .value_kind:     global_buffer
      - .offset:         64
        .size:           8
        .value_kind:     by_value
      - .offset:         72
        .size:           8
        .value_kind:     by_value
      - .offset:         80
        .size:           8
        .value_kind:     by_value
      - .address_space:  global
        .offset:         88
        .size:           8
        .value_kind:     global_buffer
      - .offset:         96
        .size:           8
        .value_kind:     by_value
      - .offset:         104
        .size:           8
        .value_kind:     by_value
      - .address_space:  global
        .offset:         112
        .size:           8
        .value_kind:     global_buffer
      - .offset:         120
        .size:           8
        .value_kind:     by_value
      - .offset:         128
        .size:           8
        .value_kind:     by_value
      - .offset:         136
        .size:           4
        .value_kind:     by_value
    .group_segment_fixed_size: 4096
    .kernarg_segment_align: 8
    .kernarg_segment_size: 140
    .language:       OpenCL C
    .language_version:
      - 2
      - 0
    .max_flat_workgroup_size: 256
    .name:           _ZN12_GLOBAL__N_127rocblas_gemm_batched_kernelIdLi16ELi16ELi64ELi64ELi4ELi64ELi4ELi4ELi64ELc78ELc67EKdS1_dEEvlllT_PT11_llS4_llS2_PT12_llPT13_lli
    .private_segment_fixed_size: 0
    .sgpr_count:     46
    .sgpr_spill_count: 0
    .symbol:         _ZN12_GLOBAL__N_127rocblas_gemm_batched_kernelIdLi16ELi16ELi64ELi64ELi4ELi64ELi4ELi4ELi64ELc78ELc67EKdS1_dEEvlllT_PT11_llS4_llS2_PT12_llPT13_lli.kd
    .uniform_work_group_size: 1
    .uses_dynamic_stack: false
    .vgpr_count:     90
    .vgpr_spill_count: 0
    .wavefront_size: 32
    .workgroup_processor_mode: 1
  - .args:
      - .offset:         0
        .size:           8
        .value_kind:     by_value
      - .offset:         8
        .size:           8
        .value_kind:     by_value
      - .offset:         16
        .size:           8
        .value_kind:     by_value
      - .offset:         24
        .size:           8
        .value_kind:     by_value
      - .address_space:  global
        .offset:         32
        .size:           8
        .value_kind:     global_buffer
      - .offset:         40
        .size:           8
        .value_kind:     by_value
      - .offset:         48
        .size:           8
        .value_kind:     by_value
      - .address_space:  global
        .offset:         56
        .size:           8
        .value_kind:     global_buffer
      - .offset:         64
        .size:           8
        .value_kind:     by_value
      - .offset:         72
        .size:           8
        .value_kind:     by_value
      - .offset:         80
        .size:           8
        .value_kind:     by_value
      - .address_space:  global
        .offset:         88
        .size:           8
        .value_kind:     global_buffer
      - .offset:         96
        .size:           8
        .value_kind:     by_value
      - .offset:         104
        .size:           8
        .value_kind:     by_value
      - .address_space:  global
        .offset:         112
        .size:           8
        .value_kind:     global_buffer
      - .offset:         120
        .size:           8
        .value_kind:     by_value
      - .offset:         128
        .size:           8
        .value_kind:     by_value
      - .offset:         136
        .size:           4
        .value_kind:     by_value
    .group_segment_fixed_size: 4096
    .kernarg_segment_align: 8
    .kernarg_segment_size: 140
    .language:       OpenCL C
    .language_version:
      - 2
      - 0
    .max_flat_workgroup_size: 256
    .name:           _ZN12_GLOBAL__N_127rocblas_gemm_batched_kernelIdLi16ELi16ELi64ELi64ELi4ELi64ELi4ELi4ELi64ELc84ELc67EKdS1_dEEvlllT_PT11_llS4_llS2_PT12_llPT13_lli
    .private_segment_fixed_size: 0
    .sgpr_count:     46
    .sgpr_spill_count: 0
    .symbol:         _ZN12_GLOBAL__N_127rocblas_gemm_batched_kernelIdLi16ELi16ELi64ELi64ELi4ELi64ELi4ELi4ELi64ELc84ELc67EKdS1_dEEvlllT_PT11_llS4_llS2_PT12_llPT13_lli.kd
    .uniform_work_group_size: 1
    .uses_dynamic_stack: false
    .vgpr_count:     90
    .vgpr_spill_count: 0
    .wavefront_size: 32
    .workgroup_processor_mode: 1
  - .args:
      - .offset:         0
        .size:           8
        .value_kind:     by_value
      - .offset:         8
        .size:           8
        .value_kind:     by_value
      - .offset:         16
        .size:           8
        .value_kind:     by_value
      - .offset:         24
        .size:           8
        .value_kind:     by_value
      - .address_space:  global
        .offset:         32
        .size:           8
        .value_kind:     global_buffer
      - .offset:         40
        .size:           8
        .value_kind:     by_value
      - .offset:         48
        .size:           8
        .value_kind:     by_value
      - .address_space:  global
        .offset:         56
        .size:           8
        .value_kind:     global_buffer
      - .offset:         64
        .size:           8
        .value_kind:     by_value
      - .offset:         72
        .size:           8
        .value_kind:     by_value
      - .offset:         80
        .size:           8
        .value_kind:     by_value
      - .address_space:  global
        .offset:         88
        .size:           8
        .value_kind:     global_buffer
      - .offset:         96
        .size:           8
        .value_kind:     by_value
      - .offset:         104
        .size:           8
        .value_kind:     by_value
      - .address_space:  global
        .offset:         112
        .size:           8
        .value_kind:     global_buffer
      - .offset:         120
        .size:           8
        .value_kind:     by_value
      - .offset:         128
        .size:           8
        .value_kind:     by_value
      - .offset:         136
        .size:           4
        .value_kind:     by_value
    .group_segment_fixed_size: 4096
    .kernarg_segment_align: 8
    .kernarg_segment_size: 140
    .language:       OpenCL C
    .language_version:
      - 2
      - 0
    .max_flat_workgroup_size: 256
    .name:           _ZN12_GLOBAL__N_127rocblas_gemm_batched_kernelIdLi16ELi16ELi32ELi32ELi8ELi32ELi8ELi8ELi32ELc78ELc78EKdS1_dEEvlllT_PT11_llS4_llS2_PT12_llPT13_lli
    .private_segment_fixed_size: 0
    .sgpr_count:     46
    .sgpr_spill_count: 0
    .symbol:         _ZN12_GLOBAL__N_127rocblas_gemm_batched_kernelIdLi16ELi16ELi32ELi32ELi8ELi32ELi8ELi8ELi32ELc78ELc78EKdS1_dEEvlllT_PT11_llS4_llS2_PT12_llPT13_lli.kd
    .uniform_work_group_size: 1
    .uses_dynamic_stack: false
    .vgpr_count:     46
    .vgpr_spill_count: 0
    .wavefront_size: 32
    .workgroup_processor_mode: 1
  - .args:
      - .offset:         0
        .size:           8
        .value_kind:     by_value
      - .offset:         8
        .size:           8
        .value_kind:     by_value
      - .offset:         16
        .size:           8
        .value_kind:     by_value
      - .offset:         24
        .size:           8
        .value_kind:     by_value
      - .address_space:  global
        .offset:         32
        .size:           8
        .value_kind:     global_buffer
      - .offset:         40
        .size:           8
        .value_kind:     by_value
      - .offset:         48
        .size:           8
        .value_kind:     by_value
      - .address_space:  global
        .offset:         56
        .size:           8
        .value_kind:     global_buffer
      - .offset:         64
        .size:           8
        .value_kind:     by_value
      - .offset:         72
        .size:           8
        .value_kind:     by_value
      - .offset:         80
        .size:           8
        .value_kind:     by_value
      - .address_space:  global
        .offset:         88
        .size:           8
        .value_kind:     global_buffer
      - .offset:         96
        .size:           8
        .value_kind:     by_value
      - .offset:         104
        .size:           8
        .value_kind:     by_value
      - .address_space:  global
        .offset:         112
        .size:           8
        .value_kind:     global_buffer
      - .offset:         120
        .size:           8
        .value_kind:     by_value
      - .offset:         128
        .size:           8
        .value_kind:     by_value
      - .offset:         136
        .size:           4
        .value_kind:     by_value
    .group_segment_fixed_size: 4096
    .kernarg_segment_align: 8
    .kernarg_segment_size: 140
    .language:       OpenCL C
    .language_version:
      - 2
      - 0
    .max_flat_workgroup_size: 256
    .name:           _ZN12_GLOBAL__N_127rocblas_gemm_batched_kernelIdLi16ELi16ELi32ELi32ELi8ELi32ELi8ELi8ELi32ELc84ELc78EKdS1_dEEvlllT_PT11_llS4_llS2_PT12_llPT13_lli
    .private_segment_fixed_size: 0
    .sgpr_count:     46
    .sgpr_spill_count: 0
    .symbol:         _ZN12_GLOBAL__N_127rocblas_gemm_batched_kernelIdLi16ELi16ELi32ELi32ELi8ELi32ELi8ELi8ELi32ELc84ELc78EKdS1_dEEvlllT_PT11_llS4_llS2_PT12_llPT13_lli.kd
    .uniform_work_group_size: 1
    .uses_dynamic_stack: false
    .vgpr_count:     46
    .vgpr_spill_count: 0
    .wavefront_size: 32
    .workgroup_processor_mode: 1
  - .args:
      - .offset:         0
        .size:           8
        .value_kind:     by_value
      - .offset:         8
        .size:           8
        .value_kind:     by_value
      - .offset:         16
        .size:           8
        .value_kind:     by_value
      - .offset:         24
        .size:           8
        .value_kind:     by_value
      - .address_space:  global
        .offset:         32
        .size:           8
        .value_kind:     global_buffer
      - .offset:         40
        .size:           8
        .value_kind:     by_value
      - .offset:         48
        .size:           8
        .value_kind:     by_value
      - .address_space:  global
        .offset:         56
        .size:           8
        .value_kind:     global_buffer
      - .offset:         64
        .size:           8
        .value_kind:     by_value
      - .offset:         72
        .size:           8
        .value_kind:     by_value
      - .offset:         80
        .size:           8
        .value_kind:     by_value
      - .address_space:  global
        .offset:         88
        .size:           8
        .value_kind:     global_buffer
      - .offset:         96
        .size:           8
        .value_kind:     by_value
      - .offset:         104
        .size:           8
        .value_kind:     by_value
      - .address_space:  global
        .offset:         112
        .size:           8
        .value_kind:     global_buffer
      - .offset:         120
        .size:           8
        .value_kind:     by_value
      - .offset:         128
        .size:           8
        .value_kind:     by_value
      - .offset:         136
        .size:           4
        .value_kind:     by_value
    .group_segment_fixed_size: 4096
    .kernarg_segment_align: 8
    .kernarg_segment_size: 140
    .language:       OpenCL C
    .language_version:
      - 2
      - 0
    .max_flat_workgroup_size: 256
    .name:           _ZN12_GLOBAL__N_127rocblas_gemm_batched_kernelIdLi16ELi16ELi32ELi32ELi8ELi32ELi8ELi8ELi32ELc78ELc84EKdS1_dEEvlllT_PT11_llS4_llS2_PT12_llPT13_lli
    .private_segment_fixed_size: 0
    .sgpr_count:     46
    .sgpr_spill_count: 0
    .symbol:         _ZN12_GLOBAL__N_127rocblas_gemm_batched_kernelIdLi16ELi16ELi32ELi32ELi8ELi32ELi8ELi8ELi32ELc78ELc84EKdS1_dEEvlllT_PT11_llS4_llS2_PT12_llPT13_lli.kd
    .uniform_work_group_size: 1
    .uses_dynamic_stack: false
    .vgpr_count:     46
    .vgpr_spill_count: 0
    .wavefront_size: 32
    .workgroup_processor_mode: 1
  - .args:
      - .offset:         0
        .size:           8
        .value_kind:     by_value
      - .offset:         8
        .size:           8
        .value_kind:     by_value
      - .offset:         16
        .size:           8
        .value_kind:     by_value
      - .offset:         24
        .size:           8
        .value_kind:     by_value
      - .address_space:  global
        .offset:         32
        .size:           8
        .value_kind:     global_buffer
      - .offset:         40
        .size:           8
        .value_kind:     by_value
      - .offset:         48
        .size:           8
        .value_kind:     by_value
      - .address_space:  global
        .offset:         56
        .size:           8
        .value_kind:     global_buffer
      - .offset:         64
        .size:           8
        .value_kind:     by_value
      - .offset:         72
        .size:           8
        .value_kind:     by_value
      - .offset:         80
        .size:           8
        .value_kind:     by_value
      - .address_space:  global
        .offset:         88
        .size:           8
        .value_kind:     global_buffer
      - .offset:         96
        .size:           8
        .value_kind:     by_value
      - .offset:         104
        .size:           8
        .value_kind:     by_value
      - .address_space:  global
        .offset:         112
        .size:           8
        .value_kind:     global_buffer
      - .offset:         120
        .size:           8
        .value_kind:     by_value
      - .offset:         128
        .size:           8
        .value_kind:     by_value
      - .offset:         136
        .size:           4
        .value_kind:     by_value
    .group_segment_fixed_size: 4096
    .kernarg_segment_align: 8
    .kernarg_segment_size: 140
    .language:       OpenCL C
    .language_version:
      - 2
      - 0
    .max_flat_workgroup_size: 256
    .name:           _ZN12_GLOBAL__N_127rocblas_gemm_batched_kernelIdLi16ELi16ELi32ELi32ELi8ELi32ELi8ELi8ELi32ELc84ELc84EKdS1_dEEvlllT_PT11_llS4_llS2_PT12_llPT13_lli
    .private_segment_fixed_size: 0
    .sgpr_count:     46
    .sgpr_spill_count: 0
    .symbol:         _ZN12_GLOBAL__N_127rocblas_gemm_batched_kernelIdLi16ELi16ELi32ELi32ELi8ELi32ELi8ELi8ELi32ELc84ELc84EKdS1_dEEvlllT_PT11_llS4_llS2_PT12_llPT13_lli.kd
    .uniform_work_group_size: 1
    .uses_dynamic_stack: false
    .vgpr_count:     46
    .vgpr_spill_count: 0
    .wavefront_size: 32
    .workgroup_processor_mode: 1
  - .args:
      - .offset:         0
        .size:           8
        .value_kind:     by_value
      - .offset:         8
        .size:           8
        .value_kind:     by_value
      - .offset:         16
        .size:           8
        .value_kind:     by_value
      - .offset:         24
        .size:           8
        .value_kind:     by_value
      - .address_space:  global
        .offset:         32
        .size:           8
        .value_kind:     global_buffer
      - .offset:         40
        .size:           8
        .value_kind:     by_value
      - .offset:         48
        .size:           8
        .value_kind:     by_value
      - .address_space:  global
        .offset:         56
        .size:           8
        .value_kind:     global_buffer
      - .offset:         64
        .size:           8
        .value_kind:     by_value
      - .offset:         72
        .size:           8
        .value_kind:     by_value
      - .offset:         80
        .size:           8
        .value_kind:     by_value
      - .address_space:  global
        .offset:         88
        .size:           8
        .value_kind:     global_buffer
      - .offset:         96
        .size:           8
        .value_kind:     by_value
      - .offset:         104
        .size:           8
        .value_kind:     by_value
      - .address_space:  global
        .offset:         112
        .size:           8
        .value_kind:     global_buffer
      - .offset:         120
        .size:           8
        .value_kind:     by_value
      - .offset:         128
        .size:           8
        .value_kind:     by_value
      - .offset:         136
        .size:           4
        .value_kind:     by_value
    .group_segment_fixed_size: 4096
    .kernarg_segment_align: 8
    .kernarg_segment_size: 140
    .language:       OpenCL C
    .language_version:
      - 2
      - 0
    .max_flat_workgroup_size: 256
    .name:           _ZN12_GLOBAL__N_127rocblas_gemm_batched_kernelIdLi16ELi16ELi32ELi32ELi8ELi32ELi8ELi8ELi32ELc67ELc67EKdS1_dEEvlllT_PT11_llS4_llS2_PT12_llPT13_lli
    .private_segment_fixed_size: 0
    .sgpr_count:     46
    .sgpr_spill_count: 0
    .symbol:         _ZN12_GLOBAL__N_127rocblas_gemm_batched_kernelIdLi16ELi16ELi32ELi32ELi8ELi32ELi8ELi8ELi32ELc67ELc67EKdS1_dEEvlllT_PT11_llS4_llS2_PT12_llPT13_lli.kd
    .uniform_work_group_size: 1
    .uses_dynamic_stack: false
    .vgpr_count:     46
    .vgpr_spill_count: 0
    .wavefront_size: 32
    .workgroup_processor_mode: 1
  - .args:
      - .offset:         0
        .size:           8
        .value_kind:     by_value
      - .offset:         8
        .size:           8
        .value_kind:     by_value
      - .offset:         16
        .size:           8
        .value_kind:     by_value
      - .offset:         24
        .size:           8
        .value_kind:     by_value
      - .address_space:  global
        .offset:         32
        .size:           8
        .value_kind:     global_buffer
      - .offset:         40
        .size:           8
        .value_kind:     by_value
      - .offset:         48
        .size:           8
        .value_kind:     by_value
      - .address_space:  global
        .offset:         56
        .size:           8
        .value_kind:     global_buffer
      - .offset:         64
        .size:           8
        .value_kind:     by_value
      - .offset:         72
        .size:           8
        .value_kind:     by_value
      - .offset:         80
        .size:           8
        .value_kind:     by_value
      - .address_space:  global
        .offset:         88
        .size:           8
        .value_kind:     global_buffer
      - .offset:         96
        .size:           8
        .value_kind:     by_value
      - .offset:         104
        .size:           8
        .value_kind:     by_value
      - .address_space:  global
        .offset:         112
        .size:           8
        .value_kind:     global_buffer
      - .offset:         120
        .size:           8
        .value_kind:     by_value
      - .offset:         128
        .size:           8
        .value_kind:     by_value
      - .offset:         136
        .size:           4
        .value_kind:     by_value
    .group_segment_fixed_size: 4096
    .kernarg_segment_align: 8
    .kernarg_segment_size: 140
    .language:       OpenCL C
    .language_version:
      - 2
      - 0
    .max_flat_workgroup_size: 256
    .name:           _ZN12_GLOBAL__N_127rocblas_gemm_batched_kernelIdLi16ELi16ELi32ELi32ELi8ELi32ELi8ELi8ELi32ELc67ELc78EKdS1_dEEvlllT_PT11_llS4_llS2_PT12_llPT13_lli
    .private_segment_fixed_size: 0
    .sgpr_count:     46
    .sgpr_spill_count: 0
    .symbol:         _ZN12_GLOBAL__N_127rocblas_gemm_batched_kernelIdLi16ELi16ELi32ELi32ELi8ELi32ELi8ELi8ELi32ELc67ELc78EKdS1_dEEvlllT_PT11_llS4_llS2_PT12_llPT13_lli.kd
    .uniform_work_group_size: 1
    .uses_dynamic_stack: false
    .vgpr_count:     46
    .vgpr_spill_count: 0
    .wavefront_size: 32
    .workgroup_processor_mode: 1
  - .args:
      - .offset:         0
        .size:           8
        .value_kind:     by_value
      - .offset:         8
        .size:           8
        .value_kind:     by_value
      - .offset:         16
        .size:           8
        .value_kind:     by_value
      - .offset:         24
        .size:           8
        .value_kind:     by_value
      - .address_space:  global
        .offset:         32
        .size:           8
        .value_kind:     global_buffer
      - .offset:         40
        .size:           8
        .value_kind:     by_value
      - .offset:         48
        .size:           8
        .value_kind:     by_value
      - .address_space:  global
        .offset:         56
        .size:           8
        .value_kind:     global_buffer
      - .offset:         64
        .size:           8
        .value_kind:     by_value
      - .offset:         72
        .size:           8
        .value_kind:     by_value
      - .offset:         80
        .size:           8
        .value_kind:     by_value
      - .address_space:  global
        .offset:         88
        .size:           8
        .value_kind:     global_buffer
      - .offset:         96
        .size:           8
        .value_kind:     by_value
      - .offset:         104
        .size:           8
        .value_kind:     by_value
      - .address_space:  global
        .offset:         112
        .size:           8
        .value_kind:     global_buffer
      - .offset:         120
        .size:           8
        .value_kind:     by_value
      - .offset:         128
        .size:           8
        .value_kind:     by_value
      - .offset:         136
        .size:           4
        .value_kind:     by_value
    .group_segment_fixed_size: 4096
    .kernarg_segment_align: 8
    .kernarg_segment_size: 140
    .language:       OpenCL C
    .language_version:
      - 2
      - 0
    .max_flat_workgroup_size: 256
    .name:           _ZN12_GLOBAL__N_127rocblas_gemm_batched_kernelIdLi16ELi16ELi32ELi32ELi8ELi32ELi8ELi8ELi32ELc67ELc84EKdS1_dEEvlllT_PT11_llS4_llS2_PT12_llPT13_lli
    .private_segment_fixed_size: 0
    .sgpr_count:     46
    .sgpr_spill_count: 0
    .symbol:         _ZN12_GLOBAL__N_127rocblas_gemm_batched_kernelIdLi16ELi16ELi32ELi32ELi8ELi32ELi8ELi8ELi32ELc67ELc84EKdS1_dEEvlllT_PT11_llS4_llS2_PT12_llPT13_lli.kd
    .uniform_work_group_size: 1
    .uses_dynamic_stack: false
    .vgpr_count:     46
    .vgpr_spill_count: 0
    .wavefront_size: 32
    .workgroup_processor_mode: 1
  - .args:
      - .offset:         0
        .size:           8
        .value_kind:     by_value
      - .offset:         8
        .size:           8
        .value_kind:     by_value
      - .offset:         16
        .size:           8
        .value_kind:     by_value
      - .offset:         24
        .size:           8
        .value_kind:     by_value
      - .address_space:  global
        .offset:         32
        .size:           8
        .value_kind:     global_buffer
      - .offset:         40
        .size:           8
        .value_kind:     by_value
      - .offset:         48
        .size:           8
        .value_kind:     by_value
      - .address_space:  global
        .offset:         56
        .size:           8
        .value_kind:     global_buffer
      - .offset:         64
        .size:           8
        .value_kind:     by_value
      - .offset:         72
        .size:           8
        .value_kind:     by_value
      - .offset:         80
        .size:           8
        .value_kind:     by_value
      - .address_space:  global
        .offset:         88
        .size:           8
        .value_kind:     global_buffer
      - .offset:         96
        .size:           8
        .value_kind:     by_value
      - .offset:         104
        .size:           8
        .value_kind:     by_value
      - .address_space:  global
        .offset:         112
        .size:           8
        .value_kind:     global_buffer
      - .offset:         120
        .size:           8
        .value_kind:     by_value
      - .offset:         128
        .size:           8
        .value_kind:     by_value
      - .offset:         136
        .size:           4
        .value_kind:     by_value
    .group_segment_fixed_size: 4096
    .kernarg_segment_align: 8
    .kernarg_segment_size: 140
    .language:       OpenCL C
    .language_version:
      - 2
      - 0
    .max_flat_workgroup_size: 256
    .name:           _ZN12_GLOBAL__N_127rocblas_gemm_batched_kernelIdLi16ELi16ELi32ELi32ELi8ELi32ELi8ELi8ELi32ELc78ELc67EKdS1_dEEvlllT_PT11_llS4_llS2_PT12_llPT13_lli
    .private_segment_fixed_size: 0
    .sgpr_count:     46
    .sgpr_spill_count: 0
    .symbol:         _ZN12_GLOBAL__N_127rocblas_gemm_batched_kernelIdLi16ELi16ELi32ELi32ELi8ELi32ELi8ELi8ELi32ELc78ELc67EKdS1_dEEvlllT_PT11_llS4_llS2_PT12_llPT13_lli.kd
    .uniform_work_group_size: 1
    .uses_dynamic_stack: false
    .vgpr_count:     46
    .vgpr_spill_count: 0
    .wavefront_size: 32
    .workgroup_processor_mode: 1
  - .args:
      - .offset:         0
        .size:           8
        .value_kind:     by_value
      - .offset:         8
        .size:           8
        .value_kind:     by_value
      - .offset:         16
        .size:           8
        .value_kind:     by_value
      - .offset:         24
        .size:           8
        .value_kind:     by_value
      - .address_space:  global
        .offset:         32
        .size:           8
        .value_kind:     global_buffer
      - .offset:         40
        .size:           8
        .value_kind:     by_value
      - .offset:         48
        .size:           8
        .value_kind:     by_value
      - .address_space:  global
        .offset:         56
        .size:           8
        .value_kind:     global_buffer
      - .offset:         64
        .size:           8
        .value_kind:     by_value
      - .offset:         72
        .size:           8
        .value_kind:     by_value
      - .offset:         80
        .size:           8
        .value_kind:     by_value
      - .address_space:  global
        .offset:         88
        .size:           8
        .value_kind:     global_buffer
      - .offset:         96
        .size:           8
        .value_kind:     by_value
      - .offset:         104
        .size:           8
        .value_kind:     by_value
      - .address_space:  global
        .offset:         112
        .size:           8
        .value_kind:     global_buffer
      - .offset:         120
        .size:           8
        .value_kind:     by_value
      - .offset:         128
        .size:           8
        .value_kind:     by_value
      - .offset:         136
        .size:           4
        .value_kind:     by_value
    .group_segment_fixed_size: 4096
    .kernarg_segment_align: 8
    .kernarg_segment_size: 140
    .language:       OpenCL C
    .language_version:
      - 2
      - 0
    .max_flat_workgroup_size: 256
    .name:           _ZN12_GLOBAL__N_127rocblas_gemm_batched_kernelIdLi16ELi16ELi32ELi32ELi8ELi32ELi8ELi8ELi32ELc84ELc67EKdS1_dEEvlllT_PT11_llS4_llS2_PT12_llPT13_lli
    .private_segment_fixed_size: 0
    .sgpr_count:     46
    .sgpr_spill_count: 0
    .symbol:         _ZN12_GLOBAL__N_127rocblas_gemm_batched_kernelIdLi16ELi16ELi32ELi32ELi8ELi32ELi8ELi8ELi32ELc84ELc67EKdS1_dEEvlllT_PT11_llS4_llS2_PT12_llPT13_lli.kd
    .uniform_work_group_size: 1
    .uses_dynamic_stack: false
    .vgpr_count:     46
    .vgpr_spill_count: 0
    .wavefront_size: 32
    .workgroup_processor_mode: 1
  - .args:
      - .offset:         0
        .size:           8
        .value_kind:     by_value
      - .offset:         8
        .size:           8
        .value_kind:     by_value
      - .offset:         16
        .size:           8
        .value_kind:     by_value
      - .offset:         24
        .size:           8
        .value_kind:     by_value
      - .address_space:  global
        .offset:         32
        .size:           8
        .value_kind:     global_buffer
      - .offset:         40
        .size:           8
        .value_kind:     by_value
      - .offset:         48
        .size:           8
        .value_kind:     by_value
      - .address_space:  global
        .offset:         56
        .size:           8
        .value_kind:     global_buffer
      - .offset:         64
        .size:           8
        .value_kind:     by_value
      - .offset:         72
        .size:           8
        .value_kind:     by_value
      - .offset:         80
        .size:           8
        .value_kind:     by_value
      - .address_space:  global
        .offset:         88
        .size:           8
        .value_kind:     global_buffer
      - .offset:         96
        .size:           8
        .value_kind:     by_value
      - .offset:         104
        .size:           8
        .value_kind:     by_value
      - .address_space:  global
        .offset:         112
        .size:           8
        .value_kind:     global_buffer
      - .offset:         120
        .size:           8
        .value_kind:     by_value
      - .offset:         128
        .size:           8
        .value_kind:     by_value
      - .offset:         136
        .size:           4
        .value_kind:     by_value
    .group_segment_fixed_size: 4096
    .kernarg_segment_align: 8
    .kernarg_segment_size: 140
    .language:       OpenCL C
    .language_version:
      - 2
      - 0
    .max_flat_workgroup_size: 256
    .name:           _ZN12_GLOBAL__N_135rocblas_gemm_batched_general_kernelIdLi16ELi16ELi32ELi32ELi8ELi32ELi8ELi8ELi32ELc78ELc78EKdS1_dEEvlllT_PT11_llS4_llS2_PT12_llPT13_lli
    .private_segment_fixed_size: 0
    .sgpr_count:     54
    .sgpr_spill_count: 0
    .symbol:         _ZN12_GLOBAL__N_135rocblas_gemm_batched_general_kernelIdLi16ELi16ELi32ELi32ELi8ELi32ELi8ELi8ELi32ELc78ELc78EKdS1_dEEvlllT_PT11_llS4_llS2_PT12_llPT13_lli.kd
    .uniform_work_group_size: 1
    .uses_dynamic_stack: false
    .vgpr_count:     48
    .vgpr_spill_count: 0
    .wavefront_size: 32
    .workgroup_processor_mode: 1
  - .args:
      - .offset:         0
        .size:           8
        .value_kind:     by_value
      - .offset:         8
        .size:           8
        .value_kind:     by_value
      - .offset:         16
        .size:           8
        .value_kind:     by_value
      - .offset:         24
        .size:           8
        .value_kind:     by_value
      - .address_space:  global
        .offset:         32
        .size:           8
        .value_kind:     global_buffer
      - .offset:         40
        .size:           8
        .value_kind:     by_value
      - .offset:         48
        .size:           8
        .value_kind:     by_value
      - .address_space:  global
        .offset:         56
        .size:           8
        .value_kind:     global_buffer
      - .offset:         64
        .size:           8
        .value_kind:     by_value
      - .offset:         72
        .size:           8
        .value_kind:     by_value
      - .offset:         80
        .size:           8
        .value_kind:     by_value
      - .address_space:  global
        .offset:         88
        .size:           8
        .value_kind:     global_buffer
      - .offset:         96
        .size:           8
        .value_kind:     by_value
      - .offset:         104
        .size:           8
        .value_kind:     by_value
      - .address_space:  global
        .offset:         112
        .size:           8
        .value_kind:     global_buffer
      - .offset:         120
        .size:           8
        .value_kind:     by_value
      - .offset:         128
        .size:           8
        .value_kind:     by_value
      - .offset:         136
        .size:           4
        .value_kind:     by_value
    .group_segment_fixed_size: 4096
    .kernarg_segment_align: 8
    .kernarg_segment_size: 140
    .language:       OpenCL C
    .language_version:
      - 2
      - 0
    .max_flat_workgroup_size: 256
    .name:           _ZN12_GLOBAL__N_135rocblas_gemm_batched_general_kernelIdLi16ELi16ELi32ELi32ELi8ELi32ELi8ELi8ELi32ELc84ELc78EKdS1_dEEvlllT_PT11_llS4_llS2_PT12_llPT13_lli
    .private_segment_fixed_size: 0
    .sgpr_count:     54
    .sgpr_spill_count: 0
    .symbol:         _ZN12_GLOBAL__N_135rocblas_gemm_batched_general_kernelIdLi16ELi16ELi32ELi32ELi8ELi32ELi8ELi8ELi32ELc84ELc78EKdS1_dEEvlllT_PT11_llS4_llS2_PT12_llPT13_lli.kd
    .uniform_work_group_size: 1
    .uses_dynamic_stack: false
    .vgpr_count:     48
    .vgpr_spill_count: 0
    .wavefront_size: 32
    .workgroup_processor_mode: 1
  - .args:
      - .offset:         0
        .size:           8
        .value_kind:     by_value
      - .offset:         8
        .size:           8
        .value_kind:     by_value
      - .offset:         16
        .size:           8
        .value_kind:     by_value
      - .offset:         24
        .size:           8
        .value_kind:     by_value
      - .address_space:  global
        .offset:         32
        .size:           8
        .value_kind:     global_buffer
      - .offset:         40
        .size:           8
        .value_kind:     by_value
      - .offset:         48
        .size:           8
        .value_kind:     by_value
      - .address_space:  global
        .offset:         56
        .size:           8
        .value_kind:     global_buffer
      - .offset:         64
        .size:           8
        .value_kind:     by_value
      - .offset:         72
        .size:           8
        .value_kind:     by_value
      - .offset:         80
        .size:           8
        .value_kind:     by_value
      - .address_space:  global
        .offset:         88
        .size:           8
        .value_kind:     global_buffer
      - .offset:         96
        .size:           8
        .value_kind:     by_value
      - .offset:         104
        .size:           8
        .value_kind:     by_value
      - .address_space:  global
        .offset:         112
        .size:           8
        .value_kind:     global_buffer
      - .offset:         120
        .size:           8
        .value_kind:     by_value
      - .offset:         128
        .size:           8
        .value_kind:     by_value
      - .offset:         136
        .size:           4
        .value_kind:     by_value
    .group_segment_fixed_size: 4096
    .kernarg_segment_align: 8
    .kernarg_segment_size: 140
    .language:       OpenCL C
    .language_version:
      - 2
      - 0
    .max_flat_workgroup_size: 256
    .name:           _ZN12_GLOBAL__N_135rocblas_gemm_batched_general_kernelIdLi16ELi16ELi32ELi32ELi8ELi32ELi8ELi8ELi32ELc78ELc84EKdS1_dEEvlllT_PT11_llS4_llS2_PT12_llPT13_lli
    .private_segment_fixed_size: 0
    .sgpr_count:     54
    .sgpr_spill_count: 0
    .symbol:         _ZN12_GLOBAL__N_135rocblas_gemm_batched_general_kernelIdLi16ELi16ELi32ELi32ELi8ELi32ELi8ELi8ELi32ELc78ELc84EKdS1_dEEvlllT_PT11_llS4_llS2_PT12_llPT13_lli.kd
    .uniform_work_group_size: 1
    .uses_dynamic_stack: false
    .vgpr_count:     48
    .vgpr_spill_count: 0
    .wavefront_size: 32
    .workgroup_processor_mode: 1
  - .args:
      - .offset:         0
        .size:           8
        .value_kind:     by_value
      - .offset:         8
        .size:           8
        .value_kind:     by_value
      - .offset:         16
        .size:           8
        .value_kind:     by_value
      - .offset:         24
        .size:           8
        .value_kind:     by_value
      - .address_space:  global
        .offset:         32
        .size:           8
        .value_kind:     global_buffer
      - .offset:         40
        .size:           8
        .value_kind:     by_value
      - .offset:         48
        .size:           8
        .value_kind:     by_value
      - .address_space:  global
        .offset:         56
        .size:           8
        .value_kind:     global_buffer
      - .offset:         64
        .size:           8
        .value_kind:     by_value
      - .offset:         72
        .size:           8
        .value_kind:     by_value
      - .offset:         80
        .size:           8
        .value_kind:     by_value
      - .address_space:  global
        .offset:         88
        .size:           8
        .value_kind:     global_buffer
      - .offset:         96
        .size:           8
        .value_kind:     by_value
      - .offset:         104
        .size:           8
        .value_kind:     by_value
      - .address_space:  global
        .offset:         112
        .size:           8
        .value_kind:     global_buffer
      - .offset:         120
        .size:           8
        .value_kind:     by_value
      - .offset:         128
        .size:           8
        .value_kind:     by_value
      - .offset:         136
        .size:           4
        .value_kind:     by_value
    .group_segment_fixed_size: 4096
    .kernarg_segment_align: 8
    .kernarg_segment_size: 140
    .language:       OpenCL C
    .language_version:
      - 2
      - 0
    .max_flat_workgroup_size: 256
    .name:           _ZN12_GLOBAL__N_135rocblas_gemm_batched_general_kernelIdLi16ELi16ELi32ELi32ELi8ELi32ELi8ELi8ELi32ELc84ELc84EKdS1_dEEvlllT_PT11_llS4_llS2_PT12_llPT13_lli
    .private_segment_fixed_size: 0
    .sgpr_count:     54
    .sgpr_spill_count: 0
    .symbol:         _ZN12_GLOBAL__N_135rocblas_gemm_batched_general_kernelIdLi16ELi16ELi32ELi32ELi8ELi32ELi8ELi8ELi32ELc84ELc84EKdS1_dEEvlllT_PT11_llS4_llS2_PT12_llPT13_lli.kd
    .uniform_work_group_size: 1
    .uses_dynamic_stack: false
    .vgpr_count:     48
    .vgpr_spill_count: 0
    .wavefront_size: 32
    .workgroup_processor_mode: 1
  - .args:
      - .offset:         0
        .size:           8
        .value_kind:     by_value
      - .offset:         8
        .size:           8
        .value_kind:     by_value
      - .offset:         16
        .size:           8
        .value_kind:     by_value
      - .offset:         24
        .size:           8
        .value_kind:     by_value
      - .address_space:  global
        .offset:         32
        .size:           8
        .value_kind:     global_buffer
      - .offset:         40
        .size:           8
        .value_kind:     by_value
      - .offset:         48
        .size:           8
        .value_kind:     by_value
      - .address_space:  global
        .offset:         56
        .size:           8
        .value_kind:     global_buffer
      - .offset:         64
        .size:           8
        .value_kind:     by_value
      - .offset:         72
        .size:           8
        .value_kind:     by_value
      - .offset:         80
        .size:           8
        .value_kind:     by_value
      - .address_space:  global
        .offset:         88
        .size:           8
        .value_kind:     global_buffer
      - .offset:         96
        .size:           8
        .value_kind:     by_value
      - .offset:         104
        .size:           8
        .value_kind:     by_value
      - .address_space:  global
        .offset:         112
        .size:           8
        .value_kind:     global_buffer
      - .offset:         120
        .size:           8
        .value_kind:     by_value
      - .offset:         128
        .size:           8
        .value_kind:     by_value
      - .offset:         136
        .size:           4
        .value_kind:     by_value
    .group_segment_fixed_size: 4096
    .kernarg_segment_align: 8
    .kernarg_segment_size: 140
    .language:       OpenCL C
    .language_version:
      - 2
      - 0
    .max_flat_workgroup_size: 256
    .name:           _ZN12_GLOBAL__N_135rocblas_gemm_batched_general_kernelIdLi16ELi16ELi32ELi32ELi8ELi32ELi8ELi8ELi32ELc67ELc67EKdS1_dEEvlllT_PT11_llS4_llS2_PT12_llPT13_lli
    .private_segment_fixed_size: 0
    .sgpr_count:     54
    .sgpr_spill_count: 0
    .symbol:         _ZN12_GLOBAL__N_135rocblas_gemm_batched_general_kernelIdLi16ELi16ELi32ELi32ELi8ELi32ELi8ELi8ELi32ELc67ELc67EKdS1_dEEvlllT_PT11_llS4_llS2_PT12_llPT13_lli.kd
    .uniform_work_group_size: 1
    .uses_dynamic_stack: false
    .vgpr_count:     48
    .vgpr_spill_count: 0
    .wavefront_size: 32
    .workgroup_processor_mode: 1
  - .args:
      - .offset:         0
        .size:           8
        .value_kind:     by_value
      - .offset:         8
        .size:           8
        .value_kind:     by_value
      - .offset:         16
        .size:           8
        .value_kind:     by_value
      - .offset:         24
        .size:           8
        .value_kind:     by_value
      - .address_space:  global
        .offset:         32
        .size:           8
        .value_kind:     global_buffer
      - .offset:         40
        .size:           8
        .value_kind:     by_value
      - .offset:         48
        .size:           8
        .value_kind:     by_value
      - .address_space:  global
        .offset:         56
        .size:           8
        .value_kind:     global_buffer
      - .offset:         64
        .size:           8
        .value_kind:     by_value
      - .offset:         72
        .size:           8
        .value_kind:     by_value
      - .offset:         80
        .size:           8
        .value_kind:     by_value
      - .address_space:  global
        .offset:         88
        .size:           8
        .value_kind:     global_buffer
      - .offset:         96
        .size:           8
        .value_kind:     by_value
      - .offset:         104
        .size:           8
        .value_kind:     by_value
      - .address_space:  global
        .offset:         112
        .size:           8
        .value_kind:     global_buffer
      - .offset:         120
        .size:           8
        .value_kind:     by_value
      - .offset:         128
        .size:           8
        .value_kind:     by_value
      - .offset:         136
        .size:           4
        .value_kind:     by_value
    .group_segment_fixed_size: 4096
    .kernarg_segment_align: 8
    .kernarg_segment_size: 140
    .language:       OpenCL C
    .language_version:
      - 2
      - 0
    .max_flat_workgroup_size: 256
    .name:           _ZN12_GLOBAL__N_135rocblas_gemm_batched_general_kernelIdLi16ELi16ELi32ELi32ELi8ELi32ELi8ELi8ELi32ELc67ELc78EKdS1_dEEvlllT_PT11_llS4_llS2_PT12_llPT13_lli
    .private_segment_fixed_size: 0
    .sgpr_count:     54
    .sgpr_spill_count: 0
    .symbol:         _ZN12_GLOBAL__N_135rocblas_gemm_batched_general_kernelIdLi16ELi16ELi32ELi32ELi8ELi32ELi8ELi8ELi32ELc67ELc78EKdS1_dEEvlllT_PT11_llS4_llS2_PT12_llPT13_lli.kd
    .uniform_work_group_size: 1
    .uses_dynamic_stack: false
    .vgpr_count:     48
    .vgpr_spill_count: 0
    .wavefront_size: 32
    .workgroup_processor_mode: 1
  - .args:
      - .offset:         0
        .size:           8
        .value_kind:     by_value
      - .offset:         8
        .size:           8
        .value_kind:     by_value
      - .offset:         16
        .size:           8
        .value_kind:     by_value
      - .offset:         24
        .size:           8
        .value_kind:     by_value
      - .address_space:  global
        .offset:         32
        .size:           8
        .value_kind:     global_buffer
      - .offset:         40
        .size:           8
        .value_kind:     by_value
      - .offset:         48
        .size:           8
        .value_kind:     by_value
      - .address_space:  global
        .offset:         56
        .size:           8
        .value_kind:     global_buffer
      - .offset:         64
        .size:           8
        .value_kind:     by_value
      - .offset:         72
        .size:           8
        .value_kind:     by_value
      - .offset:         80
        .size:           8
        .value_kind:     by_value
      - .address_space:  global
        .offset:         88
        .size:           8
        .value_kind:     global_buffer
      - .offset:         96
        .size:           8
        .value_kind:     by_value
      - .offset:         104
        .size:           8
        .value_kind:     by_value
      - .address_space:  global
        .offset:         112
        .size:           8
        .value_kind:     global_buffer
      - .offset:         120
        .size:           8
        .value_kind:     by_value
      - .offset:         128
        .size:           8
        .value_kind:     by_value
      - .offset:         136
        .size:           4
        .value_kind:     by_value
    .group_segment_fixed_size: 4096
    .kernarg_segment_align: 8
    .kernarg_segment_size: 140
    .language:       OpenCL C
    .language_version:
      - 2
      - 0
    .max_flat_workgroup_size: 256
    .name:           _ZN12_GLOBAL__N_135rocblas_gemm_batched_general_kernelIdLi16ELi16ELi32ELi32ELi8ELi32ELi8ELi8ELi32ELc67ELc84EKdS1_dEEvlllT_PT11_llS4_llS2_PT12_llPT13_lli
    .private_segment_fixed_size: 0
    .sgpr_count:     54
    .sgpr_spill_count: 0
    .symbol:         _ZN12_GLOBAL__N_135rocblas_gemm_batched_general_kernelIdLi16ELi16ELi32ELi32ELi8ELi32ELi8ELi8ELi32ELc67ELc84EKdS1_dEEvlllT_PT11_llS4_llS2_PT12_llPT13_lli.kd
    .uniform_work_group_size: 1
    .uses_dynamic_stack: false
    .vgpr_count:     48
    .vgpr_spill_count: 0
    .wavefront_size: 32
    .workgroup_processor_mode: 1
  - .args:
      - .offset:         0
        .size:           8
        .value_kind:     by_value
      - .offset:         8
        .size:           8
        .value_kind:     by_value
      - .offset:         16
        .size:           8
        .value_kind:     by_value
      - .offset:         24
        .size:           8
        .value_kind:     by_value
      - .address_space:  global
        .offset:         32
        .size:           8
        .value_kind:     global_buffer
      - .offset:         40
        .size:           8
        .value_kind:     by_value
      - .offset:         48
        .size:           8
        .value_kind:     by_value
      - .address_space:  global
        .offset:         56
        .size:           8
        .value_kind:     global_buffer
      - .offset:         64
        .size:           8
        .value_kind:     by_value
      - .offset:         72
        .size:           8
        .value_kind:     by_value
      - .offset:         80
        .size:           8
        .value_kind:     by_value
      - .address_space:  global
        .offset:         88
        .size:           8
        .value_kind:     global_buffer
      - .offset:         96
        .size:           8
        .value_kind:     by_value
      - .offset:         104
        .size:           8
        .value_kind:     by_value
      - .address_space:  global
        .offset:         112
        .size:           8
        .value_kind:     global_buffer
      - .offset:         120
        .size:           8
        .value_kind:     by_value
      - .offset:         128
        .size:           8
        .value_kind:     by_value
      - .offset:         136
        .size:           4
        .value_kind:     by_value
    .group_segment_fixed_size: 4096
    .kernarg_segment_align: 8
    .kernarg_segment_size: 140
    .language:       OpenCL C
    .language_version:
      - 2
      - 0
    .max_flat_workgroup_size: 256
    .name:           _ZN12_GLOBAL__N_135rocblas_gemm_batched_general_kernelIdLi16ELi16ELi32ELi32ELi8ELi32ELi8ELi8ELi32ELc78ELc67EKdS1_dEEvlllT_PT11_llS4_llS2_PT12_llPT13_lli
    .private_segment_fixed_size: 0
    .sgpr_count:     54
    .sgpr_spill_count: 0
    .symbol:         _ZN12_GLOBAL__N_135rocblas_gemm_batched_general_kernelIdLi16ELi16ELi32ELi32ELi8ELi32ELi8ELi8ELi32ELc78ELc67EKdS1_dEEvlllT_PT11_llS4_llS2_PT12_llPT13_lli.kd
    .uniform_work_group_size: 1
    .uses_dynamic_stack: false
    .vgpr_count:     48
    .vgpr_spill_count: 0
    .wavefront_size: 32
    .workgroup_processor_mode: 1
  - .args:
      - .offset:         0
        .size:           8
        .value_kind:     by_value
      - .offset:         8
        .size:           8
        .value_kind:     by_value
      - .offset:         16
        .size:           8
        .value_kind:     by_value
      - .offset:         24
        .size:           8
        .value_kind:     by_value
      - .address_space:  global
        .offset:         32
        .size:           8
        .value_kind:     global_buffer
      - .offset:         40
        .size:           8
        .value_kind:     by_value
      - .offset:         48
        .size:           8
        .value_kind:     by_value
      - .address_space:  global
        .offset:         56
        .size:           8
        .value_kind:     global_buffer
      - .offset:         64
        .size:           8
        .value_kind:     by_value
      - .offset:         72
        .size:           8
        .value_kind:     by_value
      - .offset:         80
        .size:           8
        .value_kind:     by_value
      - .address_space:  global
        .offset:         88
        .size:           8
        .value_kind:     global_buffer
      - .offset:         96
        .size:           8
        .value_kind:     by_value
      - .offset:         104
        .size:           8
        .value_kind:     by_value
      - .address_space:  global
        .offset:         112
        .size:           8
        .value_kind:     global_buffer
      - .offset:         120
        .size:           8
        .value_kind:     by_value
      - .offset:         128
        .size:           8
        .value_kind:     by_value
      - .offset:         136
        .size:           4
        .value_kind:     by_value
    .group_segment_fixed_size: 4096
    .kernarg_segment_align: 8
    .kernarg_segment_size: 140
    .language:       OpenCL C
    .language_version:
      - 2
      - 0
    .max_flat_workgroup_size: 256
    .name:           _ZN12_GLOBAL__N_135rocblas_gemm_batched_general_kernelIdLi16ELi16ELi32ELi32ELi8ELi32ELi8ELi8ELi32ELc84ELc67EKdS1_dEEvlllT_PT11_llS4_llS2_PT12_llPT13_lli
    .private_segment_fixed_size: 0
    .sgpr_count:     54
    .sgpr_spill_count: 0
    .symbol:         _ZN12_GLOBAL__N_135rocblas_gemm_batched_general_kernelIdLi16ELi16ELi32ELi32ELi8ELi32ELi8ELi8ELi32ELc84ELc67EKdS1_dEEvlllT_PT11_llS4_llS2_PT12_llPT13_lli.kd
    .uniform_work_group_size: 1
    .uses_dynamic_stack: false
    .vgpr_count:     48
    .vgpr_spill_count: 0
    .wavefront_size: 32
    .workgroup_processor_mode: 1
  - .args:
      - .offset:         0
        .size:           4
        .value_kind:     by_value
      - .offset:         4
        .size:           4
        .value_kind:     by_value
      - .offset:         8
        .size:           8
        .value_kind:     by_value
      - .address_space:  global
        .offset:         16
        .size:           8
        .value_kind:     global_buffer
      - .offset:         24
        .size:           8
        .value_kind:     by_value
      - .offset:         32
        .size:           8
        .value_kind:     by_value
      - .offset:         40
        .size:           8
        .value_kind:     by_value
      - .offset:         48
        .size:           4
        .value_kind:     by_value
    .group_segment_fixed_size: 0
    .kernarg_segment_align: 8
    .kernarg_segment_size: 52
    .language:       OpenCL C
    .language_version:
      - 2
      - 0
    .max_flat_workgroup_size: 1024
    .name:           _ZN12_GLOBAL__N_125rocblas_gemm_scale_kernelILi32ELi32E19rocblas_complex_numIfEPS2_EEviiT1_T2_llli
    .private_segment_fixed_size: 0
    .sgpr_count:     17
    .sgpr_spill_count: 0
    .symbol:         _ZN12_GLOBAL__N_125rocblas_gemm_scale_kernelILi32ELi32E19rocblas_complex_numIfEPS2_EEviiT1_T2_llli.kd
    .uniform_work_group_size: 1
    .uses_dynamic_stack: false
    .vgpr_count:     8
    .vgpr_spill_count: 0
    .wavefront_size: 32
    .workgroup_processor_mode: 1
  - .args:
      - .offset:         0
        .size:           4
        .value_kind:     by_value
      - .offset:         4
        .size:           4
        .value_kind:     by_value
      - .offset:         8
        .size:           8
        .value_kind:     by_value
      - .address_space:  global
        .offset:         16
        .size:           8
        .value_kind:     global_buffer
      - .offset:         24
        .size:           8
        .value_kind:     by_value
      - .offset:         32
        .size:           8
        .value_kind:     by_value
      - .offset:         40
        .size:           8
        .value_kind:     by_value
      - .address_space:  global
        .offset:         48
        .size:           8
        .value_kind:     global_buffer
      - .offset:         56
        .size:           8
        .value_kind:     by_value
      - .offset:         64
        .size:           8
        .value_kind:     by_value
      - .offset:         72
        .size:           8
        .value_kind:     by_value
      - .offset:         80
        .size:           4
        .value_kind:     by_value
    .group_segment_fixed_size: 0
    .kernarg_segment_align: 8
    .kernarg_segment_size: 84
    .language:       OpenCL C
    .language_version:
      - 2
      - 0
    .max_flat_workgroup_size: 1024
    .name:           _ZN12_GLOBAL__N_120gemm_ex_scale_kernelILi32ELi32E19rocblas_complex_numIfEPKS2_PS2_EEviiT1_T2_lllT3_llli
    .private_segment_fixed_size: 0
    .sgpr_count:     25
    .sgpr_spill_count: 0
    .symbol:         _ZN12_GLOBAL__N_120gemm_ex_scale_kernelILi32ELi32E19rocblas_complex_numIfEPKS2_PS2_EEviiT1_T2_lllT3_llli.kd
    .uniform_work_group_size: 1
    .uses_dynamic_stack: false
    .vgpr_count:     13
    .vgpr_spill_count: 0
    .wavefront_size: 32
    .workgroup_processor_mode: 1
  - .args:
      - .offset:         0
        .size:           8
        .value_kind:     by_value
      - .offset:         8
        .size:           8
        .value_kind:     by_value
      - .offset:         16
        .size:           8
        .value_kind:     by_value
      - .offset:         24
        .size:           8
        .value_kind:     by_value
      - .address_space:  global
        .offset:         32
        .size:           8
        .value_kind:     global_buffer
      - .offset:         40
        .size:           8
        .value_kind:     by_value
      - .offset:         48
        .size:           8
        .value_kind:     by_value
      - .address_space:  global
        .offset:         56
        .size:           8
        .value_kind:     global_buffer
      - .offset:         64
        .size:           8
        .value_kind:     by_value
      - .offset:         72
        .size:           8
        .value_kind:     by_value
      - .offset:         80
        .size:           8
        .value_kind:     by_value
      - .address_space:  global
        .offset:         88
        .size:           8
        .value_kind:     global_buffer
      - .offset:         96
        .size:           8
        .value_kind:     by_value
      - .offset:         104
        .size:           8
        .value_kind:     by_value
      - .address_space:  global
        .offset:         112
        .size:           8
        .value_kind:     global_buffer
      - .offset:         120
        .size:           8
        .value_kind:     by_value
      - .offset:         128
        .size:           8
        .value_kind:     by_value
      - .offset:         136
        .size:           4
        .value_kind:     by_value
    .group_segment_fixed_size: 4096
    .kernarg_segment_align: 8
    .kernarg_segment_size: 140
    .language:       OpenCL C
    .language_version:
      - 2
      - 0
    .max_flat_workgroup_size: 256
    .name:           _ZN12_GLOBAL__N_127rocblas_gemm_batched_kernelI19rocblas_complex_numIfELi16ELi16ELi64ELi64ELi4ELi64ELi4ELi4ELi64ELc78ELc78EKS2_S3_S2_EEvlllT_PT11_llS6_llS4_PT12_llPT13_lli
    .private_segment_fixed_size: 0
    .sgpr_count:     40
    .sgpr_spill_count: 0
    .symbol:         _ZN12_GLOBAL__N_127rocblas_gemm_batched_kernelI19rocblas_complex_numIfELi16ELi16ELi64ELi64ELi4ELi64ELi4ELi4ELi64ELc78ELc78EKS2_S3_S2_EEvlllT_PT11_llS6_llS4_PT12_llPT13_lli.kd
    .uniform_work_group_size: 1
    .uses_dynamic_stack: false
    .vgpr_count:     196
    .vgpr_spill_count: 0
    .wavefront_size: 32
    .workgroup_processor_mode: 1
  - .args:
      - .offset:         0
        .size:           8
        .value_kind:     by_value
      - .offset:         8
        .size:           8
        .value_kind:     by_value
      - .offset:         16
        .size:           8
        .value_kind:     by_value
      - .offset:         24
        .size:           8
        .value_kind:     by_value
      - .address_space:  global
        .offset:         32
        .size:           8
        .value_kind:     global_buffer
      - .offset:         40
        .size:           8
        .value_kind:     by_value
      - .offset:         48
        .size:           8
        .value_kind:     by_value
      - .address_space:  global
        .offset:         56
        .size:           8
        .value_kind:     global_buffer
      - .offset:         64
        .size:           8
        .value_kind:     by_value
      - .offset:         72
        .size:           8
        .value_kind:     by_value
      - .offset:         80
        .size:           8
        .value_kind:     by_value
      - .address_space:  global
        .offset:         88
        .size:           8
        .value_kind:     global_buffer
      - .offset:         96
        .size:           8
        .value_kind:     by_value
      - .offset:         104
        .size:           8
        .value_kind:     by_value
      - .address_space:  global
        .offset:         112
        .size:           8
        .value_kind:     global_buffer
      - .offset:         120
        .size:           8
        .value_kind:     by_value
      - .offset:         128
        .size:           8
        .value_kind:     by_value
      - .offset:         136
        .size:           4
        .value_kind:     by_value
    .group_segment_fixed_size: 4096
    .kernarg_segment_align: 8
    .kernarg_segment_size: 140
    .language:       OpenCL C
    .language_version:
      - 2
      - 0
    .max_flat_workgroup_size: 256
    .name:           _ZN12_GLOBAL__N_127rocblas_gemm_batched_kernelI19rocblas_complex_numIfELi16ELi16ELi64ELi64ELi4ELi64ELi4ELi4ELi64ELc84ELc78EKS2_S3_S2_EEvlllT_PT11_llS6_llS4_PT12_llPT13_lli
    .private_segment_fixed_size: 0
    .sgpr_count:     40
    .sgpr_spill_count: 0
    .symbol:         _ZN12_GLOBAL__N_127rocblas_gemm_batched_kernelI19rocblas_complex_numIfELi16ELi16ELi64ELi64ELi4ELi64ELi4ELi4ELi64ELc84ELc78EKS2_S3_S2_EEvlllT_PT11_llS6_llS4_PT12_llPT13_lli.kd
    .uniform_work_group_size: 1
    .uses_dynamic_stack: false
    .vgpr_count:     196
    .vgpr_spill_count: 0
    .wavefront_size: 32
    .workgroup_processor_mode: 1
  - .args:
      - .offset:         0
        .size:           8
        .value_kind:     by_value
      - .offset:         8
        .size:           8
        .value_kind:     by_value
      - .offset:         16
        .size:           8
        .value_kind:     by_value
      - .offset:         24
        .size:           8
        .value_kind:     by_value
      - .address_space:  global
        .offset:         32
        .size:           8
        .value_kind:     global_buffer
      - .offset:         40
        .size:           8
        .value_kind:     by_value
      - .offset:         48
        .size:           8
        .value_kind:     by_value
      - .address_space:  global
        .offset:         56
        .size:           8
        .value_kind:     global_buffer
      - .offset:         64
        .size:           8
        .value_kind:     by_value
      - .offset:         72
        .size:           8
        .value_kind:     by_value
      - .offset:         80
        .size:           8
        .value_kind:     by_value
      - .address_space:  global
        .offset:         88
        .size:           8
        .value_kind:     global_buffer
      - .offset:         96
        .size:           8
        .value_kind:     by_value
      - .offset:         104
        .size:           8
        .value_kind:     by_value
      - .address_space:  global
        .offset:         112
        .size:           8
        .value_kind:     global_buffer
      - .offset:         120
        .size:           8
        .value_kind:     by_value
      - .offset:         128
        .size:           8
        .value_kind:     by_value
      - .offset:         136
        .size:           4
        .value_kind:     by_value
    .group_segment_fixed_size: 4096
    .kernarg_segment_align: 8
    .kernarg_segment_size: 140
    .language:       OpenCL C
    .language_version:
      - 2
      - 0
    .max_flat_workgroup_size: 256
    .name:           _ZN12_GLOBAL__N_127rocblas_gemm_batched_kernelI19rocblas_complex_numIfELi16ELi16ELi64ELi64ELi4ELi64ELi4ELi4ELi64ELc78ELc84EKS2_S3_S2_EEvlllT_PT11_llS6_llS4_PT12_llPT13_lli
    .private_segment_fixed_size: 0
    .sgpr_count:     41
    .sgpr_spill_count: 0
    .symbol:         _ZN12_GLOBAL__N_127rocblas_gemm_batched_kernelI19rocblas_complex_numIfELi16ELi16ELi64ELi64ELi4ELi64ELi4ELi4ELi64ELc78ELc84EKS2_S3_S2_EEvlllT_PT11_llS6_llS4_PT12_llPT13_lli.kd
    .uniform_work_group_size: 1
    .uses_dynamic_stack: false
    .vgpr_count:     196
    .vgpr_spill_count: 0
    .wavefront_size: 32
    .workgroup_processor_mode: 1
  - .args:
      - .offset:         0
        .size:           8
        .value_kind:     by_value
      - .offset:         8
        .size:           8
        .value_kind:     by_value
      - .offset:         16
        .size:           8
        .value_kind:     by_value
      - .offset:         24
        .size:           8
        .value_kind:     by_value
      - .address_space:  global
        .offset:         32
        .size:           8
        .value_kind:     global_buffer
      - .offset:         40
        .size:           8
        .value_kind:     by_value
      - .offset:         48
        .size:           8
        .value_kind:     by_value
      - .address_space:  global
        .offset:         56
        .size:           8
        .value_kind:     global_buffer
      - .offset:         64
        .size:           8
        .value_kind:     by_value
      - .offset:         72
        .size:           8
        .value_kind:     by_value
      - .offset:         80
        .size:           8
        .value_kind:     by_value
      - .address_space:  global
        .offset:         88
        .size:           8
        .value_kind:     global_buffer
      - .offset:         96
        .size:           8
        .value_kind:     by_value
      - .offset:         104
        .size:           8
        .value_kind:     by_value
      - .address_space:  global
        .offset:         112
        .size:           8
        .value_kind:     global_buffer
      - .offset:         120
        .size:           8
        .value_kind:     by_value
      - .offset:         128
        .size:           8
        .value_kind:     by_value
      - .offset:         136
        .size:           4
        .value_kind:     by_value
    .group_segment_fixed_size: 4096
    .kernarg_segment_align: 8
    .kernarg_segment_size: 140
    .language:       OpenCL C
    .language_version:
      - 2
      - 0
    .max_flat_workgroup_size: 256
    .name:           _ZN12_GLOBAL__N_127rocblas_gemm_batched_kernelI19rocblas_complex_numIfELi16ELi16ELi64ELi64ELi4ELi64ELi4ELi4ELi64ELc84ELc84EKS2_S3_S2_EEvlllT_PT11_llS6_llS4_PT12_llPT13_lli
    .private_segment_fixed_size: 0
    .sgpr_count:     41
    .sgpr_spill_count: 0
    .symbol:         _ZN12_GLOBAL__N_127rocblas_gemm_batched_kernelI19rocblas_complex_numIfELi16ELi16ELi64ELi64ELi4ELi64ELi4ELi4ELi64ELc84ELc84EKS2_S3_S2_EEvlllT_PT11_llS6_llS4_PT12_llPT13_lli.kd
    .uniform_work_group_size: 1
    .uses_dynamic_stack: false
    .vgpr_count:     196
    .vgpr_spill_count: 0
    .wavefront_size: 32
    .workgroup_processor_mode: 1
  - .args:
      - .offset:         0
        .size:           8
        .value_kind:     by_value
      - .offset:         8
        .size:           8
        .value_kind:     by_value
      - .offset:         16
        .size:           8
        .value_kind:     by_value
      - .offset:         24
        .size:           8
        .value_kind:     by_value
      - .address_space:  global
        .offset:         32
        .size:           8
        .value_kind:     global_buffer
      - .offset:         40
        .size:           8
        .value_kind:     by_value
      - .offset:         48
        .size:           8
        .value_kind:     by_value
      - .address_space:  global
        .offset:         56
        .size:           8
        .value_kind:     global_buffer
      - .offset:         64
        .size:           8
        .value_kind:     by_value
      - .offset:         72
        .size:           8
        .value_kind:     by_value
      - .offset:         80
        .size:           8
        .value_kind:     by_value
      - .address_space:  global
        .offset:         88
        .size:           8
        .value_kind:     global_buffer
      - .offset:         96
        .size:           8
        .value_kind:     by_value
      - .offset:         104
        .size:           8
        .value_kind:     by_value
      - .address_space:  global
        .offset:         112
        .size:           8
        .value_kind:     global_buffer
      - .offset:         120
        .size:           8
        .value_kind:     by_value
      - .offset:         128
        .size:           8
        .value_kind:     by_value
      - .offset:         136
        .size:           4
        .value_kind:     by_value
    .group_segment_fixed_size: 4096
    .kernarg_segment_align: 8
    .kernarg_segment_size: 140
    .language:       OpenCL C
    .language_version:
      - 2
      - 0
    .max_flat_workgroup_size: 256
    .name:           _ZN12_GLOBAL__N_127rocblas_gemm_batched_kernelI19rocblas_complex_numIfELi16ELi16ELi64ELi64ELi4ELi64ELi4ELi4ELi64ELc67ELc67EKS2_S3_S2_EEvlllT_PT11_llS6_llS4_PT12_llPT13_lli
    .private_segment_fixed_size: 0
    .sgpr_count:     41
    .sgpr_spill_count: 0
    .symbol:         _ZN12_GLOBAL__N_127rocblas_gemm_batched_kernelI19rocblas_complex_numIfELi16ELi16ELi64ELi64ELi4ELi64ELi4ELi4ELi64ELc67ELc67EKS2_S3_S2_EEvlllT_PT11_llS6_llS4_PT12_llPT13_lli.kd
    .uniform_work_group_size: 1
    .uses_dynamic_stack: false
    .vgpr_count:     196
    .vgpr_spill_count: 0
    .wavefront_size: 32
    .workgroup_processor_mode: 1
  - .args:
      - .offset:         0
        .size:           8
        .value_kind:     by_value
      - .offset:         8
        .size:           8
        .value_kind:     by_value
      - .offset:         16
        .size:           8
        .value_kind:     by_value
      - .offset:         24
        .size:           8
        .value_kind:     by_value
      - .address_space:  global
        .offset:         32
        .size:           8
        .value_kind:     global_buffer
      - .offset:         40
        .size:           8
        .value_kind:     by_value
      - .offset:         48
        .size:           8
        .value_kind:     by_value
      - .address_space:  global
        .offset:         56
        .size:           8
        .value_kind:     global_buffer
      - .offset:         64
        .size:           8
        .value_kind:     by_value
      - .offset:         72
        .size:           8
        .value_kind:     by_value
      - .offset:         80
        .size:           8
        .value_kind:     by_value
      - .address_space:  global
        .offset:         88
        .size:           8
        .value_kind:     global_buffer
      - .offset:         96
        .size:           8
        .value_kind:     by_value
      - .offset:         104
        .size:           8
        .value_kind:     by_value
      - .address_space:  global
        .offset:         112
        .size:           8
        .value_kind:     global_buffer
      - .offset:         120
        .size:           8
        .value_kind:     by_value
      - .offset:         128
        .size:           8
        .value_kind:     by_value
      - .offset:         136
        .size:           4
        .value_kind:     by_value
    .group_segment_fixed_size: 4096
    .kernarg_segment_align: 8
    .kernarg_segment_size: 140
    .language:       OpenCL C
    .language_version:
      - 2
      - 0
    .max_flat_workgroup_size: 256
    .name:           _ZN12_GLOBAL__N_127rocblas_gemm_batched_kernelI19rocblas_complex_numIfELi16ELi16ELi64ELi64ELi4ELi64ELi4ELi4ELi64ELc67ELc78EKS2_S3_S2_EEvlllT_PT11_llS6_llS4_PT12_llPT13_lli
    .private_segment_fixed_size: 0
    .sgpr_count:     40
    .sgpr_spill_count: 0
    .symbol:         _ZN12_GLOBAL__N_127rocblas_gemm_batched_kernelI19rocblas_complex_numIfELi16ELi16ELi64ELi64ELi4ELi64ELi4ELi4ELi64ELc67ELc78EKS2_S3_S2_EEvlllT_PT11_llS6_llS4_PT12_llPT13_lli.kd
    .uniform_work_group_size: 1
    .uses_dynamic_stack: false
    .vgpr_count:     196
    .vgpr_spill_count: 0
    .wavefront_size: 32
    .workgroup_processor_mode: 1
  - .args:
      - .offset:         0
        .size:           8
        .value_kind:     by_value
      - .offset:         8
        .size:           8
        .value_kind:     by_value
      - .offset:         16
        .size:           8
        .value_kind:     by_value
      - .offset:         24
        .size:           8
        .value_kind:     by_value
      - .address_space:  global
        .offset:         32
        .size:           8
        .value_kind:     global_buffer
      - .offset:         40
        .size:           8
        .value_kind:     by_value
      - .offset:         48
        .size:           8
        .value_kind:     by_value
      - .address_space:  global
        .offset:         56
        .size:           8
        .value_kind:     global_buffer
      - .offset:         64
        .size:           8
        .value_kind:     by_value
      - .offset:         72
        .size:           8
        .value_kind:     by_value
      - .offset:         80
        .size:           8
        .value_kind:     by_value
      - .address_space:  global
        .offset:         88
        .size:           8
        .value_kind:     global_buffer
      - .offset:         96
        .size:           8
        .value_kind:     by_value
      - .offset:         104
        .size:           8
        .value_kind:     by_value
      - .address_space:  global
        .offset:         112
        .size:           8
        .value_kind:     global_buffer
      - .offset:         120
        .size:           8
        .value_kind:     by_value
      - .offset:         128
        .size:           8
        .value_kind:     by_value
      - .offset:         136
        .size:           4
        .value_kind:     by_value
    .group_segment_fixed_size: 4096
    .kernarg_segment_align: 8
    .kernarg_segment_size: 140
    .language:       OpenCL C
    .language_version:
      - 2
      - 0
    .max_flat_workgroup_size: 256
    .name:           _ZN12_GLOBAL__N_127rocblas_gemm_batched_kernelI19rocblas_complex_numIfELi16ELi16ELi64ELi64ELi4ELi64ELi4ELi4ELi64ELc67ELc84EKS2_S3_S2_EEvlllT_PT11_llS6_llS4_PT12_llPT13_lli
    .private_segment_fixed_size: 0
    .sgpr_count:     41
    .sgpr_spill_count: 0
    .symbol:         _ZN12_GLOBAL__N_127rocblas_gemm_batched_kernelI19rocblas_complex_numIfELi16ELi16ELi64ELi64ELi4ELi64ELi4ELi4ELi64ELc67ELc84EKS2_S3_S2_EEvlllT_PT11_llS6_llS4_PT12_llPT13_lli.kd
    .uniform_work_group_size: 1
    .uses_dynamic_stack: false
    .vgpr_count:     196
    .vgpr_spill_count: 0
    .wavefront_size: 32
    .workgroup_processor_mode: 1
  - .args:
      - .offset:         0
        .size:           8
        .value_kind:     by_value
      - .offset:         8
        .size:           8
        .value_kind:     by_value
      - .offset:         16
        .size:           8
        .value_kind:     by_value
      - .offset:         24
        .size:           8
        .value_kind:     by_value
      - .address_space:  global
        .offset:         32
        .size:           8
        .value_kind:     global_buffer
      - .offset:         40
        .size:           8
        .value_kind:     by_value
      - .offset:         48
        .size:           8
        .value_kind:     by_value
      - .address_space:  global
        .offset:         56
        .size:           8
        .value_kind:     global_buffer
      - .offset:         64
        .size:           8
        .value_kind:     by_value
      - .offset:         72
        .size:           8
        .value_kind:     by_value
      - .offset:         80
        .size:           8
        .value_kind:     by_value
      - .address_space:  global
        .offset:         88
        .size:           8
        .value_kind:     global_buffer
      - .offset:         96
        .size:           8
        .value_kind:     by_value
      - .offset:         104
        .size:           8
        .value_kind:     by_value
      - .address_space:  global
        .offset:         112
        .size:           8
        .value_kind:     global_buffer
      - .offset:         120
        .size:           8
        .value_kind:     by_value
      - .offset:         128
        .size:           8
        .value_kind:     by_value
      - .offset:         136
        .size:           4
        .value_kind:     by_value
    .group_segment_fixed_size: 4096
    .kernarg_segment_align: 8
    .kernarg_segment_size: 140
    .language:       OpenCL C
    .language_version:
      - 2
      - 0
    .max_flat_workgroup_size: 256
    .name:           _ZN12_GLOBAL__N_127rocblas_gemm_batched_kernelI19rocblas_complex_numIfELi16ELi16ELi64ELi64ELi4ELi64ELi4ELi4ELi64ELc78ELc67EKS2_S3_S2_EEvlllT_PT11_llS6_llS4_PT12_llPT13_lli
    .private_segment_fixed_size: 0
    .sgpr_count:     41
    .sgpr_spill_count: 0
    .symbol:         _ZN12_GLOBAL__N_127rocblas_gemm_batched_kernelI19rocblas_complex_numIfELi16ELi16ELi64ELi64ELi4ELi64ELi4ELi4ELi64ELc78ELc67EKS2_S3_S2_EEvlllT_PT11_llS6_llS4_PT12_llPT13_lli.kd
    .uniform_work_group_size: 1
    .uses_dynamic_stack: false
    .vgpr_count:     196
    .vgpr_spill_count: 0
    .wavefront_size: 32
    .workgroup_processor_mode: 1
  - .args:
      - .offset:         0
        .size:           8
        .value_kind:     by_value
      - .offset:         8
        .size:           8
        .value_kind:     by_value
      - .offset:         16
        .size:           8
        .value_kind:     by_value
      - .offset:         24
        .size:           8
        .value_kind:     by_value
      - .address_space:  global
        .offset:         32
        .size:           8
        .value_kind:     global_buffer
      - .offset:         40
        .size:           8
        .value_kind:     by_value
      - .offset:         48
        .size:           8
        .value_kind:     by_value
      - .address_space:  global
        .offset:         56
        .size:           8
        .value_kind:     global_buffer
      - .offset:         64
        .size:           8
        .value_kind:     by_value
      - .offset:         72
        .size:           8
        .value_kind:     by_value
      - .offset:         80
        .size:           8
        .value_kind:     by_value
      - .address_space:  global
        .offset:         88
        .size:           8
        .value_kind:     global_buffer
      - .offset:         96
        .size:           8
        .value_kind:     by_value
      - .offset:         104
        .size:           8
        .value_kind:     by_value
      - .address_space:  global
        .offset:         112
        .size:           8
        .value_kind:     global_buffer
      - .offset:         120
        .size:           8
        .value_kind:     by_value
      - .offset:         128
        .size:           8
        .value_kind:     by_value
      - .offset:         136
        .size:           4
        .value_kind:     by_value
    .group_segment_fixed_size: 4096
    .kernarg_segment_align: 8
    .kernarg_segment_size: 140
    .language:       OpenCL C
    .language_version:
      - 2
      - 0
    .max_flat_workgroup_size: 256
    .name:           _ZN12_GLOBAL__N_127rocblas_gemm_batched_kernelI19rocblas_complex_numIfELi16ELi16ELi64ELi64ELi4ELi64ELi4ELi4ELi64ELc84ELc67EKS2_S3_S2_EEvlllT_PT11_llS6_llS4_PT12_llPT13_lli
    .private_segment_fixed_size: 0
    .sgpr_count:     41
    .sgpr_spill_count: 0
    .symbol:         _ZN12_GLOBAL__N_127rocblas_gemm_batched_kernelI19rocblas_complex_numIfELi16ELi16ELi64ELi64ELi4ELi64ELi4ELi4ELi64ELc84ELc67EKS2_S3_S2_EEvlllT_PT11_llS6_llS4_PT12_llPT13_lli.kd
    .uniform_work_group_size: 1
    .uses_dynamic_stack: false
    .vgpr_count:     196
    .vgpr_spill_count: 0
    .wavefront_size: 32
    .workgroup_processor_mode: 1
  - .args:
      - .offset:         0
        .size:           8
        .value_kind:     by_value
      - .offset:         8
        .size:           8
        .value_kind:     by_value
      - .offset:         16
        .size:           8
        .value_kind:     by_value
      - .offset:         24
        .size:           8
        .value_kind:     by_value
      - .address_space:  global
        .offset:         32
        .size:           8
        .value_kind:     global_buffer
      - .offset:         40
        .size:           8
        .value_kind:     by_value
      - .offset:         48
        .size:           8
        .value_kind:     by_value
      - .address_space:  global
        .offset:         56
        .size:           8
        .value_kind:     global_buffer
      - .offset:         64
        .size:           8
        .value_kind:     by_value
      - .offset:         72
        .size:           8
        .value_kind:     by_value
      - .offset:         80
        .size:           8
        .value_kind:     by_value
      - .address_space:  global
        .offset:         88
        .size:           8
        .value_kind:     global_buffer
      - .offset:         96
        .size:           8
        .value_kind:     by_value
      - .offset:         104
        .size:           8
        .value_kind:     by_value
      - .address_space:  global
        .offset:         112
        .size:           8
        .value_kind:     global_buffer
      - .offset:         120
        .size:           8
        .value_kind:     by_value
      - .offset:         128
        .size:           8
        .value_kind:     by_value
      - .offset:         136
        .size:           4
        .value_kind:     by_value
    .group_segment_fixed_size: 4096
    .kernarg_segment_align: 8
    .kernarg_segment_size: 140
    .language:       OpenCL C
    .language_version:
      - 2
      - 0
    .max_flat_workgroup_size: 256
    .name:           _ZN12_GLOBAL__N_127rocblas_gemm_batched_kernelI19rocblas_complex_numIfELi16ELi16ELi32ELi32ELi8ELi32ELi8ELi8ELi32ELc78ELc78EKS2_S3_S2_EEvlllT_PT11_llS6_llS4_PT12_llPT13_lli
    .private_segment_fixed_size: 0
    .sgpr_count:     39
    .sgpr_spill_count: 0
    .symbol:         _ZN12_GLOBAL__N_127rocblas_gemm_batched_kernelI19rocblas_complex_numIfELi16ELi16ELi32ELi32ELi8ELi32ELi8ELi8ELi32ELc78ELc78EKS2_S3_S2_EEvlllT_PT11_llS6_llS4_PT12_llPT13_lli.kd
    .uniform_work_group_size: 1
    .uses_dynamic_stack: false
    .vgpr_count:     100
    .vgpr_spill_count: 0
    .wavefront_size: 32
    .workgroup_processor_mode: 1
  - .args:
      - .offset:         0
        .size:           8
        .value_kind:     by_value
      - .offset:         8
        .size:           8
        .value_kind:     by_value
      - .offset:         16
        .size:           8
        .value_kind:     by_value
      - .offset:         24
        .size:           8
        .value_kind:     by_value
      - .address_space:  global
        .offset:         32
        .size:           8
        .value_kind:     global_buffer
      - .offset:         40
        .size:           8
        .value_kind:     by_value
      - .offset:         48
        .size:           8
        .value_kind:     by_value
      - .address_space:  global
        .offset:         56
        .size:           8
        .value_kind:     global_buffer
      - .offset:         64
        .size:           8
        .value_kind:     by_value
      - .offset:         72
        .size:           8
        .value_kind:     by_value
      - .offset:         80
        .size:           8
        .value_kind:     by_value
      - .address_space:  global
        .offset:         88
        .size:           8
        .value_kind:     global_buffer
      - .offset:         96
        .size:           8
        .value_kind:     by_value
      - .offset:         104
        .size:           8
        .value_kind:     by_value
      - .address_space:  global
        .offset:         112
        .size:           8
        .value_kind:     global_buffer
      - .offset:         120
        .size:           8
        .value_kind:     by_value
      - .offset:         128
        .size:           8
        .value_kind:     by_value
      - .offset:         136
        .size:           4
        .value_kind:     by_value
    .group_segment_fixed_size: 4096
    .kernarg_segment_align: 8
    .kernarg_segment_size: 140
    .language:       OpenCL C
    .language_version:
      - 2
      - 0
    .max_flat_workgroup_size: 256
    .name:           _ZN12_GLOBAL__N_127rocblas_gemm_batched_kernelI19rocblas_complex_numIfELi16ELi16ELi32ELi32ELi8ELi32ELi8ELi8ELi32ELc84ELc78EKS2_S3_S2_EEvlllT_PT11_llS6_llS4_PT12_llPT13_lli
    .private_segment_fixed_size: 0
    .sgpr_count:     40
    .sgpr_spill_count: 0
    .symbol:         _ZN12_GLOBAL__N_127rocblas_gemm_batched_kernelI19rocblas_complex_numIfELi16ELi16ELi32ELi32ELi8ELi32ELi8ELi8ELi32ELc84ELc78EKS2_S3_S2_EEvlllT_PT11_llS6_llS4_PT12_llPT13_lli.kd
    .uniform_work_group_size: 1
    .uses_dynamic_stack: false
    .vgpr_count:     100
    .vgpr_spill_count: 0
    .wavefront_size: 32
    .workgroup_processor_mode: 1
  - .args:
      - .offset:         0
        .size:           8
        .value_kind:     by_value
      - .offset:         8
        .size:           8
        .value_kind:     by_value
      - .offset:         16
        .size:           8
        .value_kind:     by_value
      - .offset:         24
        .size:           8
        .value_kind:     by_value
      - .address_space:  global
        .offset:         32
        .size:           8
        .value_kind:     global_buffer
      - .offset:         40
        .size:           8
        .value_kind:     by_value
      - .offset:         48
        .size:           8
        .value_kind:     by_value
      - .address_space:  global
        .offset:         56
        .size:           8
        .value_kind:     global_buffer
      - .offset:         64
        .size:           8
        .value_kind:     by_value
      - .offset:         72
        .size:           8
        .value_kind:     by_value
      - .offset:         80
        .size:           8
        .value_kind:     by_value
      - .address_space:  global
        .offset:         88
        .size:           8
        .value_kind:     global_buffer
      - .offset:         96
        .size:           8
        .value_kind:     by_value
      - .offset:         104
        .size:           8
        .value_kind:     by_value
      - .address_space:  global
        .offset:         112
        .size:           8
        .value_kind:     global_buffer
      - .offset:         120
        .size:           8
        .value_kind:     by_value
      - .offset:         128
        .size:           8
        .value_kind:     by_value
      - .offset:         136
        .size:           4
        .value_kind:     by_value
    .group_segment_fixed_size: 4096
    .kernarg_segment_align: 8
    .kernarg_segment_size: 140
    .language:       OpenCL C
    .language_version:
      - 2
      - 0
    .max_flat_workgroup_size: 256
    .name:           _ZN12_GLOBAL__N_127rocblas_gemm_batched_kernelI19rocblas_complex_numIfELi16ELi16ELi32ELi32ELi8ELi32ELi8ELi8ELi32ELc78ELc84EKS2_S3_S2_EEvlllT_PT11_llS6_llS4_PT12_llPT13_lli
    .private_segment_fixed_size: 0
    .sgpr_count:     39
    .sgpr_spill_count: 0
    .symbol:         _ZN12_GLOBAL__N_127rocblas_gemm_batched_kernelI19rocblas_complex_numIfELi16ELi16ELi32ELi32ELi8ELi32ELi8ELi8ELi32ELc78ELc84EKS2_S3_S2_EEvlllT_PT11_llS6_llS4_PT12_llPT13_lli.kd
    .uniform_work_group_size: 1
    .uses_dynamic_stack: false
    .vgpr_count:     100
    .vgpr_spill_count: 0
    .wavefront_size: 32
    .workgroup_processor_mode: 1
  - .args:
      - .offset:         0
        .size:           8
        .value_kind:     by_value
      - .offset:         8
        .size:           8
        .value_kind:     by_value
      - .offset:         16
        .size:           8
        .value_kind:     by_value
      - .offset:         24
        .size:           8
        .value_kind:     by_value
      - .address_space:  global
        .offset:         32
        .size:           8
        .value_kind:     global_buffer
      - .offset:         40
        .size:           8
        .value_kind:     by_value
      - .offset:         48
        .size:           8
        .value_kind:     by_value
      - .address_space:  global
        .offset:         56
        .size:           8
        .value_kind:     global_buffer
      - .offset:         64
        .size:           8
        .value_kind:     by_value
      - .offset:         72
        .size:           8
        .value_kind:     by_value
      - .offset:         80
        .size:           8
        .value_kind:     by_value
      - .address_space:  global
        .offset:         88
        .size:           8
        .value_kind:     global_buffer
      - .offset:         96
        .size:           8
        .value_kind:     by_value
      - .offset:         104
        .size:           8
        .value_kind:     by_value
      - .address_space:  global
        .offset:         112
        .size:           8
        .value_kind:     global_buffer
      - .offset:         120
        .size:           8
        .value_kind:     by_value
      - .offset:         128
        .size:           8
        .value_kind:     by_value
      - .offset:         136
        .size:           4
        .value_kind:     by_value
    .group_segment_fixed_size: 4096
    .kernarg_segment_align: 8
    .kernarg_segment_size: 140
    .language:       OpenCL C
    .language_version:
      - 2
      - 0
    .max_flat_workgroup_size: 256
    .name:           _ZN12_GLOBAL__N_127rocblas_gemm_batched_kernelI19rocblas_complex_numIfELi16ELi16ELi32ELi32ELi8ELi32ELi8ELi8ELi32ELc84ELc84EKS2_S3_S2_EEvlllT_PT11_llS6_llS4_PT12_llPT13_lli
    .private_segment_fixed_size: 0
    .sgpr_count:     41
    .sgpr_spill_count: 0
    .symbol:         _ZN12_GLOBAL__N_127rocblas_gemm_batched_kernelI19rocblas_complex_numIfELi16ELi16ELi32ELi32ELi8ELi32ELi8ELi8ELi32ELc84ELc84EKS2_S3_S2_EEvlllT_PT11_llS6_llS4_PT12_llPT13_lli.kd
    .uniform_work_group_size: 1
    .uses_dynamic_stack: false
    .vgpr_count:     100
    .vgpr_spill_count: 0
    .wavefront_size: 32
    .workgroup_processor_mode: 1
  - .args:
      - .offset:         0
        .size:           8
        .value_kind:     by_value
      - .offset:         8
        .size:           8
        .value_kind:     by_value
      - .offset:         16
        .size:           8
        .value_kind:     by_value
      - .offset:         24
        .size:           8
        .value_kind:     by_value
      - .address_space:  global
        .offset:         32
        .size:           8
        .value_kind:     global_buffer
      - .offset:         40
        .size:           8
        .value_kind:     by_value
      - .offset:         48
        .size:           8
        .value_kind:     by_value
      - .address_space:  global
        .offset:         56
        .size:           8
        .value_kind:     global_buffer
      - .offset:         64
        .size:           8
        .value_kind:     by_value
      - .offset:         72
        .size:           8
        .value_kind:     by_value
      - .offset:         80
        .size:           8
        .value_kind:     by_value
      - .address_space:  global
        .offset:         88
        .size:           8
        .value_kind:     global_buffer
      - .offset:         96
        .size:           8
        .value_kind:     by_value
      - .offset:         104
        .size:           8
        .value_kind:     by_value
      - .address_space:  global
        .offset:         112
        .size:           8
        .value_kind:     global_buffer
      - .offset:         120
        .size:           8
        .value_kind:     by_value
      - .offset:         128
        .size:           8
        .value_kind:     by_value
      - .offset:         136
        .size:           4
        .value_kind:     by_value
    .group_segment_fixed_size: 4096
    .kernarg_segment_align: 8
    .kernarg_segment_size: 140
    .language:       OpenCL C
    .language_version:
      - 2
      - 0
    .max_flat_workgroup_size: 256
    .name:           _ZN12_GLOBAL__N_127rocblas_gemm_batched_kernelI19rocblas_complex_numIfELi16ELi16ELi32ELi32ELi8ELi32ELi8ELi8ELi32ELc67ELc67EKS2_S3_S2_EEvlllT_PT11_llS6_llS4_PT12_llPT13_lli
    .private_segment_fixed_size: 0
    .sgpr_count:     41
    .sgpr_spill_count: 0
    .symbol:         _ZN12_GLOBAL__N_127rocblas_gemm_batched_kernelI19rocblas_complex_numIfELi16ELi16ELi32ELi32ELi8ELi32ELi8ELi8ELi32ELc67ELc67EKS2_S3_S2_EEvlllT_PT11_llS6_llS4_PT12_llPT13_lli.kd
    .uniform_work_group_size: 1
    .uses_dynamic_stack: false
    .vgpr_count:     100
    .vgpr_spill_count: 0
    .wavefront_size: 32
    .workgroup_processor_mode: 1
  - .args:
      - .offset:         0
        .size:           8
        .value_kind:     by_value
      - .offset:         8
        .size:           8
        .value_kind:     by_value
      - .offset:         16
        .size:           8
        .value_kind:     by_value
      - .offset:         24
        .size:           8
        .value_kind:     by_value
      - .address_space:  global
        .offset:         32
        .size:           8
        .value_kind:     global_buffer
      - .offset:         40
        .size:           8
        .value_kind:     by_value
      - .offset:         48
        .size:           8
        .value_kind:     by_value
      - .address_space:  global
        .offset:         56
        .size:           8
        .value_kind:     global_buffer
      - .offset:         64
        .size:           8
        .value_kind:     by_value
      - .offset:         72
        .size:           8
        .value_kind:     by_value
      - .offset:         80
        .size:           8
        .value_kind:     by_value
      - .address_space:  global
        .offset:         88
        .size:           8
        .value_kind:     global_buffer
      - .offset:         96
        .size:           8
        .value_kind:     by_value
      - .offset:         104
        .size:           8
        .value_kind:     by_value
      - .address_space:  global
        .offset:         112
        .size:           8
        .value_kind:     global_buffer
      - .offset:         120
        .size:           8
        .value_kind:     by_value
      - .offset:         128
        .size:           8
        .value_kind:     by_value
      - .offset:         136
        .size:           4
        .value_kind:     by_value
    .group_segment_fixed_size: 4096
    .kernarg_segment_align: 8
    .kernarg_segment_size: 140
    .language:       OpenCL C
    .language_version:
      - 2
      - 0
    .max_flat_workgroup_size: 256
    .name:           _ZN12_GLOBAL__N_127rocblas_gemm_batched_kernelI19rocblas_complex_numIfELi16ELi16ELi32ELi32ELi8ELi32ELi8ELi8ELi32ELc67ELc78EKS2_S3_S2_EEvlllT_PT11_llS6_llS4_PT12_llPT13_lli
    .private_segment_fixed_size: 0
    .sgpr_count:     40
    .sgpr_spill_count: 0
    .symbol:         _ZN12_GLOBAL__N_127rocblas_gemm_batched_kernelI19rocblas_complex_numIfELi16ELi16ELi32ELi32ELi8ELi32ELi8ELi8ELi32ELc67ELc78EKS2_S3_S2_EEvlllT_PT11_llS6_llS4_PT12_llPT13_lli.kd
    .uniform_work_group_size: 1
    .uses_dynamic_stack: false
    .vgpr_count:     100
    .vgpr_spill_count: 0
    .wavefront_size: 32
    .workgroup_processor_mode: 1
  - .args:
      - .offset:         0
        .size:           8
        .value_kind:     by_value
      - .offset:         8
        .size:           8
        .value_kind:     by_value
      - .offset:         16
        .size:           8
        .value_kind:     by_value
      - .offset:         24
        .size:           8
        .value_kind:     by_value
      - .address_space:  global
        .offset:         32
        .size:           8
        .value_kind:     global_buffer
      - .offset:         40
        .size:           8
        .value_kind:     by_value
      - .offset:         48
        .size:           8
        .value_kind:     by_value
      - .address_space:  global
        .offset:         56
        .size:           8
        .value_kind:     global_buffer
      - .offset:         64
        .size:           8
        .value_kind:     by_value
      - .offset:         72
        .size:           8
        .value_kind:     by_value
      - .offset:         80
        .size:           8
        .value_kind:     by_value
      - .address_space:  global
        .offset:         88
        .size:           8
        .value_kind:     global_buffer
      - .offset:         96
        .size:           8
        .value_kind:     by_value
      - .offset:         104
        .size:           8
        .value_kind:     by_value
      - .address_space:  global
        .offset:         112
        .size:           8
        .value_kind:     global_buffer
      - .offset:         120
        .size:           8
        .value_kind:     by_value
      - .offset:         128
        .size:           8
        .value_kind:     by_value
      - .offset:         136
        .size:           4
        .value_kind:     by_value
    .group_segment_fixed_size: 4096
    .kernarg_segment_align: 8
    .kernarg_segment_size: 140
    .language:       OpenCL C
    .language_version:
      - 2
      - 0
    .max_flat_workgroup_size: 256
    .name:           _ZN12_GLOBAL__N_127rocblas_gemm_batched_kernelI19rocblas_complex_numIfELi16ELi16ELi32ELi32ELi8ELi32ELi8ELi8ELi32ELc67ELc84EKS2_S3_S2_EEvlllT_PT11_llS6_llS4_PT12_llPT13_lli
    .private_segment_fixed_size: 0
    .sgpr_count:     41
    .sgpr_spill_count: 0
    .symbol:         _ZN12_GLOBAL__N_127rocblas_gemm_batched_kernelI19rocblas_complex_numIfELi16ELi16ELi32ELi32ELi8ELi32ELi8ELi8ELi32ELc67ELc84EKS2_S3_S2_EEvlllT_PT11_llS6_llS4_PT12_llPT13_lli.kd
    .uniform_work_group_size: 1
    .uses_dynamic_stack: false
    .vgpr_count:     100
    .vgpr_spill_count: 0
    .wavefront_size: 32
    .workgroup_processor_mode: 1
  - .args:
      - .offset:         0
        .size:           8
        .value_kind:     by_value
      - .offset:         8
        .size:           8
        .value_kind:     by_value
      - .offset:         16
        .size:           8
        .value_kind:     by_value
      - .offset:         24
        .size:           8
        .value_kind:     by_value
      - .address_space:  global
        .offset:         32
        .size:           8
        .value_kind:     global_buffer
      - .offset:         40
        .size:           8
        .value_kind:     by_value
      - .offset:         48
        .size:           8
        .value_kind:     by_value
      - .address_space:  global
        .offset:         56
        .size:           8
        .value_kind:     global_buffer
      - .offset:         64
        .size:           8
        .value_kind:     by_value
      - .offset:         72
        .size:           8
        .value_kind:     by_value
      - .offset:         80
        .size:           8
        .value_kind:     by_value
      - .address_space:  global
        .offset:         88
        .size:           8
        .value_kind:     global_buffer
      - .offset:         96
        .size:           8
        .value_kind:     by_value
      - .offset:         104
        .size:           8
        .value_kind:     by_value
      - .address_space:  global
        .offset:         112
        .size:           8
        .value_kind:     global_buffer
      - .offset:         120
        .size:           8
        .value_kind:     by_value
      - .offset:         128
        .size:           8
        .value_kind:     by_value
      - .offset:         136
        .size:           4
        .value_kind:     by_value
    .group_segment_fixed_size: 4096
    .kernarg_segment_align: 8
    .kernarg_segment_size: 140
    .language:       OpenCL C
    .language_version:
      - 2
      - 0
    .max_flat_workgroup_size: 256
    .name:           _ZN12_GLOBAL__N_127rocblas_gemm_batched_kernelI19rocblas_complex_numIfELi16ELi16ELi32ELi32ELi8ELi32ELi8ELi8ELi32ELc78ELc67EKS2_S3_S2_EEvlllT_PT11_llS6_llS4_PT12_llPT13_lli
    .private_segment_fixed_size: 0
    .sgpr_count:     39
    .sgpr_spill_count: 0
    .symbol:         _ZN12_GLOBAL__N_127rocblas_gemm_batched_kernelI19rocblas_complex_numIfELi16ELi16ELi32ELi32ELi8ELi32ELi8ELi8ELi32ELc78ELc67EKS2_S3_S2_EEvlllT_PT11_llS6_llS4_PT12_llPT13_lli.kd
    .uniform_work_group_size: 1
    .uses_dynamic_stack: false
    .vgpr_count:     100
    .vgpr_spill_count: 0
    .wavefront_size: 32
    .workgroup_processor_mode: 1
  - .args:
      - .offset:         0
        .size:           8
        .value_kind:     by_value
      - .offset:         8
        .size:           8
        .value_kind:     by_value
      - .offset:         16
        .size:           8
        .value_kind:     by_value
      - .offset:         24
        .size:           8
        .value_kind:     by_value
      - .address_space:  global
        .offset:         32
        .size:           8
        .value_kind:     global_buffer
      - .offset:         40
        .size:           8
        .value_kind:     by_value
      - .offset:         48
        .size:           8
        .value_kind:     by_value
      - .address_space:  global
        .offset:         56
        .size:           8
        .value_kind:     global_buffer
      - .offset:         64
        .size:           8
        .value_kind:     by_value
      - .offset:         72
        .size:           8
        .value_kind:     by_value
      - .offset:         80
        .size:           8
        .value_kind:     by_value
      - .address_space:  global
        .offset:         88
        .size:           8
        .value_kind:     global_buffer
      - .offset:         96
        .size:           8
        .value_kind:     by_value
      - .offset:         104
        .size:           8
        .value_kind:     by_value
      - .address_space:  global
        .offset:         112
        .size:           8
        .value_kind:     global_buffer
      - .offset:         120
        .size:           8
        .value_kind:     by_value
      - .offset:         128
        .size:           8
        .value_kind:     by_value
      - .offset:         136
        .size:           4
        .value_kind:     by_value
    .group_segment_fixed_size: 4096
    .kernarg_segment_align: 8
    .kernarg_segment_size: 140
    .language:       OpenCL C
    .language_version:
      - 2
      - 0
    .max_flat_workgroup_size: 256
    .name:           _ZN12_GLOBAL__N_127rocblas_gemm_batched_kernelI19rocblas_complex_numIfELi16ELi16ELi32ELi32ELi8ELi32ELi8ELi8ELi32ELc84ELc67EKS2_S3_S2_EEvlllT_PT11_llS6_llS4_PT12_llPT13_lli
    .private_segment_fixed_size: 0
    .sgpr_count:     41
    .sgpr_spill_count: 0
    .symbol:         _ZN12_GLOBAL__N_127rocblas_gemm_batched_kernelI19rocblas_complex_numIfELi16ELi16ELi32ELi32ELi8ELi32ELi8ELi8ELi32ELc84ELc67EKS2_S3_S2_EEvlllT_PT11_llS6_llS4_PT12_llPT13_lli.kd
    .uniform_work_group_size: 1
    .uses_dynamic_stack: false
    .vgpr_count:     100
    .vgpr_spill_count: 0
    .wavefront_size: 32
    .workgroup_processor_mode: 1
  - .args:
      - .offset:         0
        .size:           8
        .value_kind:     by_value
      - .offset:         8
        .size:           8
        .value_kind:     by_value
      - .offset:         16
        .size:           8
        .value_kind:     by_value
      - .offset:         24
        .size:           8
        .value_kind:     by_value
      - .address_space:  global
        .offset:         32
        .size:           8
        .value_kind:     global_buffer
      - .offset:         40
        .size:           8
        .value_kind:     by_value
      - .offset:         48
        .size:           8
        .value_kind:     by_value
      - .address_space:  global
        .offset:         56
        .size:           8
        .value_kind:     global_buffer
      - .offset:         64
        .size:           8
        .value_kind:     by_value
      - .offset:         72
        .size:           8
        .value_kind:     by_value
      - .offset:         80
        .size:           8
        .value_kind:     by_value
      - .address_space:  global
        .offset:         88
        .size:           8
        .value_kind:     global_buffer
      - .offset:         96
        .size:           8
        .value_kind:     by_value
      - .offset:         104
        .size:           8
        .value_kind:     by_value
      - .address_space:  global
        .offset:         112
        .size:           8
        .value_kind:     global_buffer
      - .offset:         120
        .size:           8
        .value_kind:     by_value
      - .offset:         128
        .size:           8
        .value_kind:     by_value
      - .offset:         136
        .size:           4
        .value_kind:     by_value
    .group_segment_fixed_size: 4096
    .kernarg_segment_align: 8
    .kernarg_segment_size: 140
    .language:       OpenCL C
    .language_version:
      - 2
      - 0
    .max_flat_workgroup_size: 256
    .name:           _ZN12_GLOBAL__N_135rocblas_gemm_batched_general_kernelI19rocblas_complex_numIfELi16ELi16ELi32ELi32ELi8ELi32ELi8ELi8ELi32ELc78ELc78EKS2_S3_S2_EEvlllT_PT11_llS6_llS4_PT12_llPT13_lli
    .private_segment_fixed_size: 0
    .sgpr_count:     49
    .sgpr_spill_count: 0
    .symbol:         _ZN12_GLOBAL__N_135rocblas_gemm_batched_general_kernelI19rocblas_complex_numIfELi16ELi16ELi32ELi32ELi8ELi32ELi8ELi8ELi32ELc78ELc78EKS2_S3_S2_EEvlllT_PT11_llS6_llS4_PT12_llPT13_lli.kd
    .uniform_work_group_size: 1
    .uses_dynamic_stack: false
    .vgpr_count:     67
    .vgpr_spill_count: 0
    .wavefront_size: 32
    .workgroup_processor_mode: 1
  - .args:
      - .offset:         0
        .size:           8
        .value_kind:     by_value
      - .offset:         8
        .size:           8
        .value_kind:     by_value
      - .offset:         16
        .size:           8
        .value_kind:     by_value
      - .offset:         24
        .size:           8
        .value_kind:     by_value
      - .address_space:  global
        .offset:         32
        .size:           8
        .value_kind:     global_buffer
      - .offset:         40
        .size:           8
        .value_kind:     by_value
      - .offset:         48
        .size:           8
        .value_kind:     by_value
      - .address_space:  global
        .offset:         56
        .size:           8
        .value_kind:     global_buffer
      - .offset:         64
        .size:           8
        .value_kind:     by_value
      - .offset:         72
        .size:           8
        .value_kind:     by_value
      - .offset:         80
        .size:           8
        .value_kind:     by_value
      - .address_space:  global
        .offset:         88
        .size:           8
        .value_kind:     global_buffer
      - .offset:         96
        .size:           8
        .value_kind:     by_value
      - .offset:         104
        .size:           8
        .value_kind:     by_value
      - .address_space:  global
        .offset:         112
        .size:           8
        .value_kind:     global_buffer
      - .offset:         120
        .size:           8
        .value_kind:     by_value
      - .offset:         128
        .size:           8
        .value_kind:     by_value
      - .offset:         136
        .size:           4
        .value_kind:     by_value
    .group_segment_fixed_size: 4096
    .kernarg_segment_align: 8
    .kernarg_segment_size: 140
    .language:       OpenCL C
    .language_version:
      - 2
      - 0
    .max_flat_workgroup_size: 256
    .name:           _ZN12_GLOBAL__N_135rocblas_gemm_batched_general_kernelI19rocblas_complex_numIfELi16ELi16ELi32ELi32ELi8ELi32ELi8ELi8ELi32ELc84ELc78EKS2_S3_S2_EEvlllT_PT11_llS6_llS4_PT12_llPT13_lli
    .private_segment_fixed_size: 0
    .sgpr_count:     49
    .sgpr_spill_count: 0
    .symbol:         _ZN12_GLOBAL__N_135rocblas_gemm_batched_general_kernelI19rocblas_complex_numIfELi16ELi16ELi32ELi32ELi8ELi32ELi8ELi8ELi32ELc84ELc78EKS2_S3_S2_EEvlllT_PT11_llS6_llS4_PT12_llPT13_lli.kd
    .uniform_work_group_size: 1
    .uses_dynamic_stack: false
    .vgpr_count:     67
    .vgpr_spill_count: 0
    .wavefront_size: 32
    .workgroup_processor_mode: 1
  - .args:
      - .offset:         0
        .size:           8
        .value_kind:     by_value
      - .offset:         8
        .size:           8
        .value_kind:     by_value
      - .offset:         16
        .size:           8
        .value_kind:     by_value
      - .offset:         24
        .size:           8
        .value_kind:     by_value
      - .address_space:  global
        .offset:         32
        .size:           8
        .value_kind:     global_buffer
      - .offset:         40
        .size:           8
        .value_kind:     by_value
      - .offset:         48
        .size:           8
        .value_kind:     by_value
      - .address_space:  global
        .offset:         56
        .size:           8
        .value_kind:     global_buffer
      - .offset:         64
        .size:           8
        .value_kind:     by_value
      - .offset:         72
        .size:           8
        .value_kind:     by_value
      - .offset:         80
        .size:           8
        .value_kind:     by_value
      - .address_space:  global
        .offset:         88
        .size:           8
        .value_kind:     global_buffer
      - .offset:         96
        .size:           8
        .value_kind:     by_value
      - .offset:         104
        .size:           8
        .value_kind:     by_value
      - .address_space:  global
        .offset:         112
        .size:           8
        .value_kind:     global_buffer
      - .offset:         120
        .size:           8
        .value_kind:     by_value
      - .offset:         128
        .size:           8
        .value_kind:     by_value
      - .offset:         136
        .size:           4
        .value_kind:     by_value
    .group_segment_fixed_size: 4096
    .kernarg_segment_align: 8
    .kernarg_segment_size: 140
    .language:       OpenCL C
    .language_version:
      - 2
      - 0
    .max_flat_workgroup_size: 256
    .name:           _ZN12_GLOBAL__N_135rocblas_gemm_batched_general_kernelI19rocblas_complex_numIfELi16ELi16ELi32ELi32ELi8ELi32ELi8ELi8ELi32ELc78ELc84EKS2_S3_S2_EEvlllT_PT11_llS6_llS4_PT12_llPT13_lli
    .private_segment_fixed_size: 0
    .sgpr_count:     50
    .sgpr_spill_count: 0
    .symbol:         _ZN12_GLOBAL__N_135rocblas_gemm_batched_general_kernelI19rocblas_complex_numIfELi16ELi16ELi32ELi32ELi8ELi32ELi8ELi8ELi32ELc78ELc84EKS2_S3_S2_EEvlllT_PT11_llS6_llS4_PT12_llPT13_lli.kd
    .uniform_work_group_size: 1
    .uses_dynamic_stack: false
    .vgpr_count:     67
    .vgpr_spill_count: 0
    .wavefront_size: 32
    .workgroup_processor_mode: 1
  - .args:
      - .offset:         0
        .size:           8
        .value_kind:     by_value
      - .offset:         8
        .size:           8
        .value_kind:     by_value
      - .offset:         16
        .size:           8
        .value_kind:     by_value
      - .offset:         24
        .size:           8
        .value_kind:     by_value
      - .address_space:  global
        .offset:         32
        .size:           8
        .value_kind:     global_buffer
      - .offset:         40
        .size:           8
        .value_kind:     by_value
      - .offset:         48
        .size:           8
        .value_kind:     by_value
      - .address_space:  global
        .offset:         56
        .size:           8
        .value_kind:     global_buffer
      - .offset:         64
        .size:           8
        .value_kind:     by_value
      - .offset:         72
        .size:           8
        .value_kind:     by_value
      - .offset:         80
        .size:           8
        .value_kind:     by_value
      - .address_space:  global
        .offset:         88
        .size:           8
        .value_kind:     global_buffer
      - .offset:         96
        .size:           8
        .value_kind:     by_value
      - .offset:         104
        .size:           8
        .value_kind:     by_value
      - .address_space:  global
        .offset:         112
        .size:           8
        .value_kind:     global_buffer
      - .offset:         120
        .size:           8
        .value_kind:     by_value
      - .offset:         128
        .size:           8
        .value_kind:     by_value
      - .offset:         136
        .size:           4
        .value_kind:     by_value
    .group_segment_fixed_size: 4096
    .kernarg_segment_align: 8
    .kernarg_segment_size: 140
    .language:       OpenCL C
    .language_version:
      - 2
      - 0
    .max_flat_workgroup_size: 256
    .name:           _ZN12_GLOBAL__N_135rocblas_gemm_batched_general_kernelI19rocblas_complex_numIfELi16ELi16ELi32ELi32ELi8ELi32ELi8ELi8ELi32ELc84ELc84EKS2_S3_S2_EEvlllT_PT11_llS6_llS4_PT12_llPT13_lli
    .private_segment_fixed_size: 0
    .sgpr_count:     50
    .sgpr_spill_count: 0
    .symbol:         _ZN12_GLOBAL__N_135rocblas_gemm_batched_general_kernelI19rocblas_complex_numIfELi16ELi16ELi32ELi32ELi8ELi32ELi8ELi8ELi32ELc84ELc84EKS2_S3_S2_EEvlllT_PT11_llS6_llS4_PT12_llPT13_lli.kd
    .uniform_work_group_size: 1
    .uses_dynamic_stack: false
    .vgpr_count:     67
    .vgpr_spill_count: 0
    .wavefront_size: 32
    .workgroup_processor_mode: 1
  - .args:
      - .offset:         0
        .size:           8
        .value_kind:     by_value
      - .offset:         8
        .size:           8
        .value_kind:     by_value
      - .offset:         16
        .size:           8
        .value_kind:     by_value
      - .offset:         24
        .size:           8
        .value_kind:     by_value
      - .address_space:  global
        .offset:         32
        .size:           8
        .value_kind:     global_buffer
      - .offset:         40
        .size:           8
        .value_kind:     by_value
      - .offset:         48
        .size:           8
        .value_kind:     by_value
      - .address_space:  global
        .offset:         56
        .size:           8
        .value_kind:     global_buffer
      - .offset:         64
        .size:           8
        .value_kind:     by_value
      - .offset:         72
        .size:           8
        .value_kind:     by_value
      - .offset:         80
        .size:           8
        .value_kind:     by_value
      - .address_space:  global
        .offset:         88
        .size:           8
        .value_kind:     global_buffer
      - .offset:         96
        .size:           8
        .value_kind:     by_value
      - .offset:         104
        .size:           8
        .value_kind:     by_value
      - .address_space:  global
        .offset:         112
        .size:           8
        .value_kind:     global_buffer
      - .offset:         120
        .size:           8
        .value_kind:     by_value
      - .offset:         128
        .size:           8
        .value_kind:     by_value
      - .offset:         136
        .size:           4
        .value_kind:     by_value
    .group_segment_fixed_size: 4096
    .kernarg_segment_align: 8
    .kernarg_segment_size: 140
    .language:       OpenCL C
    .language_version:
      - 2
      - 0
    .max_flat_workgroup_size: 256
    .name:           _ZN12_GLOBAL__N_135rocblas_gemm_batched_general_kernelI19rocblas_complex_numIfELi16ELi16ELi32ELi32ELi8ELi32ELi8ELi8ELi32ELc67ELc67EKS2_S3_S2_EEvlllT_PT11_llS6_llS4_PT12_llPT13_lli
    .private_segment_fixed_size: 0
    .sgpr_count:     50
    .sgpr_spill_count: 0
    .symbol:         _ZN12_GLOBAL__N_135rocblas_gemm_batched_general_kernelI19rocblas_complex_numIfELi16ELi16ELi32ELi32ELi8ELi32ELi8ELi8ELi32ELc67ELc67EKS2_S3_S2_EEvlllT_PT11_llS6_llS4_PT12_llPT13_lli.kd
    .uniform_work_group_size: 1
    .uses_dynamic_stack: false
    .vgpr_count:     67
    .vgpr_spill_count: 0
    .wavefront_size: 32
    .workgroup_processor_mode: 1
  - .args:
      - .offset:         0
        .size:           8
        .value_kind:     by_value
      - .offset:         8
        .size:           8
        .value_kind:     by_value
      - .offset:         16
        .size:           8
        .value_kind:     by_value
      - .offset:         24
        .size:           8
        .value_kind:     by_value
      - .address_space:  global
        .offset:         32
        .size:           8
        .value_kind:     global_buffer
      - .offset:         40
        .size:           8
        .value_kind:     by_value
      - .offset:         48
        .size:           8
        .value_kind:     by_value
      - .address_space:  global
        .offset:         56
        .size:           8
        .value_kind:     global_buffer
      - .offset:         64
        .size:           8
        .value_kind:     by_value
      - .offset:         72
        .size:           8
        .value_kind:     by_value
      - .offset:         80
        .size:           8
        .value_kind:     by_value
      - .address_space:  global
        .offset:         88
        .size:           8
        .value_kind:     global_buffer
      - .offset:         96
        .size:           8
        .value_kind:     by_value
      - .offset:         104
        .size:           8
        .value_kind:     by_value
      - .address_space:  global
        .offset:         112
        .size:           8
        .value_kind:     global_buffer
      - .offset:         120
        .size:           8
        .value_kind:     by_value
      - .offset:         128
        .size:           8
        .value_kind:     by_value
      - .offset:         136
        .size:           4
        .value_kind:     by_value
    .group_segment_fixed_size: 4096
    .kernarg_segment_align: 8
    .kernarg_segment_size: 140
    .language:       OpenCL C
    .language_version:
      - 2
      - 0
    .max_flat_workgroup_size: 256
    .name:           _ZN12_GLOBAL__N_135rocblas_gemm_batched_general_kernelI19rocblas_complex_numIfELi16ELi16ELi32ELi32ELi8ELi32ELi8ELi8ELi32ELc67ELc78EKS2_S3_S2_EEvlllT_PT11_llS6_llS4_PT12_llPT13_lli
    .private_segment_fixed_size: 0
    .sgpr_count:     49
    .sgpr_spill_count: 0
    .symbol:         _ZN12_GLOBAL__N_135rocblas_gemm_batched_general_kernelI19rocblas_complex_numIfELi16ELi16ELi32ELi32ELi8ELi32ELi8ELi8ELi32ELc67ELc78EKS2_S3_S2_EEvlllT_PT11_llS6_llS4_PT12_llPT13_lli.kd
    .uniform_work_group_size: 1
    .uses_dynamic_stack: false
    .vgpr_count:     67
    .vgpr_spill_count: 0
    .wavefront_size: 32
    .workgroup_processor_mode: 1
  - .args:
      - .offset:         0
        .size:           8
        .value_kind:     by_value
      - .offset:         8
        .size:           8
        .value_kind:     by_value
      - .offset:         16
        .size:           8
        .value_kind:     by_value
      - .offset:         24
        .size:           8
        .value_kind:     by_value
      - .address_space:  global
        .offset:         32
        .size:           8
        .value_kind:     global_buffer
      - .offset:         40
        .size:           8
        .value_kind:     by_value
      - .offset:         48
        .size:           8
        .value_kind:     by_value
      - .address_space:  global
        .offset:         56
        .size:           8
        .value_kind:     global_buffer
      - .offset:         64
        .size:           8
        .value_kind:     by_value
      - .offset:         72
        .size:           8
        .value_kind:     by_value
      - .offset:         80
        .size:           8
        .value_kind:     by_value
      - .address_space:  global
        .offset:         88
        .size:           8
        .value_kind:     global_buffer
      - .offset:         96
        .size:           8
        .value_kind:     by_value
      - .offset:         104
        .size:           8
        .value_kind:     by_value
      - .address_space:  global
        .offset:         112
        .size:           8
        .value_kind:     global_buffer
      - .offset:         120
        .size:           8
        .value_kind:     by_value
      - .offset:         128
        .size:           8
        .value_kind:     by_value
      - .offset:         136
        .size:           4
        .value_kind:     by_value
    .group_segment_fixed_size: 4096
    .kernarg_segment_align: 8
    .kernarg_segment_size: 140
    .language:       OpenCL C
    .language_version:
      - 2
      - 0
    .max_flat_workgroup_size: 256
    .name:           _ZN12_GLOBAL__N_135rocblas_gemm_batched_general_kernelI19rocblas_complex_numIfELi16ELi16ELi32ELi32ELi8ELi32ELi8ELi8ELi32ELc67ELc84EKS2_S3_S2_EEvlllT_PT11_llS6_llS4_PT12_llPT13_lli
    .private_segment_fixed_size: 0
    .sgpr_count:     50
    .sgpr_spill_count: 0
    .symbol:         _ZN12_GLOBAL__N_135rocblas_gemm_batched_general_kernelI19rocblas_complex_numIfELi16ELi16ELi32ELi32ELi8ELi32ELi8ELi8ELi32ELc67ELc84EKS2_S3_S2_EEvlllT_PT11_llS6_llS4_PT12_llPT13_lli.kd
    .uniform_work_group_size: 1
    .uses_dynamic_stack: false
    .vgpr_count:     67
    .vgpr_spill_count: 0
    .wavefront_size: 32
    .workgroup_processor_mode: 1
  - .args:
      - .offset:         0
        .size:           8
        .value_kind:     by_value
      - .offset:         8
        .size:           8
        .value_kind:     by_value
      - .offset:         16
        .size:           8
        .value_kind:     by_value
      - .offset:         24
        .size:           8
        .value_kind:     by_value
      - .address_space:  global
        .offset:         32
        .size:           8
        .value_kind:     global_buffer
      - .offset:         40
        .size:           8
        .value_kind:     by_value
      - .offset:         48
        .size:           8
        .value_kind:     by_value
      - .address_space:  global
        .offset:         56
        .size:           8
        .value_kind:     global_buffer
      - .offset:         64
        .size:           8
        .value_kind:     by_value
      - .offset:         72
        .size:           8
        .value_kind:     by_value
      - .offset:         80
        .size:           8
        .value_kind:     by_value
      - .address_space:  global
        .offset:         88
        .size:           8
        .value_kind:     global_buffer
      - .offset:         96
        .size:           8
        .value_kind:     by_value
      - .offset:         104
        .size:           8
        .value_kind:     by_value
      - .address_space:  global
        .offset:         112
        .size:           8
        .value_kind:     global_buffer
      - .offset:         120
        .size:           8
        .value_kind:     by_value
      - .offset:         128
        .size:           8
        .value_kind:     by_value
      - .offset:         136
        .size:           4
        .value_kind:     by_value
    .group_segment_fixed_size: 4096
    .kernarg_segment_align: 8
    .kernarg_segment_size: 140
    .language:       OpenCL C
    .language_version:
      - 2
      - 0
    .max_flat_workgroup_size: 256
    .name:           _ZN12_GLOBAL__N_135rocblas_gemm_batched_general_kernelI19rocblas_complex_numIfELi16ELi16ELi32ELi32ELi8ELi32ELi8ELi8ELi32ELc78ELc67EKS2_S3_S2_EEvlllT_PT11_llS6_llS4_PT12_llPT13_lli
    .private_segment_fixed_size: 0
    .sgpr_count:     49
    .sgpr_spill_count: 0
    .symbol:         _ZN12_GLOBAL__N_135rocblas_gemm_batched_general_kernelI19rocblas_complex_numIfELi16ELi16ELi32ELi32ELi8ELi32ELi8ELi8ELi32ELc78ELc67EKS2_S3_S2_EEvlllT_PT11_llS6_llS4_PT12_llPT13_lli.kd
    .uniform_work_group_size: 1
    .uses_dynamic_stack: false
    .vgpr_count:     67
    .vgpr_spill_count: 0
    .wavefront_size: 32
    .workgroup_processor_mode: 1
  - .args:
      - .offset:         0
        .size:           8
        .value_kind:     by_value
      - .offset:         8
        .size:           8
        .value_kind:     by_value
      - .offset:         16
        .size:           8
        .value_kind:     by_value
      - .offset:         24
        .size:           8
        .value_kind:     by_value
      - .address_space:  global
        .offset:         32
        .size:           8
        .value_kind:     global_buffer
      - .offset:         40
        .size:           8
        .value_kind:     by_value
      - .offset:         48
        .size:           8
        .value_kind:     by_value
      - .address_space:  global
        .offset:         56
        .size:           8
        .value_kind:     global_buffer
      - .offset:         64
        .size:           8
        .value_kind:     by_value
      - .offset:         72
        .size:           8
        .value_kind:     by_value
      - .offset:         80
        .size:           8
        .value_kind:     by_value
      - .address_space:  global
        .offset:         88
        .size:           8
        .value_kind:     global_buffer
      - .offset:         96
        .size:           8
        .value_kind:     by_value
      - .offset:         104
        .size:           8
        .value_kind:     by_value
      - .address_space:  global
        .offset:         112
        .size:           8
        .value_kind:     global_buffer
      - .offset:         120
        .size:           8
        .value_kind:     by_value
      - .offset:         128
        .size:           8
        .value_kind:     by_value
      - .offset:         136
        .size:           4
        .value_kind:     by_value
    .group_segment_fixed_size: 4096
    .kernarg_segment_align: 8
    .kernarg_segment_size: 140
    .language:       OpenCL C
    .language_version:
      - 2
      - 0
    .max_flat_workgroup_size: 256
    .name:           _ZN12_GLOBAL__N_135rocblas_gemm_batched_general_kernelI19rocblas_complex_numIfELi16ELi16ELi32ELi32ELi8ELi32ELi8ELi8ELi32ELc84ELc67EKS2_S3_S2_EEvlllT_PT11_llS6_llS4_PT12_llPT13_lli
    .private_segment_fixed_size: 0
    .sgpr_count:     50
    .sgpr_spill_count: 0
    .symbol:         _ZN12_GLOBAL__N_135rocblas_gemm_batched_general_kernelI19rocblas_complex_numIfELi16ELi16ELi32ELi32ELi8ELi32ELi8ELi8ELi32ELc84ELc67EKS2_S3_S2_EEvlllT_PT11_llS6_llS4_PT12_llPT13_lli.kd
    .uniform_work_group_size: 1
    .uses_dynamic_stack: false
    .vgpr_count:     67
    .vgpr_spill_count: 0
    .wavefront_size: 32
    .workgroup_processor_mode: 1
  - .args:
      - .offset:         0
        .size:           4
        .value_kind:     by_value
      - .offset:         4
        .size:           4
        .value_kind:     by_value
      - .offset:         8
        .size:           16
        .value_kind:     by_value
      - .address_space:  global
        .offset:         24
        .size:           8
        .value_kind:     global_buffer
      - .offset:         32
        .size:           8
        .value_kind:     by_value
      - .offset:         40
        .size:           8
        .value_kind:     by_value
      - .offset:         48
        .size:           8
        .value_kind:     by_value
      - .offset:         56
        .size:           4
        .value_kind:     by_value
    .group_segment_fixed_size: 0
    .kernarg_segment_align: 8
    .kernarg_segment_size: 60
    .language:       OpenCL C
    .language_version:
      - 2
      - 0
    .max_flat_workgroup_size: 1024
    .name:           _ZN12_GLOBAL__N_125rocblas_gemm_scale_kernelILi32ELi32E19rocblas_complex_numIdEPS2_EEviiT1_T2_llli
    .private_segment_fixed_size: 0
    .sgpr_count:     21
    .sgpr_spill_count: 0
    .symbol:         _ZN12_GLOBAL__N_125rocblas_gemm_scale_kernelILi32ELi32E19rocblas_complex_numIdEPS2_EEviiT1_T2_llli.kd
    .uniform_work_group_size: 1
    .uses_dynamic_stack: false
    .vgpr_count:     12
    .vgpr_spill_count: 0
    .wavefront_size: 32
    .workgroup_processor_mode: 1
  - .args:
      - .offset:         0
        .size:           4
        .value_kind:     by_value
      - .offset:         4
        .size:           4
        .value_kind:     by_value
      - .offset:         8
        .size:           16
        .value_kind:     by_value
      - .address_space:  global
        .offset:         24
        .size:           8
        .value_kind:     global_buffer
      - .offset:         32
        .size:           8
        .value_kind:     by_value
      - .offset:         40
        .size:           8
        .value_kind:     by_value
      - .offset:         48
        .size:           8
        .value_kind:     by_value
      - .address_space:  global
        .offset:         56
        .size:           8
        .value_kind:     global_buffer
      - .offset:         64
        .size:           8
        .value_kind:     by_value
      - .offset:         72
        .size:           8
        .value_kind:     by_value
      - .offset:         80
        .size:           8
        .value_kind:     by_value
      - .offset:         88
        .size:           4
        .value_kind:     by_value
    .group_segment_fixed_size: 0
    .kernarg_segment_align: 8
    .kernarg_segment_size: 92
    .language:       OpenCL C
    .language_version:
      - 2
      - 0
    .max_flat_workgroup_size: 1024
    .name:           _ZN12_GLOBAL__N_120gemm_ex_scale_kernelILi32ELi32E19rocblas_complex_numIdEPKS2_PS2_EEviiT1_T2_lllT3_llli
    .private_segment_fixed_size: 0
    .sgpr_count:     27
    .sgpr_spill_count: 0
    .symbol:         _ZN12_GLOBAL__N_120gemm_ex_scale_kernelILi32ELi32E19rocblas_complex_numIdEPKS2_PS2_EEviiT1_T2_lllT3_llli.kd
    .uniform_work_group_size: 1
    .uses_dynamic_stack: false
    .vgpr_count:     12
    .vgpr_spill_count: 0
    .wavefront_size: 32
    .workgroup_processor_mode: 1
  - .args:
      - .offset:         0
        .size:           8
        .value_kind:     by_value
      - .offset:         8
        .size:           8
        .value_kind:     by_value
      - .offset:         16
        .size:           8
        .value_kind:     by_value
      - .offset:         24
        .size:           16
        .value_kind:     by_value
      - .address_space:  global
        .offset:         40
        .size:           8
        .value_kind:     global_buffer
      - .offset:         48
        .size:           8
        .value_kind:     by_value
      - .offset:         56
        .size:           8
        .value_kind:     by_value
      - .address_space:  global
        .offset:         64
        .size:           8
        .value_kind:     global_buffer
      - .offset:         72
        .size:           8
        .value_kind:     by_value
      - .offset:         80
        .size:           8
        .value_kind:     by_value
      - .offset:         88
        .size:           16
        .value_kind:     by_value
      - .address_space:  global
        .offset:         104
        .size:           8
        .value_kind:     global_buffer
      - .offset:         112
        .size:           8
        .value_kind:     by_value
      - .offset:         120
        .size:           8
        .value_kind:     by_value
      - .address_space:  global
        .offset:         128
        .size:           8
        .value_kind:     global_buffer
      - .offset:         136
        .size:           8
        .value_kind:     by_value
      - .offset:         144
        .size:           8
        .value_kind:     by_value
      - .offset:         152
        .size:           4
        .value_kind:     by_value
    .group_segment_fixed_size: 8192
    .kernarg_segment_align: 8
    .kernarg_segment_size: 156
    .language:       OpenCL C
    .language_version:
      - 2
      - 0
    .max_flat_workgroup_size: 256
    .name:           _ZN12_GLOBAL__N_127rocblas_gemm_batched_kernelI19rocblas_complex_numIdELi16ELi16ELi64ELi64ELi4ELi64ELi4ELi4ELi64ELc78ELc78EKS2_S3_S2_EEvlllT_PT11_llS6_llS4_PT12_llPT13_lli
    .private_segment_fixed_size: 372
    .sgpr_count:     54
    .sgpr_spill_count: 0
    .symbol:         _ZN12_GLOBAL__N_127rocblas_gemm_batched_kernelI19rocblas_complex_numIdELi16ELi16ELi64ELi64ELi4ELi64ELi4ELi4ELi64ELc78ELc78EKS2_S3_S2_EEvlllT_PT11_llS6_llS4_PT12_llPT13_lli.kd
    .uniform_work_group_size: 1
    .uses_dynamic_stack: false
    .vgpr_count:     256
    .vgpr_spill_count: 100
    .wavefront_size: 32
    .workgroup_processor_mode: 1
  - .args:
      - .offset:         0
        .size:           8
        .value_kind:     by_value
      - .offset:         8
        .size:           8
        .value_kind:     by_value
      - .offset:         16
        .size:           8
        .value_kind:     by_value
      - .offset:         24
        .size:           16
        .value_kind:     by_value
      - .address_space:  global
        .offset:         40
        .size:           8
        .value_kind:     global_buffer
      - .offset:         48
        .size:           8
        .value_kind:     by_value
      - .offset:         56
        .size:           8
        .value_kind:     by_value
      - .address_space:  global
        .offset:         64
        .size:           8
        .value_kind:     global_buffer
      - .offset:         72
        .size:           8
        .value_kind:     by_value
      - .offset:         80
        .size:           8
        .value_kind:     by_value
      - .offset:         88
        .size:           16
        .value_kind:     by_value
      - .address_space:  global
        .offset:         104
        .size:           8
        .value_kind:     global_buffer
      - .offset:         112
        .size:           8
        .value_kind:     by_value
      - .offset:         120
        .size:           8
        .value_kind:     by_value
      - .address_space:  global
        .offset:         128
        .size:           8
        .value_kind:     global_buffer
      - .offset:         136
        .size:           8
        .value_kind:     by_value
      - .offset:         144
        .size:           8
        .value_kind:     by_value
      - .offset:         152
        .size:           4
        .value_kind:     by_value
    .group_segment_fixed_size: 8192
    .kernarg_segment_align: 8
    .kernarg_segment_size: 156
    .language:       OpenCL C
    .language_version:
      - 2
      - 0
    .max_flat_workgroup_size: 256
    .name:           _ZN12_GLOBAL__N_127rocblas_gemm_batched_kernelI19rocblas_complex_numIdELi16ELi16ELi64ELi64ELi4ELi64ELi4ELi4ELi64ELc84ELc78EKS2_S3_S2_EEvlllT_PT11_llS6_llS4_PT12_llPT13_lli
    .private_segment_fixed_size: 372
    .sgpr_count:     54
    .sgpr_spill_count: 0
    .symbol:         _ZN12_GLOBAL__N_127rocblas_gemm_batched_kernelI19rocblas_complex_numIdELi16ELi16ELi64ELi64ELi4ELi64ELi4ELi4ELi64ELc84ELc78EKS2_S3_S2_EEvlllT_PT11_llS6_llS4_PT12_llPT13_lli.kd
    .uniform_work_group_size: 1
    .uses_dynamic_stack: false
    .vgpr_count:     256
    .vgpr_spill_count: 100
    .wavefront_size: 32
    .workgroup_processor_mode: 1
  - .args:
      - .offset:         0
        .size:           8
        .value_kind:     by_value
      - .offset:         8
        .size:           8
        .value_kind:     by_value
      - .offset:         16
        .size:           8
        .value_kind:     by_value
      - .offset:         24
        .size:           16
        .value_kind:     by_value
      - .address_space:  global
        .offset:         40
        .size:           8
        .value_kind:     global_buffer
      - .offset:         48
        .size:           8
        .value_kind:     by_value
      - .offset:         56
        .size:           8
        .value_kind:     by_value
      - .address_space:  global
        .offset:         64
        .size:           8
        .value_kind:     global_buffer
      - .offset:         72
        .size:           8
        .value_kind:     by_value
      - .offset:         80
        .size:           8
        .value_kind:     by_value
      - .offset:         88
        .size:           16
        .value_kind:     by_value
      - .address_space:  global
        .offset:         104
        .size:           8
        .value_kind:     global_buffer
      - .offset:         112
        .size:           8
        .value_kind:     by_value
      - .offset:         120
        .size:           8
        .value_kind:     by_value
      - .address_space:  global
        .offset:         128
        .size:           8
        .value_kind:     global_buffer
      - .offset:         136
        .size:           8
        .value_kind:     by_value
      - .offset:         144
        .size:           8
        .value_kind:     by_value
      - .offset:         152
        .size:           4
        .value_kind:     by_value
    .group_segment_fixed_size: 8192
    .kernarg_segment_align: 8
    .kernarg_segment_size: 156
    .language:       OpenCL C
    .language_version:
      - 2
      - 0
    .max_flat_workgroup_size: 256
    .name:           _ZN12_GLOBAL__N_127rocblas_gemm_batched_kernelI19rocblas_complex_numIdELi16ELi16ELi64ELi64ELi4ELi64ELi4ELi4ELi64ELc78ELc84EKS2_S3_S2_EEvlllT_PT11_llS6_llS4_PT12_llPT13_lli
    .private_segment_fixed_size: 372
    .sgpr_count:     54
    .sgpr_spill_count: 0
    .symbol:         _ZN12_GLOBAL__N_127rocblas_gemm_batched_kernelI19rocblas_complex_numIdELi16ELi16ELi64ELi64ELi4ELi64ELi4ELi4ELi64ELc78ELc84EKS2_S3_S2_EEvlllT_PT11_llS6_llS4_PT12_llPT13_lli.kd
    .uniform_work_group_size: 1
    .uses_dynamic_stack: false
    .vgpr_count:     256
    .vgpr_spill_count: 100
    .wavefront_size: 32
    .workgroup_processor_mode: 1
  - .args:
      - .offset:         0
        .size:           8
        .value_kind:     by_value
      - .offset:         8
        .size:           8
        .value_kind:     by_value
      - .offset:         16
        .size:           8
        .value_kind:     by_value
      - .offset:         24
        .size:           16
        .value_kind:     by_value
      - .address_space:  global
        .offset:         40
        .size:           8
        .value_kind:     global_buffer
      - .offset:         48
        .size:           8
        .value_kind:     by_value
      - .offset:         56
        .size:           8
        .value_kind:     by_value
      - .address_space:  global
        .offset:         64
        .size:           8
        .value_kind:     global_buffer
      - .offset:         72
        .size:           8
        .value_kind:     by_value
      - .offset:         80
        .size:           8
        .value_kind:     by_value
      - .offset:         88
        .size:           16
        .value_kind:     by_value
      - .address_space:  global
        .offset:         104
        .size:           8
        .value_kind:     global_buffer
      - .offset:         112
        .size:           8
        .value_kind:     by_value
      - .offset:         120
        .size:           8
        .value_kind:     by_value
      - .address_space:  global
        .offset:         128
        .size:           8
        .value_kind:     global_buffer
      - .offset:         136
        .size:           8
        .value_kind:     by_value
      - .offset:         144
        .size:           8
        .value_kind:     by_value
      - .offset:         152
        .size:           4
        .value_kind:     by_value
    .group_segment_fixed_size: 8192
    .kernarg_segment_align: 8
    .kernarg_segment_size: 156
    .language:       OpenCL C
    .language_version:
      - 2
      - 0
    .max_flat_workgroup_size: 256
    .name:           _ZN12_GLOBAL__N_127rocblas_gemm_batched_kernelI19rocblas_complex_numIdELi16ELi16ELi64ELi64ELi4ELi64ELi4ELi4ELi64ELc84ELc84EKS2_S3_S2_EEvlllT_PT11_llS6_llS4_PT12_llPT13_lli
    .private_segment_fixed_size: 372
    .sgpr_count:     54
    .sgpr_spill_count: 0
    .symbol:         _ZN12_GLOBAL__N_127rocblas_gemm_batched_kernelI19rocblas_complex_numIdELi16ELi16ELi64ELi64ELi4ELi64ELi4ELi4ELi64ELc84ELc84EKS2_S3_S2_EEvlllT_PT11_llS6_llS4_PT12_llPT13_lli.kd
    .uniform_work_group_size: 1
    .uses_dynamic_stack: false
    .vgpr_count:     256
    .vgpr_spill_count: 100
    .wavefront_size: 32
    .workgroup_processor_mode: 1
  - .args:
      - .offset:         0
        .size:           8
        .value_kind:     by_value
      - .offset:         8
        .size:           8
        .value_kind:     by_value
      - .offset:         16
        .size:           8
        .value_kind:     by_value
      - .offset:         24
        .size:           16
        .value_kind:     by_value
      - .address_space:  global
        .offset:         40
        .size:           8
        .value_kind:     global_buffer
      - .offset:         48
        .size:           8
        .value_kind:     by_value
      - .offset:         56
        .size:           8
        .value_kind:     by_value
      - .address_space:  global
        .offset:         64
        .size:           8
        .value_kind:     global_buffer
      - .offset:         72
        .size:           8
        .value_kind:     by_value
      - .offset:         80
        .size:           8
        .value_kind:     by_value
      - .offset:         88
        .size:           16
        .value_kind:     by_value
      - .address_space:  global
        .offset:         104
        .size:           8
        .value_kind:     global_buffer
      - .offset:         112
        .size:           8
        .value_kind:     by_value
      - .offset:         120
        .size:           8
        .value_kind:     by_value
      - .address_space:  global
        .offset:         128
        .size:           8
        .value_kind:     global_buffer
      - .offset:         136
        .size:           8
        .value_kind:     by_value
      - .offset:         144
        .size:           8
        .value_kind:     by_value
      - .offset:         152
        .size:           4
        .value_kind:     by_value
    .group_segment_fixed_size: 8192
    .kernarg_segment_align: 8
    .kernarg_segment_size: 156
    .language:       OpenCL C
    .language_version:
      - 2
      - 0
    .max_flat_workgroup_size: 256
    .name:           _ZN12_GLOBAL__N_127rocblas_gemm_batched_kernelI19rocblas_complex_numIdELi16ELi16ELi64ELi64ELi4ELi64ELi4ELi4ELi64ELc67ELc67EKS2_S3_S2_EEvlllT_PT11_llS6_llS4_PT12_llPT13_lli
    .private_segment_fixed_size: 380
    .sgpr_count:     54
    .sgpr_spill_count: 0
    .symbol:         _ZN12_GLOBAL__N_127rocblas_gemm_batched_kernelI19rocblas_complex_numIdELi16ELi16ELi64ELi64ELi4ELi64ELi4ELi4ELi64ELc67ELc67EKS2_S3_S2_EEvlllT_PT11_llS6_llS4_PT12_llPT13_lli.kd
    .uniform_work_group_size: 1
    .uses_dynamic_stack: false
    .vgpr_count:     256
    .vgpr_spill_count: 102
    .wavefront_size: 32
    .workgroup_processor_mode: 1
  - .args:
      - .offset:         0
        .size:           8
        .value_kind:     by_value
      - .offset:         8
        .size:           8
        .value_kind:     by_value
      - .offset:         16
        .size:           8
        .value_kind:     by_value
      - .offset:         24
        .size:           16
        .value_kind:     by_value
      - .address_space:  global
        .offset:         40
        .size:           8
        .value_kind:     global_buffer
      - .offset:         48
        .size:           8
        .value_kind:     by_value
      - .offset:         56
        .size:           8
        .value_kind:     by_value
      - .address_space:  global
        .offset:         64
        .size:           8
        .value_kind:     global_buffer
      - .offset:         72
        .size:           8
        .value_kind:     by_value
      - .offset:         80
        .size:           8
        .value_kind:     by_value
      - .offset:         88
        .size:           16
        .value_kind:     by_value
      - .address_space:  global
        .offset:         104
        .size:           8
        .value_kind:     global_buffer
      - .offset:         112
        .size:           8
        .value_kind:     by_value
      - .offset:         120
        .size:           8
        .value_kind:     by_value
      - .address_space:  global
        .offset:         128
        .size:           8
        .value_kind:     global_buffer
      - .offset:         136
        .size:           8
        .value_kind:     by_value
      - .offset:         144
        .size:           8
        .value_kind:     by_value
      - .offset:         152
        .size:           4
        .value_kind:     by_value
    .group_segment_fixed_size: 8192
    .kernarg_segment_align: 8
    .kernarg_segment_size: 156
    .language:       OpenCL C
    .language_version:
      - 2
      - 0
    .max_flat_workgroup_size: 256
    .name:           _ZN12_GLOBAL__N_127rocblas_gemm_batched_kernelI19rocblas_complex_numIdELi16ELi16ELi64ELi64ELi4ELi64ELi4ELi4ELi64ELc67ELc78EKS2_S3_S2_EEvlllT_PT11_llS6_llS4_PT12_llPT13_lli
    .private_segment_fixed_size: 380
    .sgpr_count:     54
    .sgpr_spill_count: 0
    .symbol:         _ZN12_GLOBAL__N_127rocblas_gemm_batched_kernelI19rocblas_complex_numIdELi16ELi16ELi64ELi64ELi4ELi64ELi4ELi4ELi64ELc67ELc78EKS2_S3_S2_EEvlllT_PT11_llS6_llS4_PT12_llPT13_lli.kd
    .uniform_work_group_size: 1
    .uses_dynamic_stack: false
    .vgpr_count:     256
    .vgpr_spill_count: 102
    .wavefront_size: 32
    .workgroup_processor_mode: 1
  - .args:
      - .offset:         0
        .size:           8
        .value_kind:     by_value
      - .offset:         8
        .size:           8
        .value_kind:     by_value
      - .offset:         16
        .size:           8
        .value_kind:     by_value
      - .offset:         24
        .size:           16
        .value_kind:     by_value
      - .address_space:  global
        .offset:         40
        .size:           8
        .value_kind:     global_buffer
      - .offset:         48
        .size:           8
        .value_kind:     by_value
      - .offset:         56
        .size:           8
        .value_kind:     by_value
      - .address_space:  global
        .offset:         64
        .size:           8
        .value_kind:     global_buffer
      - .offset:         72
        .size:           8
        .value_kind:     by_value
      - .offset:         80
        .size:           8
        .value_kind:     by_value
      - .offset:         88
        .size:           16
        .value_kind:     by_value
      - .address_space:  global
        .offset:         104
        .size:           8
        .value_kind:     global_buffer
      - .offset:         112
        .size:           8
        .value_kind:     by_value
      - .offset:         120
        .size:           8
        .value_kind:     by_value
      - .address_space:  global
        .offset:         128
        .size:           8
        .value_kind:     global_buffer
      - .offset:         136
        .size:           8
        .value_kind:     by_value
      - .offset:         144
        .size:           8
        .value_kind:     by_value
      - .offset:         152
        .size:           4
        .value_kind:     by_value
    .group_segment_fixed_size: 8192
    .kernarg_segment_align: 8
    .kernarg_segment_size: 156
    .language:       OpenCL C
    .language_version:
      - 2
      - 0
    .max_flat_workgroup_size: 256
    .name:           _ZN12_GLOBAL__N_127rocblas_gemm_batched_kernelI19rocblas_complex_numIdELi16ELi16ELi64ELi64ELi4ELi64ELi4ELi4ELi64ELc67ELc84EKS2_S3_S2_EEvlllT_PT11_llS6_llS4_PT12_llPT13_lli
    .private_segment_fixed_size: 380
    .sgpr_count:     54
    .sgpr_spill_count: 0
    .symbol:         _ZN12_GLOBAL__N_127rocblas_gemm_batched_kernelI19rocblas_complex_numIdELi16ELi16ELi64ELi64ELi4ELi64ELi4ELi4ELi64ELc67ELc84EKS2_S3_S2_EEvlllT_PT11_llS6_llS4_PT12_llPT13_lli.kd
    .uniform_work_group_size: 1
    .uses_dynamic_stack: false
    .vgpr_count:     256
    .vgpr_spill_count: 102
    .wavefront_size: 32
    .workgroup_processor_mode: 1
  - .args:
      - .offset:         0
        .size:           8
        .value_kind:     by_value
      - .offset:         8
        .size:           8
        .value_kind:     by_value
      - .offset:         16
        .size:           8
        .value_kind:     by_value
      - .offset:         24
        .size:           16
        .value_kind:     by_value
      - .address_space:  global
        .offset:         40
        .size:           8
        .value_kind:     global_buffer
      - .offset:         48
        .size:           8
        .value_kind:     by_value
      - .offset:         56
        .size:           8
        .value_kind:     by_value
      - .address_space:  global
        .offset:         64
        .size:           8
        .value_kind:     global_buffer
      - .offset:         72
        .size:           8
        .value_kind:     by_value
      - .offset:         80
        .size:           8
        .value_kind:     by_value
      - .offset:         88
        .size:           16
        .value_kind:     by_value
      - .address_space:  global
        .offset:         104
        .size:           8
        .value_kind:     global_buffer
      - .offset:         112
        .size:           8
        .value_kind:     by_value
      - .offset:         120
        .size:           8
        .value_kind:     by_value
      - .address_space:  global
        .offset:         128
        .size:           8
        .value_kind:     global_buffer
      - .offset:         136
        .size:           8
        .value_kind:     by_value
      - .offset:         144
        .size:           8
        .value_kind:     by_value
      - .offset:         152
        .size:           4
        .value_kind:     by_value
    .group_segment_fixed_size: 8192
    .kernarg_segment_align: 8
    .kernarg_segment_size: 156
    .language:       OpenCL C
    .language_version:
      - 2
      - 0
    .max_flat_workgroup_size: 256
    .name:           _ZN12_GLOBAL__N_127rocblas_gemm_batched_kernelI19rocblas_complex_numIdELi16ELi16ELi64ELi64ELi4ELi64ELi4ELi4ELi64ELc78ELc67EKS2_S3_S2_EEvlllT_PT11_llS6_llS4_PT12_llPT13_lli
    .private_segment_fixed_size: 380
    .sgpr_count:     54
    .sgpr_spill_count: 0
    .symbol:         _ZN12_GLOBAL__N_127rocblas_gemm_batched_kernelI19rocblas_complex_numIdELi16ELi16ELi64ELi64ELi4ELi64ELi4ELi4ELi64ELc78ELc67EKS2_S3_S2_EEvlllT_PT11_llS6_llS4_PT12_llPT13_lli.kd
    .uniform_work_group_size: 1
    .uses_dynamic_stack: false
    .vgpr_count:     256
    .vgpr_spill_count: 102
    .wavefront_size: 32
    .workgroup_processor_mode: 1
  - .args:
      - .offset:         0
        .size:           8
        .value_kind:     by_value
      - .offset:         8
        .size:           8
        .value_kind:     by_value
      - .offset:         16
        .size:           8
        .value_kind:     by_value
      - .offset:         24
        .size:           16
        .value_kind:     by_value
      - .address_space:  global
        .offset:         40
        .size:           8
        .value_kind:     global_buffer
      - .offset:         48
        .size:           8
        .value_kind:     by_value
      - .offset:         56
        .size:           8
        .value_kind:     by_value
      - .address_space:  global
        .offset:         64
        .size:           8
        .value_kind:     global_buffer
      - .offset:         72
        .size:           8
        .value_kind:     by_value
      - .offset:         80
        .size:           8
        .value_kind:     by_value
      - .offset:         88
        .size:           16
        .value_kind:     by_value
      - .address_space:  global
        .offset:         104
        .size:           8
        .value_kind:     global_buffer
      - .offset:         112
        .size:           8
        .value_kind:     by_value
      - .offset:         120
        .size:           8
        .value_kind:     by_value
      - .address_space:  global
        .offset:         128
        .size:           8
        .value_kind:     global_buffer
      - .offset:         136
        .size:           8
        .value_kind:     by_value
      - .offset:         144
        .size:           8
        .value_kind:     by_value
      - .offset:         152
        .size:           4
        .value_kind:     by_value
    .group_segment_fixed_size: 8192
    .kernarg_segment_align: 8
    .kernarg_segment_size: 156
    .language:       OpenCL C
    .language_version:
      - 2
      - 0
    .max_flat_workgroup_size: 256
    .name:           _ZN12_GLOBAL__N_127rocblas_gemm_batched_kernelI19rocblas_complex_numIdELi16ELi16ELi64ELi64ELi4ELi64ELi4ELi4ELi64ELc84ELc67EKS2_S3_S2_EEvlllT_PT11_llS6_llS4_PT12_llPT13_lli
    .private_segment_fixed_size: 380
    .sgpr_count:     54
    .sgpr_spill_count: 0
    .symbol:         _ZN12_GLOBAL__N_127rocblas_gemm_batched_kernelI19rocblas_complex_numIdELi16ELi16ELi64ELi64ELi4ELi64ELi4ELi4ELi64ELc84ELc67EKS2_S3_S2_EEvlllT_PT11_llS6_llS4_PT12_llPT13_lli.kd
    .uniform_work_group_size: 1
    .uses_dynamic_stack: false
    .vgpr_count:     256
    .vgpr_spill_count: 102
    .wavefront_size: 32
    .workgroup_processor_mode: 1
  - .args:
      - .offset:         0
        .size:           8
        .value_kind:     by_value
      - .offset:         8
        .size:           8
        .value_kind:     by_value
      - .offset:         16
        .size:           8
        .value_kind:     by_value
      - .offset:         24
        .size:           16
        .value_kind:     by_value
      - .address_space:  global
        .offset:         40
        .size:           8
        .value_kind:     global_buffer
      - .offset:         48
        .size:           8
        .value_kind:     by_value
      - .offset:         56
        .size:           8
        .value_kind:     by_value
      - .address_space:  global
        .offset:         64
        .size:           8
        .value_kind:     global_buffer
      - .offset:         72
        .size:           8
        .value_kind:     by_value
      - .offset:         80
        .size:           8
        .value_kind:     by_value
      - .offset:         88
        .size:           16
        .value_kind:     by_value
      - .address_space:  global
        .offset:         104
        .size:           8
        .value_kind:     global_buffer
      - .offset:         112
        .size:           8
        .value_kind:     by_value
      - .offset:         120
        .size:           8
        .value_kind:     by_value
      - .address_space:  global
        .offset:         128
        .size:           8
        .value_kind:     global_buffer
      - .offset:         136
        .size:           8
        .value_kind:     by_value
      - .offset:         144
        .size:           8
        .value_kind:     by_value
      - .offset:         152
        .size:           4
        .value_kind:     by_value
    .group_segment_fixed_size: 8192
    .kernarg_segment_align: 8
    .kernarg_segment_size: 156
    .language:       OpenCL C
    .language_version:
      - 2
      - 0
    .max_flat_workgroup_size: 256
    .name:           _ZN12_GLOBAL__N_127rocblas_gemm_batched_kernelI19rocblas_complex_numIdELi16ELi16ELi32ELi32ELi8ELi32ELi8ELi8ELi32ELc78ELc78EKS2_S3_S2_EEvlllT_PT11_llS6_llS4_PT12_llPT13_lli
    .private_segment_fixed_size: 0
    .sgpr_count:     54
    .sgpr_spill_count: 0
    .symbol:         _ZN12_GLOBAL__N_127rocblas_gemm_batched_kernelI19rocblas_complex_numIdELi16ELi16ELi32ELi32ELi8ELi32ELi8ELi8ELi32ELc78ELc78EKS2_S3_S2_EEvlllT_PT11_llS6_llS4_PT12_llPT13_lli.kd
    .uniform_work_group_size: 1
    .uses_dynamic_stack: false
    .vgpr_count:     126
    .vgpr_spill_count: 0
    .wavefront_size: 32
    .workgroup_processor_mode: 1
  - .args:
      - .offset:         0
        .size:           8
        .value_kind:     by_value
      - .offset:         8
        .size:           8
        .value_kind:     by_value
      - .offset:         16
        .size:           8
        .value_kind:     by_value
      - .offset:         24
        .size:           16
        .value_kind:     by_value
      - .address_space:  global
        .offset:         40
        .size:           8
        .value_kind:     global_buffer
      - .offset:         48
        .size:           8
        .value_kind:     by_value
      - .offset:         56
        .size:           8
        .value_kind:     by_value
      - .address_space:  global
        .offset:         64
        .size:           8
        .value_kind:     global_buffer
      - .offset:         72
        .size:           8
        .value_kind:     by_value
      - .offset:         80
        .size:           8
        .value_kind:     by_value
      - .offset:         88
        .size:           16
        .value_kind:     by_value
      - .address_space:  global
        .offset:         104
        .size:           8
        .value_kind:     global_buffer
      - .offset:         112
        .size:           8
        .value_kind:     by_value
      - .offset:         120
        .size:           8
        .value_kind:     by_value
      - .address_space:  global
        .offset:         128
        .size:           8
        .value_kind:     global_buffer
      - .offset:         136
        .size:           8
        .value_kind:     by_value
      - .offset:         144
        .size:           8
        .value_kind:     by_value
      - .offset:         152
        .size:           4
        .value_kind:     by_value
    .group_segment_fixed_size: 8192
    .kernarg_segment_align: 8
    .kernarg_segment_size: 156
    .language:       OpenCL C
    .language_version:
      - 2
      - 0
    .max_flat_workgroup_size: 256
    .name:           _ZN12_GLOBAL__N_127rocblas_gemm_batched_kernelI19rocblas_complex_numIdELi16ELi16ELi32ELi32ELi8ELi32ELi8ELi8ELi32ELc84ELc78EKS2_S3_S2_EEvlllT_PT11_llS6_llS4_PT12_llPT13_lli
    .private_segment_fixed_size: 0
    .sgpr_count:     54
    .sgpr_spill_count: 0
    .symbol:         _ZN12_GLOBAL__N_127rocblas_gemm_batched_kernelI19rocblas_complex_numIdELi16ELi16ELi32ELi32ELi8ELi32ELi8ELi8ELi32ELc84ELc78EKS2_S3_S2_EEvlllT_PT11_llS6_llS4_PT12_llPT13_lli.kd
    .uniform_work_group_size: 1
    .uses_dynamic_stack: false
    .vgpr_count:     126
    .vgpr_spill_count: 0
    .wavefront_size: 32
    .workgroup_processor_mode: 1
  - .args:
      - .offset:         0
        .size:           8
        .value_kind:     by_value
      - .offset:         8
        .size:           8
        .value_kind:     by_value
      - .offset:         16
        .size:           8
        .value_kind:     by_value
      - .offset:         24
        .size:           16
        .value_kind:     by_value
      - .address_space:  global
        .offset:         40
        .size:           8
        .value_kind:     global_buffer
      - .offset:         48
        .size:           8
        .value_kind:     by_value
      - .offset:         56
        .size:           8
        .value_kind:     by_value
      - .address_space:  global
        .offset:         64
        .size:           8
        .value_kind:     global_buffer
      - .offset:         72
        .size:           8
        .value_kind:     by_value
      - .offset:         80
        .size:           8
        .value_kind:     by_value
      - .offset:         88
        .size:           16
        .value_kind:     by_value
      - .address_space:  global
        .offset:         104
        .size:           8
        .value_kind:     global_buffer
      - .offset:         112
        .size:           8
        .value_kind:     by_value
      - .offset:         120
        .size:           8
        .value_kind:     by_value
      - .address_space:  global
        .offset:         128
        .size:           8
        .value_kind:     global_buffer
      - .offset:         136
        .size:           8
        .value_kind:     by_value
      - .offset:         144
        .size:           8
        .value_kind:     by_value
      - .offset:         152
        .size:           4
        .value_kind:     by_value
    .group_segment_fixed_size: 8192
    .kernarg_segment_align: 8
    .kernarg_segment_size: 156
    .language:       OpenCL C
    .language_version:
      - 2
      - 0
    .max_flat_workgroup_size: 256
    .name:           _ZN12_GLOBAL__N_127rocblas_gemm_batched_kernelI19rocblas_complex_numIdELi16ELi16ELi32ELi32ELi8ELi32ELi8ELi8ELi32ELc78ELc84EKS2_S3_S2_EEvlllT_PT11_llS6_llS4_PT12_llPT13_lli
    .private_segment_fixed_size: 0
    .sgpr_count:     54
    .sgpr_spill_count: 0
    .symbol:         _ZN12_GLOBAL__N_127rocblas_gemm_batched_kernelI19rocblas_complex_numIdELi16ELi16ELi32ELi32ELi8ELi32ELi8ELi8ELi32ELc78ELc84EKS2_S3_S2_EEvlllT_PT11_llS6_llS4_PT12_llPT13_lli.kd
    .uniform_work_group_size: 1
    .uses_dynamic_stack: false
    .vgpr_count:     126
    .vgpr_spill_count: 0
    .wavefront_size: 32
    .workgroup_processor_mode: 1
  - .args:
      - .offset:         0
        .size:           8
        .value_kind:     by_value
      - .offset:         8
        .size:           8
        .value_kind:     by_value
      - .offset:         16
        .size:           8
        .value_kind:     by_value
      - .offset:         24
        .size:           16
        .value_kind:     by_value
      - .address_space:  global
        .offset:         40
        .size:           8
        .value_kind:     global_buffer
      - .offset:         48
        .size:           8
        .value_kind:     by_value
      - .offset:         56
        .size:           8
        .value_kind:     by_value
      - .address_space:  global
        .offset:         64
        .size:           8
        .value_kind:     global_buffer
      - .offset:         72
        .size:           8
        .value_kind:     by_value
      - .offset:         80
        .size:           8
        .value_kind:     by_value
      - .offset:         88
        .size:           16
        .value_kind:     by_value
      - .address_space:  global
        .offset:         104
        .size:           8
        .value_kind:     global_buffer
      - .offset:         112
        .size:           8
        .value_kind:     by_value
      - .offset:         120
        .size:           8
        .value_kind:     by_value
      - .address_space:  global
        .offset:         128
        .size:           8
        .value_kind:     global_buffer
      - .offset:         136
        .size:           8
        .value_kind:     by_value
      - .offset:         144
        .size:           8
        .value_kind:     by_value
      - .offset:         152
        .size:           4
        .value_kind:     by_value
    .group_segment_fixed_size: 8192
    .kernarg_segment_align: 8
    .kernarg_segment_size: 156
    .language:       OpenCL C
    .language_version:
      - 2
      - 0
    .max_flat_workgroup_size: 256
    .name:           _ZN12_GLOBAL__N_127rocblas_gemm_batched_kernelI19rocblas_complex_numIdELi16ELi16ELi32ELi32ELi8ELi32ELi8ELi8ELi32ELc84ELc84EKS2_S3_S2_EEvlllT_PT11_llS6_llS4_PT12_llPT13_lli
    .private_segment_fixed_size: 0
    .sgpr_count:     54
    .sgpr_spill_count: 0
    .symbol:         _ZN12_GLOBAL__N_127rocblas_gemm_batched_kernelI19rocblas_complex_numIdELi16ELi16ELi32ELi32ELi8ELi32ELi8ELi8ELi32ELc84ELc84EKS2_S3_S2_EEvlllT_PT11_llS6_llS4_PT12_llPT13_lli.kd
    .uniform_work_group_size: 1
    .uses_dynamic_stack: false
    .vgpr_count:     126
    .vgpr_spill_count: 0
    .wavefront_size: 32
    .workgroup_processor_mode: 1
  - .args:
      - .offset:         0
        .size:           8
        .value_kind:     by_value
      - .offset:         8
        .size:           8
        .value_kind:     by_value
      - .offset:         16
        .size:           8
        .value_kind:     by_value
      - .offset:         24
        .size:           16
        .value_kind:     by_value
      - .address_space:  global
        .offset:         40
        .size:           8
        .value_kind:     global_buffer
      - .offset:         48
        .size:           8
        .value_kind:     by_value
      - .offset:         56
        .size:           8
        .value_kind:     by_value
      - .address_space:  global
        .offset:         64
        .size:           8
        .value_kind:     global_buffer
      - .offset:         72
        .size:           8
        .value_kind:     by_value
      - .offset:         80
        .size:           8
        .value_kind:     by_value
      - .offset:         88
        .size:           16
        .value_kind:     by_value
      - .address_space:  global
        .offset:         104
        .size:           8
        .value_kind:     global_buffer
      - .offset:         112
        .size:           8
        .value_kind:     by_value
      - .offset:         120
        .size:           8
        .value_kind:     by_value
      - .address_space:  global
        .offset:         128
        .size:           8
        .value_kind:     global_buffer
      - .offset:         136
        .size:           8
        .value_kind:     by_value
      - .offset:         144
        .size:           8
        .value_kind:     by_value
      - .offset:         152
        .size:           4
        .value_kind:     by_value
    .group_segment_fixed_size: 8192
    .kernarg_segment_align: 8
    .kernarg_segment_size: 156
    .language:       OpenCL C
    .language_version:
      - 2
      - 0
    .max_flat_workgroup_size: 256
    .name:           _ZN12_GLOBAL__N_127rocblas_gemm_batched_kernelI19rocblas_complex_numIdELi16ELi16ELi32ELi32ELi8ELi32ELi8ELi8ELi32ELc67ELc67EKS2_S3_S2_EEvlllT_PT11_llS6_llS4_PT12_llPT13_lli
    .private_segment_fixed_size: 0
    .sgpr_count:     54
    .sgpr_spill_count: 0
    .symbol:         _ZN12_GLOBAL__N_127rocblas_gemm_batched_kernelI19rocblas_complex_numIdELi16ELi16ELi32ELi32ELi8ELi32ELi8ELi8ELi32ELc67ELc67EKS2_S3_S2_EEvlllT_PT11_llS6_llS4_PT12_llPT13_lli.kd
    .uniform_work_group_size: 1
    .uses_dynamic_stack: false
    .vgpr_count:     126
    .vgpr_spill_count: 0
    .wavefront_size: 32
    .workgroup_processor_mode: 1
  - .args:
      - .offset:         0
        .size:           8
        .value_kind:     by_value
      - .offset:         8
        .size:           8
        .value_kind:     by_value
      - .offset:         16
        .size:           8
        .value_kind:     by_value
      - .offset:         24
        .size:           16
        .value_kind:     by_value
      - .address_space:  global
        .offset:         40
        .size:           8
        .value_kind:     global_buffer
      - .offset:         48
        .size:           8
        .value_kind:     by_value
      - .offset:         56
        .size:           8
        .value_kind:     by_value
      - .address_space:  global
        .offset:         64
        .size:           8
        .value_kind:     global_buffer
      - .offset:         72
        .size:           8
        .value_kind:     by_value
      - .offset:         80
        .size:           8
        .value_kind:     by_value
      - .offset:         88
        .size:           16
        .value_kind:     by_value
      - .address_space:  global
        .offset:         104
        .size:           8
        .value_kind:     global_buffer
      - .offset:         112
        .size:           8
        .value_kind:     by_value
      - .offset:         120
        .size:           8
        .value_kind:     by_value
      - .address_space:  global
        .offset:         128
        .size:           8
        .value_kind:     global_buffer
      - .offset:         136
        .size:           8
        .value_kind:     by_value
      - .offset:         144
        .size:           8
        .value_kind:     by_value
      - .offset:         152
        .size:           4
        .value_kind:     by_value
    .group_segment_fixed_size: 8192
    .kernarg_segment_align: 8
    .kernarg_segment_size: 156
    .language:       OpenCL C
    .language_version:
      - 2
      - 0
    .max_flat_workgroup_size: 256
    .name:           _ZN12_GLOBAL__N_127rocblas_gemm_batched_kernelI19rocblas_complex_numIdELi16ELi16ELi32ELi32ELi8ELi32ELi8ELi8ELi32ELc67ELc78EKS2_S3_S2_EEvlllT_PT11_llS6_llS4_PT12_llPT13_lli
    .private_segment_fixed_size: 0
    .sgpr_count:     54
    .sgpr_spill_count: 0
    .symbol:         _ZN12_GLOBAL__N_127rocblas_gemm_batched_kernelI19rocblas_complex_numIdELi16ELi16ELi32ELi32ELi8ELi32ELi8ELi8ELi32ELc67ELc78EKS2_S3_S2_EEvlllT_PT11_llS6_llS4_PT12_llPT13_lli.kd
    .uniform_work_group_size: 1
    .uses_dynamic_stack: false
    .vgpr_count:     126
    .vgpr_spill_count: 0
    .wavefront_size: 32
    .workgroup_processor_mode: 1
  - .args:
      - .offset:         0
        .size:           8
        .value_kind:     by_value
      - .offset:         8
        .size:           8
        .value_kind:     by_value
      - .offset:         16
        .size:           8
        .value_kind:     by_value
      - .offset:         24
        .size:           16
        .value_kind:     by_value
      - .address_space:  global
        .offset:         40
        .size:           8
        .value_kind:     global_buffer
      - .offset:         48
        .size:           8
        .value_kind:     by_value
      - .offset:         56
        .size:           8
        .value_kind:     by_value
      - .address_space:  global
        .offset:         64
        .size:           8
        .value_kind:     global_buffer
      - .offset:         72
        .size:           8
        .value_kind:     by_value
      - .offset:         80
        .size:           8
        .value_kind:     by_value
      - .offset:         88
        .size:           16
        .value_kind:     by_value
      - .address_space:  global
        .offset:         104
        .size:           8
        .value_kind:     global_buffer
      - .offset:         112
        .size:           8
        .value_kind:     by_value
      - .offset:         120
        .size:           8
        .value_kind:     by_value
      - .address_space:  global
        .offset:         128
        .size:           8
        .value_kind:     global_buffer
      - .offset:         136
        .size:           8
        .value_kind:     by_value
      - .offset:         144
        .size:           8
        .value_kind:     by_value
      - .offset:         152
        .size:           4
        .value_kind:     by_value
    .group_segment_fixed_size: 8192
    .kernarg_segment_align: 8
    .kernarg_segment_size: 156
    .language:       OpenCL C
    .language_version:
      - 2
      - 0
    .max_flat_workgroup_size: 256
    .name:           _ZN12_GLOBAL__N_127rocblas_gemm_batched_kernelI19rocblas_complex_numIdELi16ELi16ELi32ELi32ELi8ELi32ELi8ELi8ELi32ELc67ELc84EKS2_S3_S2_EEvlllT_PT11_llS6_llS4_PT12_llPT13_lli
    .private_segment_fixed_size: 0
    .sgpr_count:     54
    .sgpr_spill_count: 0
    .symbol:         _ZN12_GLOBAL__N_127rocblas_gemm_batched_kernelI19rocblas_complex_numIdELi16ELi16ELi32ELi32ELi8ELi32ELi8ELi8ELi32ELc67ELc84EKS2_S3_S2_EEvlllT_PT11_llS6_llS4_PT12_llPT13_lli.kd
    .uniform_work_group_size: 1
    .uses_dynamic_stack: false
    .vgpr_count:     126
    .vgpr_spill_count: 0
    .wavefront_size: 32
    .workgroup_processor_mode: 1
  - .args:
      - .offset:         0
        .size:           8
        .value_kind:     by_value
      - .offset:         8
        .size:           8
        .value_kind:     by_value
      - .offset:         16
        .size:           8
        .value_kind:     by_value
      - .offset:         24
        .size:           16
        .value_kind:     by_value
      - .address_space:  global
        .offset:         40
        .size:           8
        .value_kind:     global_buffer
      - .offset:         48
        .size:           8
        .value_kind:     by_value
      - .offset:         56
        .size:           8
        .value_kind:     by_value
      - .address_space:  global
        .offset:         64
        .size:           8
        .value_kind:     global_buffer
      - .offset:         72
        .size:           8
        .value_kind:     by_value
      - .offset:         80
        .size:           8
        .value_kind:     by_value
      - .offset:         88
        .size:           16
        .value_kind:     by_value
      - .address_space:  global
        .offset:         104
        .size:           8
        .value_kind:     global_buffer
      - .offset:         112
        .size:           8
        .value_kind:     by_value
      - .offset:         120
        .size:           8
        .value_kind:     by_value
      - .address_space:  global
        .offset:         128
        .size:           8
        .value_kind:     global_buffer
      - .offset:         136
        .size:           8
        .value_kind:     by_value
      - .offset:         144
        .size:           8
        .value_kind:     by_value
      - .offset:         152
        .size:           4
        .value_kind:     by_value
    .group_segment_fixed_size: 8192
    .kernarg_segment_align: 8
    .kernarg_segment_size: 156
    .language:       OpenCL C
    .language_version:
      - 2
      - 0
    .max_flat_workgroup_size: 256
    .name:           _ZN12_GLOBAL__N_127rocblas_gemm_batched_kernelI19rocblas_complex_numIdELi16ELi16ELi32ELi32ELi8ELi32ELi8ELi8ELi32ELc78ELc67EKS2_S3_S2_EEvlllT_PT11_llS6_llS4_PT12_llPT13_lli
    .private_segment_fixed_size: 0
    .sgpr_count:     54
    .sgpr_spill_count: 0
    .symbol:         _ZN12_GLOBAL__N_127rocblas_gemm_batched_kernelI19rocblas_complex_numIdELi16ELi16ELi32ELi32ELi8ELi32ELi8ELi8ELi32ELc78ELc67EKS2_S3_S2_EEvlllT_PT11_llS6_llS4_PT12_llPT13_lli.kd
    .uniform_work_group_size: 1
    .uses_dynamic_stack: false
    .vgpr_count:     126
    .vgpr_spill_count: 0
    .wavefront_size: 32
    .workgroup_processor_mode: 1
  - .args:
      - .offset:         0
        .size:           8
        .value_kind:     by_value
      - .offset:         8
        .size:           8
        .value_kind:     by_value
      - .offset:         16
        .size:           8
        .value_kind:     by_value
      - .offset:         24
        .size:           16
        .value_kind:     by_value
      - .address_space:  global
        .offset:         40
        .size:           8
        .value_kind:     global_buffer
      - .offset:         48
        .size:           8
        .value_kind:     by_value
      - .offset:         56
        .size:           8
        .value_kind:     by_value
      - .address_space:  global
        .offset:         64
        .size:           8
        .value_kind:     global_buffer
      - .offset:         72
        .size:           8
        .value_kind:     by_value
      - .offset:         80
        .size:           8
        .value_kind:     by_value
      - .offset:         88
        .size:           16
        .value_kind:     by_value
      - .address_space:  global
        .offset:         104
        .size:           8
        .value_kind:     global_buffer
      - .offset:         112
        .size:           8
        .value_kind:     by_value
      - .offset:         120
        .size:           8
        .value_kind:     by_value
      - .address_space:  global
        .offset:         128
        .size:           8
        .value_kind:     global_buffer
      - .offset:         136
        .size:           8
        .value_kind:     by_value
      - .offset:         144
        .size:           8
        .value_kind:     by_value
      - .offset:         152
        .size:           4
        .value_kind:     by_value
    .group_segment_fixed_size: 8192
    .kernarg_segment_align: 8
    .kernarg_segment_size: 156
    .language:       OpenCL C
    .language_version:
      - 2
      - 0
    .max_flat_workgroup_size: 256
    .name:           _ZN12_GLOBAL__N_127rocblas_gemm_batched_kernelI19rocblas_complex_numIdELi16ELi16ELi32ELi32ELi8ELi32ELi8ELi8ELi32ELc84ELc67EKS2_S3_S2_EEvlllT_PT11_llS6_llS4_PT12_llPT13_lli
    .private_segment_fixed_size: 0
    .sgpr_count:     54
    .sgpr_spill_count: 0
    .symbol:         _ZN12_GLOBAL__N_127rocblas_gemm_batched_kernelI19rocblas_complex_numIdELi16ELi16ELi32ELi32ELi8ELi32ELi8ELi8ELi32ELc84ELc67EKS2_S3_S2_EEvlllT_PT11_llS6_llS4_PT12_llPT13_lli.kd
    .uniform_work_group_size: 1
    .uses_dynamic_stack: false
    .vgpr_count:     126
    .vgpr_spill_count: 0
    .wavefront_size: 32
    .workgroup_processor_mode: 1
  - .args:
      - .offset:         0
        .size:           8
        .value_kind:     by_value
      - .offset:         8
        .size:           8
        .value_kind:     by_value
      - .offset:         16
        .size:           8
        .value_kind:     by_value
      - .offset:         24
        .size:           16
        .value_kind:     by_value
      - .address_space:  global
        .offset:         40
        .size:           8
        .value_kind:     global_buffer
      - .offset:         48
        .size:           8
        .value_kind:     by_value
      - .offset:         56
        .size:           8
        .value_kind:     by_value
      - .address_space:  global
        .offset:         64
        .size:           8
        .value_kind:     global_buffer
      - .offset:         72
        .size:           8
        .value_kind:     by_value
      - .offset:         80
        .size:           8
        .value_kind:     by_value
      - .offset:         88
        .size:           16
        .value_kind:     by_value
      - .address_space:  global
        .offset:         104
        .size:           8
        .value_kind:     global_buffer
      - .offset:         112
        .size:           8
        .value_kind:     by_value
      - .offset:         120
        .size:           8
        .value_kind:     by_value
      - .address_space:  global
        .offset:         128
        .size:           8
        .value_kind:     global_buffer
      - .offset:         136
        .size:           8
        .value_kind:     by_value
      - .offset:         144
        .size:           8
        .value_kind:     by_value
      - .offset:         152
        .size:           4
        .value_kind:     by_value
    .group_segment_fixed_size: 8192
    .kernarg_segment_align: 8
    .kernarg_segment_size: 156
    .language:       OpenCL C
    .language_version:
      - 2
      - 0
    .max_flat_workgroup_size: 256
    .name:           _ZN12_GLOBAL__N_135rocblas_gemm_batched_general_kernelI19rocblas_complex_numIdELi16ELi16ELi32ELi32ELi8ELi32ELi8ELi8ELi32ELc78ELc78EKS2_S3_S2_EEvlllT_PT11_llS6_llS4_PT12_llPT13_lli
    .private_segment_fixed_size: 0
    .sgpr_count:     54
    .sgpr_spill_count: 0
    .symbol:         _ZN12_GLOBAL__N_135rocblas_gemm_batched_general_kernelI19rocblas_complex_numIdELi16ELi16ELi32ELi32ELi8ELi32ELi8ELi8ELi32ELc78ELc78EKS2_S3_S2_EEvlllT_PT11_llS6_llS4_PT12_llPT13_lli.kd
    .uniform_work_group_size: 1
    .uses_dynamic_stack: false
    .vgpr_count:     64
    .vgpr_spill_count: 0
    .wavefront_size: 32
    .workgroup_processor_mode: 1
  - .args:
      - .offset:         0
        .size:           8
        .value_kind:     by_value
      - .offset:         8
        .size:           8
        .value_kind:     by_value
      - .offset:         16
        .size:           8
        .value_kind:     by_value
      - .offset:         24
        .size:           16
        .value_kind:     by_value
      - .address_space:  global
        .offset:         40
        .size:           8
        .value_kind:     global_buffer
      - .offset:         48
        .size:           8
        .value_kind:     by_value
      - .offset:         56
        .size:           8
        .value_kind:     by_value
      - .address_space:  global
        .offset:         64
        .size:           8
        .value_kind:     global_buffer
      - .offset:         72
        .size:           8
        .value_kind:     by_value
      - .offset:         80
        .size:           8
        .value_kind:     by_value
      - .offset:         88
        .size:           16
        .value_kind:     by_value
      - .address_space:  global
        .offset:         104
        .size:           8
        .value_kind:     global_buffer
      - .offset:         112
        .size:           8
        .value_kind:     by_value
      - .offset:         120
        .size:           8
        .value_kind:     by_value
      - .address_space:  global
        .offset:         128
        .size:           8
        .value_kind:     global_buffer
      - .offset:         136
        .size:           8
        .value_kind:     by_value
      - .offset:         144
        .size:           8
        .value_kind:     by_value
      - .offset:         152
        .size:           4
        .value_kind:     by_value
    .group_segment_fixed_size: 8192
    .kernarg_segment_align: 8
    .kernarg_segment_size: 156
    .language:       OpenCL C
    .language_version:
      - 2
      - 0
    .max_flat_workgroup_size: 256
    .name:           _ZN12_GLOBAL__N_135rocblas_gemm_batched_general_kernelI19rocblas_complex_numIdELi16ELi16ELi32ELi32ELi8ELi32ELi8ELi8ELi32ELc84ELc78EKS2_S3_S2_EEvlllT_PT11_llS6_llS4_PT12_llPT13_lli
    .private_segment_fixed_size: 0
    .sgpr_count:     54
    .sgpr_spill_count: 0
    .symbol:         _ZN12_GLOBAL__N_135rocblas_gemm_batched_general_kernelI19rocblas_complex_numIdELi16ELi16ELi32ELi32ELi8ELi32ELi8ELi8ELi32ELc84ELc78EKS2_S3_S2_EEvlllT_PT11_llS6_llS4_PT12_llPT13_lli.kd
    .uniform_work_group_size: 1
    .uses_dynamic_stack: false
    .vgpr_count:     64
    .vgpr_spill_count: 0
    .wavefront_size: 32
    .workgroup_processor_mode: 1
  - .args:
      - .offset:         0
        .size:           8
        .value_kind:     by_value
      - .offset:         8
        .size:           8
        .value_kind:     by_value
      - .offset:         16
        .size:           8
        .value_kind:     by_value
      - .offset:         24
        .size:           16
        .value_kind:     by_value
      - .address_space:  global
        .offset:         40
        .size:           8
        .value_kind:     global_buffer
      - .offset:         48
        .size:           8
        .value_kind:     by_value
      - .offset:         56
        .size:           8
        .value_kind:     by_value
      - .address_space:  global
        .offset:         64
        .size:           8
        .value_kind:     global_buffer
      - .offset:         72
        .size:           8
        .value_kind:     by_value
      - .offset:         80
        .size:           8
        .value_kind:     by_value
      - .offset:         88
        .size:           16
        .value_kind:     by_value
      - .address_space:  global
        .offset:         104
        .size:           8
        .value_kind:     global_buffer
      - .offset:         112
        .size:           8
        .value_kind:     by_value
      - .offset:         120
        .size:           8
        .value_kind:     by_value
      - .address_space:  global
        .offset:         128
        .size:           8
        .value_kind:     global_buffer
      - .offset:         136
        .size:           8
        .value_kind:     by_value
      - .offset:         144
        .size:           8
        .value_kind:     by_value
      - .offset:         152
        .size:           4
        .value_kind:     by_value
    .group_segment_fixed_size: 8192
    .kernarg_segment_align: 8
    .kernarg_segment_size: 156
    .language:       OpenCL C
    .language_version:
      - 2
      - 0
    .max_flat_workgroup_size: 256
    .name:           _ZN12_GLOBAL__N_135rocblas_gemm_batched_general_kernelI19rocblas_complex_numIdELi16ELi16ELi32ELi32ELi8ELi32ELi8ELi8ELi32ELc78ELc84EKS2_S3_S2_EEvlllT_PT11_llS6_llS4_PT12_llPT13_lli
    .private_segment_fixed_size: 0
    .sgpr_count:     54
    .sgpr_spill_count: 0
    .symbol:         _ZN12_GLOBAL__N_135rocblas_gemm_batched_general_kernelI19rocblas_complex_numIdELi16ELi16ELi32ELi32ELi8ELi32ELi8ELi8ELi32ELc78ELc84EKS2_S3_S2_EEvlllT_PT11_llS6_llS4_PT12_llPT13_lli.kd
    .uniform_work_group_size: 1
    .uses_dynamic_stack: false
    .vgpr_count:     64
    .vgpr_spill_count: 0
    .wavefront_size: 32
    .workgroup_processor_mode: 1
  - .args:
      - .offset:         0
        .size:           8
        .value_kind:     by_value
      - .offset:         8
        .size:           8
        .value_kind:     by_value
      - .offset:         16
        .size:           8
        .value_kind:     by_value
      - .offset:         24
        .size:           16
        .value_kind:     by_value
      - .address_space:  global
        .offset:         40
        .size:           8
        .value_kind:     global_buffer
      - .offset:         48
        .size:           8
        .value_kind:     by_value
      - .offset:         56
        .size:           8
        .value_kind:     by_value
      - .address_space:  global
        .offset:         64
        .size:           8
        .value_kind:     global_buffer
      - .offset:         72
        .size:           8
        .value_kind:     by_value
      - .offset:         80
        .size:           8
        .value_kind:     by_value
      - .offset:         88
        .size:           16
        .value_kind:     by_value
      - .address_space:  global
        .offset:         104
        .size:           8
        .value_kind:     global_buffer
      - .offset:         112
        .size:           8
        .value_kind:     by_value
      - .offset:         120
        .size:           8
        .value_kind:     by_value
      - .address_space:  global
        .offset:         128
        .size:           8
        .value_kind:     global_buffer
      - .offset:         136
        .size:           8
        .value_kind:     by_value
      - .offset:         144
        .size:           8
        .value_kind:     by_value
      - .offset:         152
        .size:           4
        .value_kind:     by_value
    .group_segment_fixed_size: 8192
    .kernarg_segment_align: 8
    .kernarg_segment_size: 156
    .language:       OpenCL C
    .language_version:
      - 2
      - 0
    .max_flat_workgroup_size: 256
    .name:           _ZN12_GLOBAL__N_135rocblas_gemm_batched_general_kernelI19rocblas_complex_numIdELi16ELi16ELi32ELi32ELi8ELi32ELi8ELi8ELi32ELc84ELc84EKS2_S3_S2_EEvlllT_PT11_llS6_llS4_PT12_llPT13_lli
    .private_segment_fixed_size: 0
    .sgpr_count:     55
    .sgpr_spill_count: 0
    .symbol:         _ZN12_GLOBAL__N_135rocblas_gemm_batched_general_kernelI19rocblas_complex_numIdELi16ELi16ELi32ELi32ELi8ELi32ELi8ELi8ELi32ELc84ELc84EKS2_S3_S2_EEvlllT_PT11_llS6_llS4_PT12_llPT13_lli.kd
    .uniform_work_group_size: 1
    .uses_dynamic_stack: false
    .vgpr_count:     64
    .vgpr_spill_count: 0
    .wavefront_size: 32
    .workgroup_processor_mode: 1
  - .args:
      - .offset:         0
        .size:           8
        .value_kind:     by_value
      - .offset:         8
        .size:           8
        .value_kind:     by_value
      - .offset:         16
        .size:           8
        .value_kind:     by_value
      - .offset:         24
        .size:           16
        .value_kind:     by_value
      - .address_space:  global
        .offset:         40
        .size:           8
        .value_kind:     global_buffer
      - .offset:         48
        .size:           8
        .value_kind:     by_value
      - .offset:         56
        .size:           8
        .value_kind:     by_value
      - .address_space:  global
        .offset:         64
        .size:           8
        .value_kind:     global_buffer
      - .offset:         72
        .size:           8
        .value_kind:     by_value
      - .offset:         80
        .size:           8
        .value_kind:     by_value
      - .offset:         88
        .size:           16
        .value_kind:     by_value
      - .address_space:  global
        .offset:         104
        .size:           8
        .value_kind:     global_buffer
      - .offset:         112
        .size:           8
        .value_kind:     by_value
      - .offset:         120
        .size:           8
        .value_kind:     by_value
      - .address_space:  global
        .offset:         128
        .size:           8
        .value_kind:     global_buffer
      - .offset:         136
        .size:           8
        .value_kind:     by_value
      - .offset:         144
        .size:           8
        .value_kind:     by_value
      - .offset:         152
        .size:           4
        .value_kind:     by_value
    .group_segment_fixed_size: 8192
    .kernarg_segment_align: 8
    .kernarg_segment_size: 156
    .language:       OpenCL C
    .language_version:
      - 2
      - 0
    .max_flat_workgroup_size: 256
    .name:           _ZN12_GLOBAL__N_135rocblas_gemm_batched_general_kernelI19rocblas_complex_numIdELi16ELi16ELi32ELi32ELi8ELi32ELi8ELi8ELi32ELc67ELc67EKS2_S3_S2_EEvlllT_PT11_llS6_llS4_PT12_llPT13_lli
    .private_segment_fixed_size: 0
    .sgpr_count:     54
    .sgpr_spill_count: 0
    .symbol:         _ZN12_GLOBAL__N_135rocblas_gemm_batched_general_kernelI19rocblas_complex_numIdELi16ELi16ELi32ELi32ELi8ELi32ELi8ELi8ELi32ELc67ELc67EKS2_S3_S2_EEvlllT_PT11_llS6_llS4_PT12_llPT13_lli.kd
    .uniform_work_group_size: 1
    .uses_dynamic_stack: false
    .vgpr_count:     128
    .vgpr_spill_count: 0
    .wavefront_size: 32
    .workgroup_processor_mode: 1
  - .args:
      - .offset:         0
        .size:           8
        .value_kind:     by_value
      - .offset:         8
        .size:           8
        .value_kind:     by_value
      - .offset:         16
        .size:           8
        .value_kind:     by_value
      - .offset:         24
        .size:           16
        .value_kind:     by_value
      - .address_space:  global
        .offset:         40
        .size:           8
        .value_kind:     global_buffer
      - .offset:         48
        .size:           8
        .value_kind:     by_value
      - .offset:         56
        .size:           8
        .value_kind:     by_value
      - .address_space:  global
        .offset:         64
        .size:           8
        .value_kind:     global_buffer
      - .offset:         72
        .size:           8
        .value_kind:     by_value
      - .offset:         80
        .size:           8
        .value_kind:     by_value
      - .offset:         88
        .size:           16
        .value_kind:     by_value
      - .address_space:  global
        .offset:         104
        .size:           8
        .value_kind:     global_buffer
      - .offset:         112
        .size:           8
        .value_kind:     by_value
      - .offset:         120
        .size:           8
        .value_kind:     by_value
      - .address_space:  global
        .offset:         128
        .size:           8
        .value_kind:     global_buffer
      - .offset:         136
        .size:           8
        .value_kind:     by_value
      - .offset:         144
        .size:           8
        .value_kind:     by_value
      - .offset:         152
        .size:           4
        .value_kind:     by_value
    .group_segment_fixed_size: 8192
    .kernarg_segment_align: 8
    .kernarg_segment_size: 156
    .language:       OpenCL C
    .language_version:
      - 2
      - 0
    .max_flat_workgroup_size: 256
    .name:           _ZN12_GLOBAL__N_135rocblas_gemm_batched_general_kernelI19rocblas_complex_numIdELi16ELi16ELi32ELi32ELi8ELi32ELi8ELi8ELi32ELc67ELc78EKS2_S3_S2_EEvlllT_PT11_llS6_llS4_PT12_llPT13_lli
    .private_segment_fixed_size: 0
    .sgpr_count:     54
    .sgpr_spill_count: 0
    .symbol:         _ZN12_GLOBAL__N_135rocblas_gemm_batched_general_kernelI19rocblas_complex_numIdELi16ELi16ELi32ELi32ELi8ELi32ELi8ELi8ELi32ELc67ELc78EKS2_S3_S2_EEvlllT_PT11_llS6_llS4_PT12_llPT13_lli.kd
    .uniform_work_group_size: 1
    .uses_dynamic_stack: false
    .vgpr_count:     129
    .vgpr_spill_count: 0
    .wavefront_size: 32
    .workgroup_processor_mode: 1
  - .args:
      - .offset:         0
        .size:           8
        .value_kind:     by_value
      - .offset:         8
        .size:           8
        .value_kind:     by_value
      - .offset:         16
        .size:           8
        .value_kind:     by_value
      - .offset:         24
        .size:           16
        .value_kind:     by_value
      - .address_space:  global
        .offset:         40
        .size:           8
        .value_kind:     global_buffer
      - .offset:         48
        .size:           8
        .value_kind:     by_value
      - .offset:         56
        .size:           8
        .value_kind:     by_value
      - .address_space:  global
        .offset:         64
        .size:           8
        .value_kind:     global_buffer
      - .offset:         72
        .size:           8
        .value_kind:     by_value
      - .offset:         80
        .size:           8
        .value_kind:     by_value
      - .offset:         88
        .size:           16
        .value_kind:     by_value
      - .address_space:  global
        .offset:         104
        .size:           8
        .value_kind:     global_buffer
      - .offset:         112
        .size:           8
        .value_kind:     by_value
      - .offset:         120
        .size:           8
        .value_kind:     by_value
      - .address_space:  global
        .offset:         128
        .size:           8
        .value_kind:     global_buffer
      - .offset:         136
        .size:           8
        .value_kind:     by_value
      - .offset:         144
        .size:           8
        .value_kind:     by_value
      - .offset:         152
        .size:           4
        .value_kind:     by_value
    .group_segment_fixed_size: 8192
    .kernarg_segment_align: 8
    .kernarg_segment_size: 156
    .language:       OpenCL C
    .language_version:
      - 2
      - 0
    .max_flat_workgroup_size: 256
    .name:           _ZN12_GLOBAL__N_135rocblas_gemm_batched_general_kernelI19rocblas_complex_numIdELi16ELi16ELi32ELi32ELi8ELi32ELi8ELi8ELi32ELc67ELc84EKS2_S3_S2_EEvlllT_PT11_llS6_llS4_PT12_llPT13_lli
    .private_segment_fixed_size: 0
    .sgpr_count:     54
    .sgpr_spill_count: 0
    .symbol:         _ZN12_GLOBAL__N_135rocblas_gemm_batched_general_kernelI19rocblas_complex_numIdELi16ELi16ELi32ELi32ELi8ELi32ELi8ELi8ELi32ELc67ELc84EKS2_S3_S2_EEvlllT_PT11_llS6_llS4_PT12_llPT13_lli.kd
    .uniform_work_group_size: 1
    .uses_dynamic_stack: false
    .vgpr_count:     129
    .vgpr_spill_count: 0
    .wavefront_size: 32
    .workgroup_processor_mode: 1
  - .args:
      - .offset:         0
        .size:           8
        .value_kind:     by_value
      - .offset:         8
        .size:           8
        .value_kind:     by_value
      - .offset:         16
        .size:           8
        .value_kind:     by_value
      - .offset:         24
        .size:           16
        .value_kind:     by_value
      - .address_space:  global
        .offset:         40
        .size:           8
        .value_kind:     global_buffer
      - .offset:         48
        .size:           8
        .value_kind:     by_value
      - .offset:         56
        .size:           8
        .value_kind:     by_value
      - .address_space:  global
        .offset:         64
        .size:           8
        .value_kind:     global_buffer
      - .offset:         72
        .size:           8
        .value_kind:     by_value
      - .offset:         80
        .size:           8
        .value_kind:     by_value
      - .offset:         88
        .size:           16
        .value_kind:     by_value
      - .address_space:  global
        .offset:         104
        .size:           8
        .value_kind:     global_buffer
      - .offset:         112
        .size:           8
        .value_kind:     by_value
      - .offset:         120
        .size:           8
        .value_kind:     by_value
      - .address_space:  global
        .offset:         128
        .size:           8
        .value_kind:     global_buffer
      - .offset:         136
        .size:           8
        .value_kind:     by_value
      - .offset:         144
        .size:           8
        .value_kind:     by_value
      - .offset:         152
        .size:           4
        .value_kind:     by_value
    .group_segment_fixed_size: 8192
    .kernarg_segment_align: 8
    .kernarg_segment_size: 156
    .language:       OpenCL C
    .language_version:
      - 2
      - 0
    .max_flat_workgroup_size: 256
    .name:           _ZN12_GLOBAL__N_135rocblas_gemm_batched_general_kernelI19rocblas_complex_numIdELi16ELi16ELi32ELi32ELi8ELi32ELi8ELi8ELi32ELc78ELc67EKS2_S3_S2_EEvlllT_PT11_llS6_llS4_PT12_llPT13_lli
    .private_segment_fixed_size: 0
    .sgpr_count:     54
    .sgpr_spill_count: 0
    .symbol:         _ZN12_GLOBAL__N_135rocblas_gemm_batched_general_kernelI19rocblas_complex_numIdELi16ELi16ELi32ELi32ELi8ELi32ELi8ELi8ELi32ELc78ELc67EKS2_S3_S2_EEvlllT_PT11_llS6_llS4_PT12_llPT13_lli.kd
    .uniform_work_group_size: 1
    .uses_dynamic_stack: false
    .vgpr_count:     129
    .vgpr_spill_count: 0
    .wavefront_size: 32
    .workgroup_processor_mode: 1
  - .args:
      - .offset:         0
        .size:           8
        .value_kind:     by_value
      - .offset:         8
        .size:           8
        .value_kind:     by_value
      - .offset:         16
        .size:           8
        .value_kind:     by_value
      - .offset:         24
        .size:           16
        .value_kind:     by_value
      - .address_space:  global
        .offset:         40
        .size:           8
        .value_kind:     global_buffer
      - .offset:         48
        .size:           8
        .value_kind:     by_value
      - .offset:         56
        .size:           8
        .value_kind:     by_value
      - .address_space:  global
        .offset:         64
        .size:           8
        .value_kind:     global_buffer
      - .offset:         72
        .size:           8
        .value_kind:     by_value
      - .offset:         80
        .size:           8
        .value_kind:     by_value
      - .offset:         88
        .size:           16
        .value_kind:     by_value
      - .address_space:  global
        .offset:         104
        .size:           8
        .value_kind:     global_buffer
      - .offset:         112
        .size:           8
        .value_kind:     by_value
      - .offset:         120
        .size:           8
        .value_kind:     by_value
      - .address_space:  global
        .offset:         128
        .size:           8
        .value_kind:     global_buffer
      - .offset:         136
        .size:           8
        .value_kind:     by_value
      - .offset:         144
        .size:           8
        .value_kind:     by_value
      - .offset:         152
        .size:           4
        .value_kind:     by_value
    .group_segment_fixed_size: 8192
    .kernarg_segment_align: 8
    .kernarg_segment_size: 156
    .language:       OpenCL C
    .language_version:
      - 2
      - 0
    .max_flat_workgroup_size: 256
    .name:           _ZN12_GLOBAL__N_135rocblas_gemm_batched_general_kernelI19rocblas_complex_numIdELi16ELi16ELi32ELi32ELi8ELi32ELi8ELi8ELi32ELc84ELc67EKS2_S3_S2_EEvlllT_PT11_llS6_llS4_PT12_llPT13_lli
    .private_segment_fixed_size: 0
    .sgpr_count:     54
    .sgpr_spill_count: 0
    .symbol:         _ZN12_GLOBAL__N_135rocblas_gemm_batched_general_kernelI19rocblas_complex_numIdELi16ELi16ELi32ELi32ELi8ELi32ELi8ELi8ELi32ELc84ELc67EKS2_S3_S2_EEvlllT_PT11_llS6_llS4_PT12_llPT13_lli.kd
    .uniform_work_group_size: 1
    .uses_dynamic_stack: false
    .vgpr_count:     129
    .vgpr_spill_count: 0
    .wavefront_size: 32
    .workgroup_processor_mode: 1
  - .args:
      - .offset:         0
        .size:           4
        .value_kind:     by_value
      - .offset:         4
        .size:           4
        .value_kind:     by_value
      - .offset:         8
        .size:           2
        .value_kind:     by_value
      - .address_space:  global
        .offset:         16
        .size:           8
        .value_kind:     global_buffer
      - .offset:         24
        .size:           8
        .value_kind:     by_value
      - .offset:         32
        .size:           8
        .value_kind:     by_value
      - .offset:         40
        .size:           8
        .value_kind:     by_value
      - .offset:         48
        .size:           4
        .value_kind:     by_value
    .group_segment_fixed_size: 0
    .kernarg_segment_align: 8
    .kernarg_segment_size: 52
    .language:       OpenCL C
    .language_version:
      - 2
      - 0
    .max_flat_workgroup_size: 1024
    .name:           _ZN12_GLOBAL__N_125rocblas_gemm_scale_kernelILi32ELi32EDF16_PKPDF16_EEviiT1_T2_llli
    .private_segment_fixed_size: 0
    .sgpr_count:     16
    .sgpr_spill_count: 0
    .symbol:         _ZN12_GLOBAL__N_125rocblas_gemm_scale_kernelILi32ELi32EDF16_PKPDF16_EEviiT1_T2_llli.kd
    .uniform_work_group_size: 1
    .uses_dynamic_stack: false
    .vgpr_count:     7
    .vgpr_spill_count: 0
    .wavefront_size: 32
    .workgroup_processor_mode: 1
  - .args:
      - .offset:         0
        .size:           4
        .value_kind:     by_value
      - .offset:         4
        .size:           4
        .value_kind:     by_value
      - .offset:         8
        .size:           2
        .value_kind:     by_value
      - .address_space:  global
        .offset:         16
        .size:           8
        .value_kind:     global_buffer
      - .offset:         24
        .size:           8
        .value_kind:     by_value
      - .offset:         32
        .size:           8
        .value_kind:     by_value
      - .offset:         40
        .size:           8
        .value_kind:     by_value
      - .address_space:  global
        .offset:         48
        .size:           8
        .value_kind:     global_buffer
      - .offset:         56
        .size:           8
        .value_kind:     by_value
      - .offset:         64
        .size:           8
        .value_kind:     by_value
      - .offset:         72
        .size:           8
        .value_kind:     by_value
      - .offset:         80
        .size:           4
        .value_kind:     by_value
    .group_segment_fixed_size: 0
    .kernarg_segment_align: 8
    .kernarg_segment_size: 84
    .language:       OpenCL C
    .language_version:
      - 2
      - 0
    .max_flat_workgroup_size: 1024
    .name:           _ZN12_GLOBAL__N_120gemm_ex_scale_kernelILi32ELi32EDF16_PKPKDF16_PKPDF16_EEviiT1_T2_lllT3_llli
    .private_segment_fixed_size: 0
    .sgpr_count:     24
    .sgpr_spill_count: 0
    .symbol:         _ZN12_GLOBAL__N_120gemm_ex_scale_kernelILi32ELi32EDF16_PKPKDF16_PKPDF16_EEviiT1_T2_lllT3_llli.kd
    .uniform_work_group_size: 1
    .uses_dynamic_stack: false
    .vgpr_count:     9
    .vgpr_spill_count: 0
    .wavefront_size: 32
    .workgroup_processor_mode: 1
  - .args:
      - .offset:         0
        .size:           8
        .value_kind:     by_value
      - .offset:         8
        .size:           8
        .value_kind:     by_value
      - .offset:         16
        .size:           8
        .value_kind:     by_value
      - .offset:         24
        .size:           2
        .value_kind:     by_value
      - .address_space:  global
        .offset:         32
        .size:           8
        .value_kind:     global_buffer
      - .offset:         40
        .size:           8
        .value_kind:     by_value
      - .offset:         48
        .size:           8
        .value_kind:     by_value
      - .address_space:  global
        .offset:         56
        .size:           8
        .value_kind:     global_buffer
      - .offset:         64
        .size:           8
        .value_kind:     by_value
      - .offset:         72
        .size:           8
        .value_kind:     by_value
      - .offset:         80
        .size:           2
        .value_kind:     by_value
      - .address_space:  global
        .offset:         88
        .size:           8
        .value_kind:     global_buffer
      - .offset:         96
        .size:           8
        .value_kind:     by_value
      - .offset:         104
        .size:           8
        .value_kind:     by_value
      - .address_space:  global
        .offset:         112
        .size:           8
        .value_kind:     global_buffer
      - .offset:         120
        .size:           8
        .value_kind:     by_value
      - .offset:         128
        .size:           8
        .value_kind:     by_value
      - .offset:         136
        .size:           4
        .value_kind:     by_value
    .group_segment_fixed_size: 1024
    .kernarg_segment_align: 8
    .kernarg_segment_size: 140
    .language:       OpenCL C
    .language_version:
      - 2
      - 0
    .max_flat_workgroup_size: 256
    .name:           _ZN12_GLOBAL__N_127rocblas_gemm_batched_kernelIDF16_Li16ELi16ELi64ELi64ELi4ELi64ELi4ELi4ELi64ELc78ELc78EKPKDF16_S3_KPDF16_EEvlllT_PT11_llS8_llS6_PT12_llPT13_lli
    .private_segment_fixed_size: 0
    .sgpr_count:     38
    .sgpr_spill_count: 0
    .symbol:         _ZN12_GLOBAL__N_127rocblas_gemm_batched_kernelIDF16_Li16ELi16ELi64ELi64ELi4ELi64ELi4ELi4ELi64ELc78ELc78EKPKDF16_S3_KPDF16_EEvlllT_PT11_llS8_llS6_PT12_llPT13_lli.kd
    .uniform_work_group_size: 1
    .uses_dynamic_stack: false
    .vgpr_count:     49
    .vgpr_spill_count: 0
    .wavefront_size: 32
    .workgroup_processor_mode: 1
  - .args:
      - .offset:         0
        .size:           8
        .value_kind:     by_value
      - .offset:         8
        .size:           8
        .value_kind:     by_value
      - .offset:         16
        .size:           8
        .value_kind:     by_value
      - .offset:         24
        .size:           2
        .value_kind:     by_value
      - .address_space:  global
        .offset:         32
        .size:           8
        .value_kind:     global_buffer
      - .offset:         40
        .size:           8
        .value_kind:     by_value
      - .offset:         48
        .size:           8
        .value_kind:     by_value
      - .address_space:  global
        .offset:         56
        .size:           8
        .value_kind:     global_buffer
      - .offset:         64
        .size:           8
        .value_kind:     by_value
      - .offset:         72
        .size:           8
        .value_kind:     by_value
      - .offset:         80
        .size:           2
        .value_kind:     by_value
      - .address_space:  global
        .offset:         88
        .size:           8
        .value_kind:     global_buffer
      - .offset:         96
        .size:           8
        .value_kind:     by_value
      - .offset:         104
        .size:           8
        .value_kind:     by_value
      - .address_space:  global
        .offset:         112
        .size:           8
        .value_kind:     global_buffer
      - .offset:         120
        .size:           8
        .value_kind:     by_value
      - .offset:         128
        .size:           8
        .value_kind:     by_value
      - .offset:         136
        .size:           4
        .value_kind:     by_value
    .group_segment_fixed_size: 1024
    .kernarg_segment_align: 8
    .kernarg_segment_size: 140
    .language:       OpenCL C
    .language_version:
      - 2
      - 0
    .max_flat_workgroup_size: 256
    .name:           _ZN12_GLOBAL__N_127rocblas_gemm_batched_kernelIDF16_Li16ELi16ELi64ELi64ELi4ELi64ELi4ELi4ELi64ELc84ELc78EKPKDF16_S3_KPDF16_EEvlllT_PT11_llS8_llS6_PT12_llPT13_lli
    .private_segment_fixed_size: 0
    .sgpr_count:     38
    .sgpr_spill_count: 0
    .symbol:         _ZN12_GLOBAL__N_127rocblas_gemm_batched_kernelIDF16_Li16ELi16ELi64ELi64ELi4ELi64ELi4ELi4ELi64ELc84ELc78EKPKDF16_S3_KPDF16_EEvlllT_PT11_llS8_llS6_PT12_llPT13_lli.kd
    .uniform_work_group_size: 1
    .uses_dynamic_stack: false
    .vgpr_count:     49
    .vgpr_spill_count: 0
    .wavefront_size: 32
    .workgroup_processor_mode: 1
  - .args:
      - .offset:         0
        .size:           8
        .value_kind:     by_value
      - .offset:         8
        .size:           8
        .value_kind:     by_value
      - .offset:         16
        .size:           8
        .value_kind:     by_value
      - .offset:         24
        .size:           2
        .value_kind:     by_value
      - .address_space:  global
        .offset:         32
        .size:           8
        .value_kind:     global_buffer
      - .offset:         40
        .size:           8
        .value_kind:     by_value
      - .offset:         48
        .size:           8
        .value_kind:     by_value
      - .address_space:  global
        .offset:         56
        .size:           8
        .value_kind:     global_buffer
      - .offset:         64
        .size:           8
        .value_kind:     by_value
      - .offset:         72
        .size:           8
        .value_kind:     by_value
      - .offset:         80
        .size:           2
        .value_kind:     by_value
      - .address_space:  global
        .offset:         88
        .size:           8
        .value_kind:     global_buffer
      - .offset:         96
        .size:           8
        .value_kind:     by_value
      - .offset:         104
        .size:           8
        .value_kind:     by_value
      - .address_space:  global
        .offset:         112
        .size:           8
        .value_kind:     global_buffer
      - .offset:         120
        .size:           8
        .value_kind:     by_value
      - .offset:         128
        .size:           8
        .value_kind:     by_value
      - .offset:         136
        .size:           4
        .value_kind:     by_value
    .group_segment_fixed_size: 1024
    .kernarg_segment_align: 8
    .kernarg_segment_size: 140
    .language:       OpenCL C
    .language_version:
      - 2
      - 0
    .max_flat_workgroup_size: 256
    .name:           _ZN12_GLOBAL__N_127rocblas_gemm_batched_kernelIDF16_Li16ELi16ELi64ELi64ELi4ELi64ELi4ELi4ELi64ELc78ELc84EKPKDF16_S3_KPDF16_EEvlllT_PT11_llS8_llS6_PT12_llPT13_lli
    .private_segment_fixed_size: 0
    .sgpr_count:     41
    .sgpr_spill_count: 0
    .symbol:         _ZN12_GLOBAL__N_127rocblas_gemm_batched_kernelIDF16_Li16ELi16ELi64ELi64ELi4ELi64ELi4ELi4ELi64ELc78ELc84EKPKDF16_S3_KPDF16_EEvlllT_PT11_llS8_llS6_PT12_llPT13_lli.kd
    .uniform_work_group_size: 1
    .uses_dynamic_stack: false
    .vgpr_count:     49
    .vgpr_spill_count: 0
    .wavefront_size: 32
    .workgroup_processor_mode: 1
  - .args:
      - .offset:         0
        .size:           8
        .value_kind:     by_value
      - .offset:         8
        .size:           8
        .value_kind:     by_value
      - .offset:         16
        .size:           8
        .value_kind:     by_value
      - .offset:         24
        .size:           2
        .value_kind:     by_value
      - .address_space:  global
        .offset:         32
        .size:           8
        .value_kind:     global_buffer
      - .offset:         40
        .size:           8
        .value_kind:     by_value
      - .offset:         48
        .size:           8
        .value_kind:     by_value
      - .address_space:  global
        .offset:         56
        .size:           8
        .value_kind:     global_buffer
      - .offset:         64
        .size:           8
        .value_kind:     by_value
      - .offset:         72
        .size:           8
        .value_kind:     by_value
      - .offset:         80
        .size:           2
        .value_kind:     by_value
      - .address_space:  global
        .offset:         88
        .size:           8
        .value_kind:     global_buffer
      - .offset:         96
        .size:           8
        .value_kind:     by_value
      - .offset:         104
        .size:           8
        .value_kind:     by_value
      - .address_space:  global
        .offset:         112
        .size:           8
        .value_kind:     global_buffer
      - .offset:         120
        .size:           8
        .value_kind:     by_value
      - .offset:         128
        .size:           8
        .value_kind:     by_value
      - .offset:         136
        .size:           4
        .value_kind:     by_value
    .group_segment_fixed_size: 1024
    .kernarg_segment_align: 8
    .kernarg_segment_size: 140
    .language:       OpenCL C
    .language_version:
      - 2
      - 0
    .max_flat_workgroup_size: 256
    .name:           _ZN12_GLOBAL__N_127rocblas_gemm_batched_kernelIDF16_Li16ELi16ELi64ELi64ELi4ELi64ELi4ELi4ELi64ELc84ELc84EKPKDF16_S3_KPDF16_EEvlllT_PT11_llS8_llS6_PT12_llPT13_lli
    .private_segment_fixed_size: 0
    .sgpr_count:     40
    .sgpr_spill_count: 0
    .symbol:         _ZN12_GLOBAL__N_127rocblas_gemm_batched_kernelIDF16_Li16ELi16ELi64ELi64ELi4ELi64ELi4ELi4ELi64ELc84ELc84EKPKDF16_S3_KPDF16_EEvlllT_PT11_llS8_llS6_PT12_llPT13_lli.kd
    .uniform_work_group_size: 1
    .uses_dynamic_stack: false
    .vgpr_count:     49
    .vgpr_spill_count: 0
    .wavefront_size: 32
    .workgroup_processor_mode: 1
  - .args:
      - .offset:         0
        .size:           8
        .value_kind:     by_value
      - .offset:         8
        .size:           8
        .value_kind:     by_value
      - .offset:         16
        .size:           8
        .value_kind:     by_value
      - .offset:         24
        .size:           2
        .value_kind:     by_value
      - .address_space:  global
        .offset:         32
        .size:           8
        .value_kind:     global_buffer
      - .offset:         40
        .size:           8
        .value_kind:     by_value
      - .offset:         48
        .size:           8
        .value_kind:     by_value
      - .address_space:  global
        .offset:         56
        .size:           8
        .value_kind:     global_buffer
      - .offset:         64
        .size:           8
        .value_kind:     by_value
      - .offset:         72
        .size:           8
        .value_kind:     by_value
      - .offset:         80
        .size:           2
        .value_kind:     by_value
      - .address_space:  global
        .offset:         88
        .size:           8
        .value_kind:     global_buffer
      - .offset:         96
        .size:           8
        .value_kind:     by_value
      - .offset:         104
        .size:           8
        .value_kind:     by_value
      - .address_space:  global
        .offset:         112
        .size:           8
        .value_kind:     global_buffer
      - .offset:         120
        .size:           8
        .value_kind:     by_value
      - .offset:         128
        .size:           8
        .value_kind:     by_value
      - .offset:         136
        .size:           4
        .value_kind:     by_value
    .group_segment_fixed_size: 1024
    .kernarg_segment_align: 8
    .kernarg_segment_size: 140
    .language:       OpenCL C
    .language_version:
      - 2
      - 0
    .max_flat_workgroup_size: 256
    .name:           _ZN12_GLOBAL__N_127rocblas_gemm_batched_kernelIDF16_Li16ELi16ELi64ELi64ELi4ELi64ELi4ELi4ELi64ELc67ELc67EKPKDF16_S3_KPDF16_EEvlllT_PT11_llS8_llS6_PT12_llPT13_lli
    .private_segment_fixed_size: 0
    .sgpr_count:     40
    .sgpr_spill_count: 0
    .symbol:         _ZN12_GLOBAL__N_127rocblas_gemm_batched_kernelIDF16_Li16ELi16ELi64ELi64ELi4ELi64ELi4ELi4ELi64ELc67ELc67EKPKDF16_S3_KPDF16_EEvlllT_PT11_llS8_llS6_PT12_llPT13_lli.kd
    .uniform_work_group_size: 1
    .uses_dynamic_stack: false
    .vgpr_count:     49
    .vgpr_spill_count: 0
    .wavefront_size: 32
    .workgroup_processor_mode: 1
  - .args:
      - .offset:         0
        .size:           8
        .value_kind:     by_value
      - .offset:         8
        .size:           8
        .value_kind:     by_value
      - .offset:         16
        .size:           8
        .value_kind:     by_value
      - .offset:         24
        .size:           2
        .value_kind:     by_value
      - .address_space:  global
        .offset:         32
        .size:           8
        .value_kind:     global_buffer
      - .offset:         40
        .size:           8
        .value_kind:     by_value
      - .offset:         48
        .size:           8
        .value_kind:     by_value
      - .address_space:  global
        .offset:         56
        .size:           8
        .value_kind:     global_buffer
      - .offset:         64
        .size:           8
        .value_kind:     by_value
      - .offset:         72
        .size:           8
        .value_kind:     by_value
      - .offset:         80
        .size:           2
        .value_kind:     by_value
      - .address_space:  global
        .offset:         88
        .size:           8
        .value_kind:     global_buffer
      - .offset:         96
        .size:           8
        .value_kind:     by_value
      - .offset:         104
        .size:           8
        .value_kind:     by_value
      - .address_space:  global
        .offset:         112
        .size:           8
        .value_kind:     global_buffer
      - .offset:         120
        .size:           8
        .value_kind:     by_value
      - .offset:         128
        .size:           8
        .value_kind:     by_value
      - .offset:         136
        .size:           4
        .value_kind:     by_value
    .group_segment_fixed_size: 1024
    .kernarg_segment_align: 8
    .kernarg_segment_size: 140
    .language:       OpenCL C
    .language_version:
      - 2
      - 0
    .max_flat_workgroup_size: 256
    .name:           _ZN12_GLOBAL__N_127rocblas_gemm_batched_kernelIDF16_Li16ELi16ELi64ELi64ELi4ELi64ELi4ELi4ELi64ELc67ELc78EKPKDF16_S3_KPDF16_EEvlllT_PT11_llS8_llS6_PT12_llPT13_lli
    .private_segment_fixed_size: 0
    .sgpr_count:     38
    .sgpr_spill_count: 0
    .symbol:         _ZN12_GLOBAL__N_127rocblas_gemm_batched_kernelIDF16_Li16ELi16ELi64ELi64ELi4ELi64ELi4ELi4ELi64ELc67ELc78EKPKDF16_S3_KPDF16_EEvlllT_PT11_llS8_llS6_PT12_llPT13_lli.kd
    .uniform_work_group_size: 1
    .uses_dynamic_stack: false
    .vgpr_count:     49
    .vgpr_spill_count: 0
    .wavefront_size: 32
    .workgroup_processor_mode: 1
  - .args:
      - .offset:         0
        .size:           8
        .value_kind:     by_value
      - .offset:         8
        .size:           8
        .value_kind:     by_value
      - .offset:         16
        .size:           8
        .value_kind:     by_value
      - .offset:         24
        .size:           2
        .value_kind:     by_value
      - .address_space:  global
        .offset:         32
        .size:           8
        .value_kind:     global_buffer
      - .offset:         40
        .size:           8
        .value_kind:     by_value
      - .offset:         48
        .size:           8
        .value_kind:     by_value
      - .address_space:  global
        .offset:         56
        .size:           8
        .value_kind:     global_buffer
      - .offset:         64
        .size:           8
        .value_kind:     by_value
      - .offset:         72
        .size:           8
        .value_kind:     by_value
      - .offset:         80
        .size:           2
        .value_kind:     by_value
      - .address_space:  global
        .offset:         88
        .size:           8
        .value_kind:     global_buffer
      - .offset:         96
        .size:           8
        .value_kind:     by_value
      - .offset:         104
        .size:           8
        .value_kind:     by_value
      - .address_space:  global
        .offset:         112
        .size:           8
        .value_kind:     global_buffer
      - .offset:         120
        .size:           8
        .value_kind:     by_value
      - .offset:         128
        .size:           8
        .value_kind:     by_value
      - .offset:         136
        .size:           4
        .value_kind:     by_value
    .group_segment_fixed_size: 1024
    .kernarg_segment_align: 8
    .kernarg_segment_size: 140
    .language:       OpenCL C
    .language_version:
      - 2
      - 0
    .max_flat_workgroup_size: 256
    .name:           _ZN12_GLOBAL__N_127rocblas_gemm_batched_kernelIDF16_Li16ELi16ELi64ELi64ELi4ELi64ELi4ELi4ELi64ELc67ELc84EKPKDF16_S3_KPDF16_EEvlllT_PT11_llS8_llS6_PT12_llPT13_lli
    .private_segment_fixed_size: 0
    .sgpr_count:     40
    .sgpr_spill_count: 0
    .symbol:         _ZN12_GLOBAL__N_127rocblas_gemm_batched_kernelIDF16_Li16ELi16ELi64ELi64ELi4ELi64ELi4ELi4ELi64ELc67ELc84EKPKDF16_S3_KPDF16_EEvlllT_PT11_llS8_llS6_PT12_llPT13_lli.kd
    .uniform_work_group_size: 1
    .uses_dynamic_stack: false
    .vgpr_count:     49
    .vgpr_spill_count: 0
    .wavefront_size: 32
    .workgroup_processor_mode: 1
  - .args:
      - .offset:         0
        .size:           8
        .value_kind:     by_value
      - .offset:         8
        .size:           8
        .value_kind:     by_value
      - .offset:         16
        .size:           8
        .value_kind:     by_value
      - .offset:         24
        .size:           2
        .value_kind:     by_value
      - .address_space:  global
        .offset:         32
        .size:           8
        .value_kind:     global_buffer
      - .offset:         40
        .size:           8
        .value_kind:     by_value
      - .offset:         48
        .size:           8
        .value_kind:     by_value
      - .address_space:  global
        .offset:         56
        .size:           8
        .value_kind:     global_buffer
      - .offset:         64
        .size:           8
        .value_kind:     by_value
      - .offset:         72
        .size:           8
        .value_kind:     by_value
      - .offset:         80
        .size:           2
        .value_kind:     by_value
      - .address_space:  global
        .offset:         88
        .size:           8
        .value_kind:     global_buffer
      - .offset:         96
        .size:           8
        .value_kind:     by_value
      - .offset:         104
        .size:           8
        .value_kind:     by_value
      - .address_space:  global
        .offset:         112
        .size:           8
        .value_kind:     global_buffer
      - .offset:         120
        .size:           8
        .value_kind:     by_value
      - .offset:         128
        .size:           8
        .value_kind:     by_value
      - .offset:         136
        .size:           4
        .value_kind:     by_value
    .group_segment_fixed_size: 1024
    .kernarg_segment_align: 8
    .kernarg_segment_size: 140
    .language:       OpenCL C
    .language_version:
      - 2
      - 0
    .max_flat_workgroup_size: 256
    .name:           _ZN12_GLOBAL__N_127rocblas_gemm_batched_kernelIDF16_Li16ELi16ELi64ELi64ELi4ELi64ELi4ELi4ELi64ELc78ELc67EKPKDF16_S3_KPDF16_EEvlllT_PT11_llS8_llS6_PT12_llPT13_lli
    .private_segment_fixed_size: 0
    .sgpr_count:     41
    .sgpr_spill_count: 0
    .symbol:         _ZN12_GLOBAL__N_127rocblas_gemm_batched_kernelIDF16_Li16ELi16ELi64ELi64ELi4ELi64ELi4ELi4ELi64ELc78ELc67EKPKDF16_S3_KPDF16_EEvlllT_PT11_llS8_llS6_PT12_llPT13_lli.kd
    .uniform_work_group_size: 1
    .uses_dynamic_stack: false
    .vgpr_count:     49
    .vgpr_spill_count: 0
    .wavefront_size: 32
    .workgroup_processor_mode: 1
  - .args:
      - .offset:         0
        .size:           8
        .value_kind:     by_value
      - .offset:         8
        .size:           8
        .value_kind:     by_value
      - .offset:         16
        .size:           8
        .value_kind:     by_value
      - .offset:         24
        .size:           2
        .value_kind:     by_value
      - .address_space:  global
        .offset:         32
        .size:           8
        .value_kind:     global_buffer
      - .offset:         40
        .size:           8
        .value_kind:     by_value
      - .offset:         48
        .size:           8
        .value_kind:     by_value
      - .address_space:  global
        .offset:         56
        .size:           8
        .value_kind:     global_buffer
      - .offset:         64
        .size:           8
        .value_kind:     by_value
      - .offset:         72
        .size:           8
        .value_kind:     by_value
      - .offset:         80
        .size:           2
        .value_kind:     by_value
      - .address_space:  global
        .offset:         88
        .size:           8
        .value_kind:     global_buffer
      - .offset:         96
        .size:           8
        .value_kind:     by_value
      - .offset:         104
        .size:           8
        .value_kind:     by_value
      - .address_space:  global
        .offset:         112
        .size:           8
        .value_kind:     global_buffer
      - .offset:         120
        .size:           8
        .value_kind:     by_value
      - .offset:         128
        .size:           8
        .value_kind:     by_value
      - .offset:         136
        .size:           4
        .value_kind:     by_value
    .group_segment_fixed_size: 1024
    .kernarg_segment_align: 8
    .kernarg_segment_size: 140
    .language:       OpenCL C
    .language_version:
      - 2
      - 0
    .max_flat_workgroup_size: 256
    .name:           _ZN12_GLOBAL__N_127rocblas_gemm_batched_kernelIDF16_Li16ELi16ELi64ELi64ELi4ELi64ELi4ELi4ELi64ELc84ELc67EKPKDF16_S3_KPDF16_EEvlllT_PT11_llS8_llS6_PT12_llPT13_lli
    .private_segment_fixed_size: 0
    .sgpr_count:     40
    .sgpr_spill_count: 0
    .symbol:         _ZN12_GLOBAL__N_127rocblas_gemm_batched_kernelIDF16_Li16ELi16ELi64ELi64ELi4ELi64ELi4ELi4ELi64ELc84ELc67EKPKDF16_S3_KPDF16_EEvlllT_PT11_llS8_llS6_PT12_llPT13_lli.kd
    .uniform_work_group_size: 1
    .uses_dynamic_stack: false
    .vgpr_count:     49
    .vgpr_spill_count: 0
    .wavefront_size: 32
    .workgroup_processor_mode: 1
  - .args:
      - .offset:         0
        .size:           8
        .value_kind:     by_value
      - .offset:         8
        .size:           8
        .value_kind:     by_value
      - .offset:         16
        .size:           8
        .value_kind:     by_value
      - .offset:         24
        .size:           2
        .value_kind:     by_value
      - .address_space:  global
        .offset:         32
        .size:           8
        .value_kind:     global_buffer
      - .offset:         40
        .size:           8
        .value_kind:     by_value
      - .offset:         48
        .size:           8
        .value_kind:     by_value
      - .address_space:  global
        .offset:         56
        .size:           8
        .value_kind:     global_buffer
      - .offset:         64
        .size:           8
        .value_kind:     by_value
      - .offset:         72
        .size:           8
        .value_kind:     by_value
      - .offset:         80
        .size:           2
        .value_kind:     by_value
      - .address_space:  global
        .offset:         88
        .size:           8
        .value_kind:     global_buffer
      - .offset:         96
        .size:           8
        .value_kind:     by_value
      - .offset:         104
        .size:           8
        .value_kind:     by_value
      - .address_space:  global
        .offset:         112
        .size:           8
        .value_kind:     global_buffer
      - .offset:         120
        .size:           8
        .value_kind:     by_value
      - .offset:         128
        .size:           8
        .value_kind:     by_value
      - .offset:         136
        .size:           4
        .value_kind:     by_value
    .group_segment_fixed_size: 1024
    .kernarg_segment_align: 8
    .kernarg_segment_size: 140
    .language:       OpenCL C
    .language_version:
      - 2
      - 0
    .max_flat_workgroup_size: 256
    .name:           _ZN12_GLOBAL__N_127rocblas_gemm_batched_kernelIDF16_Li16ELi16ELi32ELi32ELi8ELi32ELi8ELi8ELi32ELc78ELc78EKPKDF16_S3_KPDF16_EEvlllT_PT11_llS8_llS6_PT12_llPT13_lli
    .private_segment_fixed_size: 0
    .sgpr_count:     38
    .sgpr_spill_count: 0
    .symbol:         _ZN12_GLOBAL__N_127rocblas_gemm_batched_kernelIDF16_Li16ELi16ELi32ELi32ELi8ELi32ELi8ELi8ELi32ELc78ELc78EKPKDF16_S3_KPDF16_EEvlllT_PT11_llS8_llS6_PT12_llPT13_lli.kd
    .uniform_work_group_size: 1
    .uses_dynamic_stack: false
    .vgpr_count:     41
    .vgpr_spill_count: 0
    .wavefront_size: 32
    .workgroup_processor_mode: 1
  - .args:
      - .offset:         0
        .size:           8
        .value_kind:     by_value
      - .offset:         8
        .size:           8
        .value_kind:     by_value
      - .offset:         16
        .size:           8
        .value_kind:     by_value
      - .offset:         24
        .size:           2
        .value_kind:     by_value
      - .address_space:  global
        .offset:         32
        .size:           8
        .value_kind:     global_buffer
      - .offset:         40
        .size:           8
        .value_kind:     by_value
      - .offset:         48
        .size:           8
        .value_kind:     by_value
      - .address_space:  global
        .offset:         56
        .size:           8
        .value_kind:     global_buffer
      - .offset:         64
        .size:           8
        .value_kind:     by_value
      - .offset:         72
        .size:           8
        .value_kind:     by_value
      - .offset:         80
        .size:           2
        .value_kind:     by_value
      - .address_space:  global
        .offset:         88
        .size:           8
        .value_kind:     global_buffer
      - .offset:         96
        .size:           8
        .value_kind:     by_value
      - .offset:         104
        .size:           8
        .value_kind:     by_value
      - .address_space:  global
        .offset:         112
        .size:           8
        .value_kind:     global_buffer
      - .offset:         120
        .size:           8
        .value_kind:     by_value
      - .offset:         128
        .size:           8
        .value_kind:     by_value
      - .offset:         136
        .size:           4
        .value_kind:     by_value
    .group_segment_fixed_size: 1024
    .kernarg_segment_align: 8
    .kernarg_segment_size: 140
    .language:       OpenCL C
    .language_version:
      - 2
      - 0
    .max_flat_workgroup_size: 256
    .name:           _ZN12_GLOBAL__N_127rocblas_gemm_batched_kernelIDF16_Li16ELi16ELi32ELi32ELi8ELi32ELi8ELi8ELi32ELc84ELc78EKPKDF16_S3_KPDF16_EEvlllT_PT11_llS8_llS6_PT12_llPT13_lli
    .private_segment_fixed_size: 0
    .sgpr_count:     38
    .sgpr_spill_count: 0
    .symbol:         _ZN12_GLOBAL__N_127rocblas_gemm_batched_kernelIDF16_Li16ELi16ELi32ELi32ELi8ELi32ELi8ELi8ELi32ELc84ELc78EKPKDF16_S3_KPDF16_EEvlllT_PT11_llS8_llS6_PT12_llPT13_lli.kd
    .uniform_work_group_size: 1
    .uses_dynamic_stack: false
    .vgpr_count:     41
    .vgpr_spill_count: 0
    .wavefront_size: 32
    .workgroup_processor_mode: 1
  - .args:
      - .offset:         0
        .size:           8
        .value_kind:     by_value
      - .offset:         8
        .size:           8
        .value_kind:     by_value
      - .offset:         16
        .size:           8
        .value_kind:     by_value
      - .offset:         24
        .size:           2
        .value_kind:     by_value
      - .address_space:  global
        .offset:         32
        .size:           8
        .value_kind:     global_buffer
      - .offset:         40
        .size:           8
        .value_kind:     by_value
      - .offset:         48
        .size:           8
        .value_kind:     by_value
      - .address_space:  global
        .offset:         56
        .size:           8
        .value_kind:     global_buffer
      - .offset:         64
        .size:           8
        .value_kind:     by_value
      - .offset:         72
        .size:           8
        .value_kind:     by_value
      - .offset:         80
        .size:           2
        .value_kind:     by_value
      - .address_space:  global
        .offset:         88
        .size:           8
        .value_kind:     global_buffer
      - .offset:         96
        .size:           8
        .value_kind:     by_value
      - .offset:         104
        .size:           8
        .value_kind:     by_value
      - .address_space:  global
        .offset:         112
        .size:           8
        .value_kind:     global_buffer
      - .offset:         120
        .size:           8
        .value_kind:     by_value
      - .offset:         128
        .size:           8
        .value_kind:     by_value
      - .offset:         136
        .size:           4
        .value_kind:     by_value
    .group_segment_fixed_size: 1024
    .kernarg_segment_align: 8
    .kernarg_segment_size: 140
    .language:       OpenCL C
    .language_version:
      - 2
      - 0
    .max_flat_workgroup_size: 256
    .name:           _ZN12_GLOBAL__N_127rocblas_gemm_batched_kernelIDF16_Li16ELi16ELi32ELi32ELi8ELi32ELi8ELi8ELi32ELc78ELc84EKPKDF16_S3_KPDF16_EEvlllT_PT11_llS8_llS6_PT12_llPT13_lli
    .private_segment_fixed_size: 0
    .sgpr_count:     40
    .sgpr_spill_count: 0
    .symbol:         _ZN12_GLOBAL__N_127rocblas_gemm_batched_kernelIDF16_Li16ELi16ELi32ELi32ELi8ELi32ELi8ELi8ELi32ELc78ELc84EKPKDF16_S3_KPDF16_EEvlllT_PT11_llS8_llS6_PT12_llPT13_lli.kd
    .uniform_work_group_size: 1
    .uses_dynamic_stack: false
    .vgpr_count:     41
    .vgpr_spill_count: 0
    .wavefront_size: 32
    .workgroup_processor_mode: 1
  - .args:
      - .offset:         0
        .size:           8
        .value_kind:     by_value
      - .offset:         8
        .size:           8
        .value_kind:     by_value
      - .offset:         16
        .size:           8
        .value_kind:     by_value
      - .offset:         24
        .size:           2
        .value_kind:     by_value
      - .address_space:  global
        .offset:         32
        .size:           8
        .value_kind:     global_buffer
      - .offset:         40
        .size:           8
        .value_kind:     by_value
      - .offset:         48
        .size:           8
        .value_kind:     by_value
      - .address_space:  global
        .offset:         56
        .size:           8
        .value_kind:     global_buffer
      - .offset:         64
        .size:           8
        .value_kind:     by_value
      - .offset:         72
        .size:           8
        .value_kind:     by_value
      - .offset:         80
        .size:           2
        .value_kind:     by_value
      - .address_space:  global
        .offset:         88
        .size:           8
        .value_kind:     global_buffer
      - .offset:         96
        .size:           8
        .value_kind:     by_value
      - .offset:         104
        .size:           8
        .value_kind:     by_value
      - .address_space:  global
        .offset:         112
        .size:           8
        .value_kind:     global_buffer
      - .offset:         120
        .size:           8
        .value_kind:     by_value
      - .offset:         128
        .size:           8
        .value_kind:     by_value
      - .offset:         136
        .size:           4
        .value_kind:     by_value
    .group_segment_fixed_size: 1024
    .kernarg_segment_align: 8
    .kernarg_segment_size: 140
    .language:       OpenCL C
    .language_version:
      - 2
      - 0
    .max_flat_workgroup_size: 256
    .name:           _ZN12_GLOBAL__N_127rocblas_gemm_batched_kernelIDF16_Li16ELi16ELi32ELi32ELi8ELi32ELi8ELi8ELi32ELc84ELc84EKPKDF16_S3_KPDF16_EEvlllT_PT11_llS8_llS6_PT12_llPT13_lli
    .private_segment_fixed_size: 0
    .sgpr_count:     40
    .sgpr_spill_count: 0
    .symbol:         _ZN12_GLOBAL__N_127rocblas_gemm_batched_kernelIDF16_Li16ELi16ELi32ELi32ELi8ELi32ELi8ELi8ELi32ELc84ELc84EKPKDF16_S3_KPDF16_EEvlllT_PT11_llS8_llS6_PT12_llPT13_lli.kd
    .uniform_work_group_size: 1
    .uses_dynamic_stack: false
    .vgpr_count:     41
    .vgpr_spill_count: 0
    .wavefront_size: 32
    .workgroup_processor_mode: 1
  - .args:
      - .offset:         0
        .size:           8
        .value_kind:     by_value
      - .offset:         8
        .size:           8
        .value_kind:     by_value
      - .offset:         16
        .size:           8
        .value_kind:     by_value
      - .offset:         24
        .size:           2
        .value_kind:     by_value
      - .address_space:  global
        .offset:         32
        .size:           8
        .value_kind:     global_buffer
      - .offset:         40
        .size:           8
        .value_kind:     by_value
      - .offset:         48
        .size:           8
        .value_kind:     by_value
      - .address_space:  global
        .offset:         56
        .size:           8
        .value_kind:     global_buffer
      - .offset:         64
        .size:           8
        .value_kind:     by_value
      - .offset:         72
        .size:           8
        .value_kind:     by_value
      - .offset:         80
        .size:           2
        .value_kind:     by_value
      - .address_space:  global
        .offset:         88
        .size:           8
        .value_kind:     global_buffer
      - .offset:         96
        .size:           8
        .value_kind:     by_value
      - .offset:         104
        .size:           8
        .value_kind:     by_value
      - .address_space:  global
        .offset:         112
        .size:           8
        .value_kind:     global_buffer
      - .offset:         120
        .size:           8
        .value_kind:     by_value
      - .offset:         128
        .size:           8
        .value_kind:     by_value
      - .offset:         136
        .size:           4
        .value_kind:     by_value
    .group_segment_fixed_size: 1024
    .kernarg_segment_align: 8
    .kernarg_segment_size: 140
    .language:       OpenCL C
    .language_version:
      - 2
      - 0
    .max_flat_workgroup_size: 256
    .name:           _ZN12_GLOBAL__N_127rocblas_gemm_batched_kernelIDF16_Li16ELi16ELi32ELi32ELi8ELi32ELi8ELi8ELi32ELc67ELc67EKPKDF16_S3_KPDF16_EEvlllT_PT11_llS8_llS6_PT12_llPT13_lli
    .private_segment_fixed_size: 0
    .sgpr_count:     40
    .sgpr_spill_count: 0
    .symbol:         _ZN12_GLOBAL__N_127rocblas_gemm_batched_kernelIDF16_Li16ELi16ELi32ELi32ELi8ELi32ELi8ELi8ELi32ELc67ELc67EKPKDF16_S3_KPDF16_EEvlllT_PT11_llS8_llS6_PT12_llPT13_lli.kd
    .uniform_work_group_size: 1
    .uses_dynamic_stack: false
    .vgpr_count:     41
    .vgpr_spill_count: 0
    .wavefront_size: 32
    .workgroup_processor_mode: 1
  - .args:
      - .offset:         0
        .size:           8
        .value_kind:     by_value
      - .offset:         8
        .size:           8
        .value_kind:     by_value
      - .offset:         16
        .size:           8
        .value_kind:     by_value
      - .offset:         24
        .size:           2
        .value_kind:     by_value
      - .address_space:  global
        .offset:         32
        .size:           8
        .value_kind:     global_buffer
      - .offset:         40
        .size:           8
        .value_kind:     by_value
      - .offset:         48
        .size:           8
        .value_kind:     by_value
      - .address_space:  global
        .offset:         56
        .size:           8
        .value_kind:     global_buffer
      - .offset:         64
        .size:           8
        .value_kind:     by_value
      - .offset:         72
        .size:           8
        .value_kind:     by_value
      - .offset:         80
        .size:           2
        .value_kind:     by_value
      - .address_space:  global
        .offset:         88
        .size:           8
        .value_kind:     global_buffer
      - .offset:         96
        .size:           8
        .value_kind:     by_value
      - .offset:         104
        .size:           8
        .value_kind:     by_value
      - .address_space:  global
        .offset:         112
        .size:           8
        .value_kind:     global_buffer
      - .offset:         120
        .size:           8
        .value_kind:     by_value
      - .offset:         128
        .size:           8
        .value_kind:     by_value
      - .offset:         136
        .size:           4
        .value_kind:     by_value
    .group_segment_fixed_size: 1024
    .kernarg_segment_align: 8
    .kernarg_segment_size: 140
    .language:       OpenCL C
    .language_version:
      - 2
      - 0
    .max_flat_workgroup_size: 256
    .name:           _ZN12_GLOBAL__N_127rocblas_gemm_batched_kernelIDF16_Li16ELi16ELi32ELi32ELi8ELi32ELi8ELi8ELi32ELc67ELc78EKPKDF16_S3_KPDF16_EEvlllT_PT11_llS8_llS6_PT12_llPT13_lli
    .private_segment_fixed_size: 0
    .sgpr_count:     38
    .sgpr_spill_count: 0
    .symbol:         _ZN12_GLOBAL__N_127rocblas_gemm_batched_kernelIDF16_Li16ELi16ELi32ELi32ELi8ELi32ELi8ELi8ELi32ELc67ELc78EKPKDF16_S3_KPDF16_EEvlllT_PT11_llS8_llS6_PT12_llPT13_lli.kd
    .uniform_work_group_size: 1
    .uses_dynamic_stack: false
    .vgpr_count:     41
    .vgpr_spill_count: 0
    .wavefront_size: 32
    .workgroup_processor_mode: 1
  - .args:
      - .offset:         0
        .size:           8
        .value_kind:     by_value
      - .offset:         8
        .size:           8
        .value_kind:     by_value
      - .offset:         16
        .size:           8
        .value_kind:     by_value
      - .offset:         24
        .size:           2
        .value_kind:     by_value
      - .address_space:  global
        .offset:         32
        .size:           8
        .value_kind:     global_buffer
      - .offset:         40
        .size:           8
        .value_kind:     by_value
      - .offset:         48
        .size:           8
        .value_kind:     by_value
      - .address_space:  global
        .offset:         56
        .size:           8
        .value_kind:     global_buffer
      - .offset:         64
        .size:           8
        .value_kind:     by_value
      - .offset:         72
        .size:           8
        .value_kind:     by_value
      - .offset:         80
        .size:           2
        .value_kind:     by_value
      - .address_space:  global
        .offset:         88
        .size:           8
        .value_kind:     global_buffer
      - .offset:         96
        .size:           8
        .value_kind:     by_value
      - .offset:         104
        .size:           8
        .value_kind:     by_value
      - .address_space:  global
        .offset:         112
        .size:           8
        .value_kind:     global_buffer
      - .offset:         120
        .size:           8
        .value_kind:     by_value
      - .offset:         128
        .size:           8
        .value_kind:     by_value
      - .offset:         136
        .size:           4
        .value_kind:     by_value
    .group_segment_fixed_size: 1024
    .kernarg_segment_align: 8
    .kernarg_segment_size: 140
    .language:       OpenCL C
    .language_version:
      - 2
      - 0
    .max_flat_workgroup_size: 256
    .name:           _ZN12_GLOBAL__N_127rocblas_gemm_batched_kernelIDF16_Li16ELi16ELi32ELi32ELi8ELi32ELi8ELi8ELi32ELc67ELc84EKPKDF16_S3_KPDF16_EEvlllT_PT11_llS8_llS6_PT12_llPT13_lli
    .private_segment_fixed_size: 0
    .sgpr_count:     40
    .sgpr_spill_count: 0
    .symbol:         _ZN12_GLOBAL__N_127rocblas_gemm_batched_kernelIDF16_Li16ELi16ELi32ELi32ELi8ELi32ELi8ELi8ELi32ELc67ELc84EKPKDF16_S3_KPDF16_EEvlllT_PT11_llS8_llS6_PT12_llPT13_lli.kd
    .uniform_work_group_size: 1
    .uses_dynamic_stack: false
    .vgpr_count:     41
    .vgpr_spill_count: 0
    .wavefront_size: 32
    .workgroup_processor_mode: 1
  - .args:
      - .offset:         0
        .size:           8
        .value_kind:     by_value
      - .offset:         8
        .size:           8
        .value_kind:     by_value
      - .offset:         16
        .size:           8
        .value_kind:     by_value
      - .offset:         24
        .size:           2
        .value_kind:     by_value
      - .address_space:  global
        .offset:         32
        .size:           8
        .value_kind:     global_buffer
      - .offset:         40
        .size:           8
        .value_kind:     by_value
      - .offset:         48
        .size:           8
        .value_kind:     by_value
      - .address_space:  global
        .offset:         56
        .size:           8
        .value_kind:     global_buffer
      - .offset:         64
        .size:           8
        .value_kind:     by_value
      - .offset:         72
        .size:           8
        .value_kind:     by_value
      - .offset:         80
        .size:           2
        .value_kind:     by_value
      - .address_space:  global
        .offset:         88
        .size:           8
        .value_kind:     global_buffer
      - .offset:         96
        .size:           8
        .value_kind:     by_value
      - .offset:         104
        .size:           8
        .value_kind:     by_value
      - .address_space:  global
        .offset:         112
        .size:           8
        .value_kind:     global_buffer
      - .offset:         120
        .size:           8
        .value_kind:     by_value
      - .offset:         128
        .size:           8
        .value_kind:     by_value
      - .offset:         136
        .size:           4
        .value_kind:     by_value
    .group_segment_fixed_size: 1024
    .kernarg_segment_align: 8
    .kernarg_segment_size: 140
    .language:       OpenCL C
    .language_version:
      - 2
      - 0
    .max_flat_workgroup_size: 256
    .name:           _ZN12_GLOBAL__N_127rocblas_gemm_batched_kernelIDF16_Li16ELi16ELi32ELi32ELi8ELi32ELi8ELi8ELi32ELc78ELc67EKPKDF16_S3_KPDF16_EEvlllT_PT11_llS8_llS6_PT12_llPT13_lli
    .private_segment_fixed_size: 0
    .sgpr_count:     40
    .sgpr_spill_count: 0
    .symbol:         _ZN12_GLOBAL__N_127rocblas_gemm_batched_kernelIDF16_Li16ELi16ELi32ELi32ELi8ELi32ELi8ELi8ELi32ELc78ELc67EKPKDF16_S3_KPDF16_EEvlllT_PT11_llS8_llS6_PT12_llPT13_lli.kd
    .uniform_work_group_size: 1
    .uses_dynamic_stack: false
    .vgpr_count:     41
    .vgpr_spill_count: 0
    .wavefront_size: 32
    .workgroup_processor_mode: 1
  - .args:
      - .offset:         0
        .size:           8
        .value_kind:     by_value
      - .offset:         8
        .size:           8
        .value_kind:     by_value
      - .offset:         16
        .size:           8
        .value_kind:     by_value
      - .offset:         24
        .size:           2
        .value_kind:     by_value
      - .address_space:  global
        .offset:         32
        .size:           8
        .value_kind:     global_buffer
      - .offset:         40
        .size:           8
        .value_kind:     by_value
      - .offset:         48
        .size:           8
        .value_kind:     by_value
      - .address_space:  global
        .offset:         56
        .size:           8
        .value_kind:     global_buffer
      - .offset:         64
        .size:           8
        .value_kind:     by_value
      - .offset:         72
        .size:           8
        .value_kind:     by_value
      - .offset:         80
        .size:           2
        .value_kind:     by_value
      - .address_space:  global
        .offset:         88
        .size:           8
        .value_kind:     global_buffer
      - .offset:         96
        .size:           8
        .value_kind:     by_value
      - .offset:         104
        .size:           8
        .value_kind:     by_value
      - .address_space:  global
        .offset:         112
        .size:           8
        .value_kind:     global_buffer
      - .offset:         120
        .size:           8
        .value_kind:     by_value
      - .offset:         128
        .size:           8
        .value_kind:     by_value
      - .offset:         136
        .size:           4
        .value_kind:     by_value
    .group_segment_fixed_size: 1024
    .kernarg_segment_align: 8
    .kernarg_segment_size: 140
    .language:       OpenCL C
    .language_version:
      - 2
      - 0
    .max_flat_workgroup_size: 256
    .name:           _ZN12_GLOBAL__N_127rocblas_gemm_batched_kernelIDF16_Li16ELi16ELi32ELi32ELi8ELi32ELi8ELi8ELi32ELc84ELc67EKPKDF16_S3_KPDF16_EEvlllT_PT11_llS8_llS6_PT12_llPT13_lli
    .private_segment_fixed_size: 0
    .sgpr_count:     40
    .sgpr_spill_count: 0
    .symbol:         _ZN12_GLOBAL__N_127rocblas_gemm_batched_kernelIDF16_Li16ELi16ELi32ELi32ELi8ELi32ELi8ELi8ELi32ELc84ELc67EKPKDF16_S3_KPDF16_EEvlllT_PT11_llS8_llS6_PT12_llPT13_lli.kd
    .uniform_work_group_size: 1
    .uses_dynamic_stack: false
    .vgpr_count:     41
    .vgpr_spill_count: 0
    .wavefront_size: 32
    .workgroup_processor_mode: 1
  - .args:
      - .offset:         0
        .size:           8
        .value_kind:     by_value
      - .offset:         8
        .size:           8
        .value_kind:     by_value
      - .offset:         16
        .size:           8
        .value_kind:     by_value
      - .offset:         24
        .size:           2
        .value_kind:     by_value
      - .address_space:  global
        .offset:         32
        .size:           8
        .value_kind:     global_buffer
      - .offset:         40
        .size:           8
        .value_kind:     by_value
      - .offset:         48
        .size:           8
        .value_kind:     by_value
      - .address_space:  global
        .offset:         56
        .size:           8
        .value_kind:     global_buffer
      - .offset:         64
        .size:           8
        .value_kind:     by_value
      - .offset:         72
        .size:           8
        .value_kind:     by_value
      - .offset:         80
        .size:           2
        .value_kind:     by_value
      - .address_space:  global
        .offset:         88
        .size:           8
        .value_kind:     global_buffer
      - .offset:         96
        .size:           8
        .value_kind:     by_value
      - .offset:         104
        .size:           8
        .value_kind:     by_value
      - .address_space:  global
        .offset:         112
        .size:           8
        .value_kind:     global_buffer
      - .offset:         120
        .size:           8
        .value_kind:     by_value
      - .offset:         128
        .size:           8
        .value_kind:     by_value
      - .offset:         136
        .size:           4
        .value_kind:     by_value
    .group_segment_fixed_size: 1024
    .kernarg_segment_align: 8
    .kernarg_segment_size: 140
    .language:       OpenCL C
    .language_version:
      - 2
      - 0
    .max_flat_workgroup_size: 256
    .name:           _ZN12_GLOBAL__N_135rocblas_gemm_batched_general_kernelIDF16_Li16ELi16ELi32ELi32ELi8ELi32ELi8ELi8ELi32ELc78ELc78EKPKDF16_S3_KPDF16_EEvlllT_PT11_llS8_llS6_PT12_llPT13_lli
    .private_segment_fixed_size: 0
    .sgpr_count:     45
    .sgpr_spill_count: 0
    .symbol:         _ZN12_GLOBAL__N_135rocblas_gemm_batched_general_kernelIDF16_Li16ELi16ELi32ELi32ELi8ELi32ELi8ELi8ELi32ELc78ELc78EKPKDF16_S3_KPDF16_EEvlllT_PT11_llS8_llS6_PT12_llPT13_lli.kd
    .uniform_work_group_size: 1
    .uses_dynamic_stack: false
    .vgpr_count:     43
    .vgpr_spill_count: 0
    .wavefront_size: 32
    .workgroup_processor_mode: 1
  - .args:
      - .offset:         0
        .size:           8
        .value_kind:     by_value
      - .offset:         8
        .size:           8
        .value_kind:     by_value
      - .offset:         16
        .size:           8
        .value_kind:     by_value
      - .offset:         24
        .size:           2
        .value_kind:     by_value
      - .address_space:  global
        .offset:         32
        .size:           8
        .value_kind:     global_buffer
      - .offset:         40
        .size:           8
        .value_kind:     by_value
      - .offset:         48
        .size:           8
        .value_kind:     by_value
      - .address_space:  global
        .offset:         56
        .size:           8
        .value_kind:     global_buffer
      - .offset:         64
        .size:           8
        .value_kind:     by_value
      - .offset:         72
        .size:           8
        .value_kind:     by_value
      - .offset:         80
        .size:           2
        .value_kind:     by_value
      - .address_space:  global
        .offset:         88
        .size:           8
        .value_kind:     global_buffer
      - .offset:         96
        .size:           8
        .value_kind:     by_value
      - .offset:         104
        .size:           8
        .value_kind:     by_value
      - .address_space:  global
        .offset:         112
        .size:           8
        .value_kind:     global_buffer
      - .offset:         120
        .size:           8
        .value_kind:     by_value
      - .offset:         128
        .size:           8
        .value_kind:     by_value
      - .offset:         136
        .size:           4
        .value_kind:     by_value
    .group_segment_fixed_size: 1024
    .kernarg_segment_align: 8
    .kernarg_segment_size: 140
    .language:       OpenCL C
    .language_version:
      - 2
      - 0
    .max_flat_workgroup_size: 256
    .name:           _ZN12_GLOBAL__N_135rocblas_gemm_batched_general_kernelIDF16_Li16ELi16ELi32ELi32ELi8ELi32ELi8ELi8ELi32ELc84ELc78EKPKDF16_S3_KPDF16_EEvlllT_PT11_llS8_llS6_PT12_llPT13_lli
    .private_segment_fixed_size: 0
    .sgpr_count:     44
    .sgpr_spill_count: 0
    .symbol:         _ZN12_GLOBAL__N_135rocblas_gemm_batched_general_kernelIDF16_Li16ELi16ELi32ELi32ELi8ELi32ELi8ELi8ELi32ELc84ELc78EKPKDF16_S3_KPDF16_EEvlllT_PT11_llS8_llS6_PT12_llPT13_lli.kd
    .uniform_work_group_size: 1
    .uses_dynamic_stack: false
    .vgpr_count:     43
    .vgpr_spill_count: 0
    .wavefront_size: 32
    .workgroup_processor_mode: 1
  - .args:
      - .offset:         0
        .size:           8
        .value_kind:     by_value
      - .offset:         8
        .size:           8
        .value_kind:     by_value
      - .offset:         16
        .size:           8
        .value_kind:     by_value
      - .offset:         24
        .size:           2
        .value_kind:     by_value
      - .address_space:  global
        .offset:         32
        .size:           8
        .value_kind:     global_buffer
      - .offset:         40
        .size:           8
        .value_kind:     by_value
      - .offset:         48
        .size:           8
        .value_kind:     by_value
      - .address_space:  global
        .offset:         56
        .size:           8
        .value_kind:     global_buffer
      - .offset:         64
        .size:           8
        .value_kind:     by_value
      - .offset:         72
        .size:           8
        .value_kind:     by_value
      - .offset:         80
        .size:           2
        .value_kind:     by_value
      - .address_space:  global
        .offset:         88
        .size:           8
        .value_kind:     global_buffer
      - .offset:         96
        .size:           8
        .value_kind:     by_value
      - .offset:         104
        .size:           8
        .value_kind:     by_value
      - .address_space:  global
        .offset:         112
        .size:           8
        .value_kind:     global_buffer
      - .offset:         120
        .size:           8
        .value_kind:     by_value
      - .offset:         128
        .size:           8
        .value_kind:     by_value
      - .offset:         136
        .size:           4
        .value_kind:     by_value
    .group_segment_fixed_size: 1024
    .kernarg_segment_align: 8
    .kernarg_segment_size: 140
    .language:       OpenCL C
    .language_version:
      - 2
      - 0
    .max_flat_workgroup_size: 256
    .name:           _ZN12_GLOBAL__N_135rocblas_gemm_batched_general_kernelIDF16_Li16ELi16ELi32ELi32ELi8ELi32ELi8ELi8ELi32ELc78ELc84EKPKDF16_S3_KPDF16_EEvlllT_PT11_llS8_llS6_PT12_llPT13_lli
    .private_segment_fixed_size: 0
    .sgpr_count:     48
    .sgpr_spill_count: 0
    .symbol:         _ZN12_GLOBAL__N_135rocblas_gemm_batched_general_kernelIDF16_Li16ELi16ELi32ELi32ELi8ELi32ELi8ELi8ELi32ELc78ELc84EKPKDF16_S3_KPDF16_EEvlllT_PT11_llS8_llS6_PT12_llPT13_lli.kd
    .uniform_work_group_size: 1
    .uses_dynamic_stack: false
    .vgpr_count:     43
    .vgpr_spill_count: 0
    .wavefront_size: 32
    .workgroup_processor_mode: 1
  - .args:
      - .offset:         0
        .size:           8
        .value_kind:     by_value
      - .offset:         8
        .size:           8
        .value_kind:     by_value
      - .offset:         16
        .size:           8
        .value_kind:     by_value
      - .offset:         24
        .size:           2
        .value_kind:     by_value
      - .address_space:  global
        .offset:         32
        .size:           8
        .value_kind:     global_buffer
      - .offset:         40
        .size:           8
        .value_kind:     by_value
      - .offset:         48
        .size:           8
        .value_kind:     by_value
      - .address_space:  global
        .offset:         56
        .size:           8
        .value_kind:     global_buffer
      - .offset:         64
        .size:           8
        .value_kind:     by_value
      - .offset:         72
        .size:           8
        .value_kind:     by_value
      - .offset:         80
        .size:           2
        .value_kind:     by_value
      - .address_space:  global
        .offset:         88
        .size:           8
        .value_kind:     global_buffer
      - .offset:         96
        .size:           8
        .value_kind:     by_value
      - .offset:         104
        .size:           8
        .value_kind:     by_value
      - .address_space:  global
        .offset:         112
        .size:           8
        .value_kind:     global_buffer
      - .offset:         120
        .size:           8
        .value_kind:     by_value
      - .offset:         128
        .size:           8
        .value_kind:     by_value
      - .offset:         136
        .size:           4
        .value_kind:     by_value
    .group_segment_fixed_size: 1024
    .kernarg_segment_align: 8
    .kernarg_segment_size: 140
    .language:       OpenCL C
    .language_version:
      - 2
      - 0
    .max_flat_workgroup_size: 256
    .name:           _ZN12_GLOBAL__N_135rocblas_gemm_batched_general_kernelIDF16_Li16ELi16ELi32ELi32ELi8ELi32ELi8ELi8ELi32ELc84ELc84EKPKDF16_S3_KPDF16_EEvlllT_PT11_llS8_llS6_PT12_llPT13_lli
    .private_segment_fixed_size: 0
    .sgpr_count:     46
    .sgpr_spill_count: 0
    .symbol:         _ZN12_GLOBAL__N_135rocblas_gemm_batched_general_kernelIDF16_Li16ELi16ELi32ELi32ELi8ELi32ELi8ELi8ELi32ELc84ELc84EKPKDF16_S3_KPDF16_EEvlllT_PT11_llS8_llS6_PT12_llPT13_lli.kd
    .uniform_work_group_size: 1
    .uses_dynamic_stack: false
    .vgpr_count:     43
    .vgpr_spill_count: 0
    .wavefront_size: 32
    .workgroup_processor_mode: 1
  - .args:
      - .offset:         0
        .size:           8
        .value_kind:     by_value
      - .offset:         8
        .size:           8
        .value_kind:     by_value
      - .offset:         16
        .size:           8
        .value_kind:     by_value
      - .offset:         24
        .size:           2
        .value_kind:     by_value
      - .address_space:  global
        .offset:         32
        .size:           8
        .value_kind:     global_buffer
      - .offset:         40
        .size:           8
        .value_kind:     by_value
      - .offset:         48
        .size:           8
        .value_kind:     by_value
      - .address_space:  global
        .offset:         56
        .size:           8
        .value_kind:     global_buffer
      - .offset:         64
        .size:           8
        .value_kind:     by_value
      - .offset:         72
        .size:           8
        .value_kind:     by_value
      - .offset:         80
        .size:           2
        .value_kind:     by_value
      - .address_space:  global
        .offset:         88
        .size:           8
        .value_kind:     global_buffer
      - .offset:         96
        .size:           8
        .value_kind:     by_value
      - .offset:         104
        .size:           8
        .value_kind:     by_value
      - .address_space:  global
        .offset:         112
        .size:           8
        .value_kind:     global_buffer
      - .offset:         120
        .size:           8
        .value_kind:     by_value
      - .offset:         128
        .size:           8
        .value_kind:     by_value
      - .offset:         136
        .size:           4
        .value_kind:     by_value
    .group_segment_fixed_size: 1024
    .kernarg_segment_align: 8
    .kernarg_segment_size: 140
    .language:       OpenCL C
    .language_version:
      - 2
      - 0
    .max_flat_workgroup_size: 256
    .name:           _ZN12_GLOBAL__N_135rocblas_gemm_batched_general_kernelIDF16_Li16ELi16ELi32ELi32ELi8ELi32ELi8ELi8ELi32ELc67ELc67EKPKDF16_S3_KPDF16_EEvlllT_PT11_llS8_llS6_PT12_llPT13_lli
    .private_segment_fixed_size: 0
    .sgpr_count:     46
    .sgpr_spill_count: 0
    .symbol:         _ZN12_GLOBAL__N_135rocblas_gemm_batched_general_kernelIDF16_Li16ELi16ELi32ELi32ELi8ELi32ELi8ELi8ELi32ELc67ELc67EKPKDF16_S3_KPDF16_EEvlllT_PT11_llS8_llS6_PT12_llPT13_lli.kd
    .uniform_work_group_size: 1
    .uses_dynamic_stack: false
    .vgpr_count:     43
    .vgpr_spill_count: 0
    .wavefront_size: 32
    .workgroup_processor_mode: 1
  - .args:
      - .offset:         0
        .size:           8
        .value_kind:     by_value
      - .offset:         8
        .size:           8
        .value_kind:     by_value
      - .offset:         16
        .size:           8
        .value_kind:     by_value
      - .offset:         24
        .size:           2
        .value_kind:     by_value
      - .address_space:  global
        .offset:         32
        .size:           8
        .value_kind:     global_buffer
      - .offset:         40
        .size:           8
        .value_kind:     by_value
      - .offset:         48
        .size:           8
        .value_kind:     by_value
      - .address_space:  global
        .offset:         56
        .size:           8
        .value_kind:     global_buffer
      - .offset:         64
        .size:           8
        .value_kind:     by_value
      - .offset:         72
        .size:           8
        .value_kind:     by_value
      - .offset:         80
        .size:           2
        .value_kind:     by_value
      - .address_space:  global
        .offset:         88
        .size:           8
        .value_kind:     global_buffer
      - .offset:         96
        .size:           8
        .value_kind:     by_value
      - .offset:         104
        .size:           8
        .value_kind:     by_value
      - .address_space:  global
        .offset:         112
        .size:           8
        .value_kind:     global_buffer
      - .offset:         120
        .size:           8
        .value_kind:     by_value
      - .offset:         128
        .size:           8
        .value_kind:     by_value
      - .offset:         136
        .size:           4
        .value_kind:     by_value
    .group_segment_fixed_size: 1024
    .kernarg_segment_align: 8
    .kernarg_segment_size: 140
    .language:       OpenCL C
    .language_version:
      - 2
      - 0
    .max_flat_workgroup_size: 256
    .name:           _ZN12_GLOBAL__N_135rocblas_gemm_batched_general_kernelIDF16_Li16ELi16ELi32ELi32ELi8ELi32ELi8ELi8ELi32ELc67ELc78EKPKDF16_S3_KPDF16_EEvlllT_PT11_llS8_llS6_PT12_llPT13_lli
    .private_segment_fixed_size: 0
    .sgpr_count:     44
    .sgpr_spill_count: 0
    .symbol:         _ZN12_GLOBAL__N_135rocblas_gemm_batched_general_kernelIDF16_Li16ELi16ELi32ELi32ELi8ELi32ELi8ELi8ELi32ELc67ELc78EKPKDF16_S3_KPDF16_EEvlllT_PT11_llS8_llS6_PT12_llPT13_lli.kd
    .uniform_work_group_size: 1
    .uses_dynamic_stack: false
    .vgpr_count:     43
    .vgpr_spill_count: 0
    .wavefront_size: 32
    .workgroup_processor_mode: 1
  - .args:
      - .offset:         0
        .size:           8
        .value_kind:     by_value
      - .offset:         8
        .size:           8
        .value_kind:     by_value
      - .offset:         16
        .size:           8
        .value_kind:     by_value
      - .offset:         24
        .size:           2
        .value_kind:     by_value
      - .address_space:  global
        .offset:         32
        .size:           8
        .value_kind:     global_buffer
      - .offset:         40
        .size:           8
        .value_kind:     by_value
      - .offset:         48
        .size:           8
        .value_kind:     by_value
      - .address_space:  global
        .offset:         56
        .size:           8
        .value_kind:     global_buffer
      - .offset:         64
        .size:           8
        .value_kind:     by_value
      - .offset:         72
        .size:           8
        .value_kind:     by_value
      - .offset:         80
        .size:           2
        .value_kind:     by_value
      - .address_space:  global
        .offset:         88
        .size:           8
        .value_kind:     global_buffer
      - .offset:         96
        .size:           8
        .value_kind:     by_value
      - .offset:         104
        .size:           8
        .value_kind:     by_value
      - .address_space:  global
        .offset:         112
        .size:           8
        .value_kind:     global_buffer
      - .offset:         120
        .size:           8
        .value_kind:     by_value
      - .offset:         128
        .size:           8
        .value_kind:     by_value
      - .offset:         136
        .size:           4
        .value_kind:     by_value
    .group_segment_fixed_size: 1024
    .kernarg_segment_align: 8
    .kernarg_segment_size: 140
    .language:       OpenCL C
    .language_version:
      - 2
      - 0
    .max_flat_workgroup_size: 256
    .name:           _ZN12_GLOBAL__N_135rocblas_gemm_batched_general_kernelIDF16_Li16ELi16ELi32ELi32ELi8ELi32ELi8ELi8ELi32ELc67ELc84EKPKDF16_S3_KPDF16_EEvlllT_PT11_llS8_llS6_PT12_llPT13_lli
    .private_segment_fixed_size: 0
    .sgpr_count:     46
    .sgpr_spill_count: 0
    .symbol:         _ZN12_GLOBAL__N_135rocblas_gemm_batched_general_kernelIDF16_Li16ELi16ELi32ELi32ELi8ELi32ELi8ELi8ELi32ELc67ELc84EKPKDF16_S3_KPDF16_EEvlllT_PT11_llS8_llS6_PT12_llPT13_lli.kd
    .uniform_work_group_size: 1
    .uses_dynamic_stack: false
    .vgpr_count:     43
    .vgpr_spill_count: 0
    .wavefront_size: 32
    .workgroup_processor_mode: 1
  - .args:
      - .offset:         0
        .size:           8
        .value_kind:     by_value
      - .offset:         8
        .size:           8
        .value_kind:     by_value
      - .offset:         16
        .size:           8
        .value_kind:     by_value
      - .offset:         24
        .size:           2
        .value_kind:     by_value
      - .address_space:  global
        .offset:         32
        .size:           8
        .value_kind:     global_buffer
      - .offset:         40
        .size:           8
        .value_kind:     by_value
      - .offset:         48
        .size:           8
        .value_kind:     by_value
      - .address_space:  global
        .offset:         56
        .size:           8
        .value_kind:     global_buffer
      - .offset:         64
        .size:           8
        .value_kind:     by_value
      - .offset:         72
        .size:           8
        .value_kind:     by_value
      - .offset:         80
        .size:           2
        .value_kind:     by_value
      - .address_space:  global
        .offset:         88
        .size:           8
        .value_kind:     global_buffer
      - .offset:         96
        .size:           8
        .value_kind:     by_value
      - .offset:         104
        .size:           8
        .value_kind:     by_value
      - .address_space:  global
        .offset:         112
        .size:           8
        .value_kind:     global_buffer
      - .offset:         120
        .size:           8
        .value_kind:     by_value
      - .offset:         128
        .size:           8
        .value_kind:     by_value
      - .offset:         136
        .size:           4
        .value_kind:     by_value
    .group_segment_fixed_size: 1024
    .kernarg_segment_align: 8
    .kernarg_segment_size: 140
    .language:       OpenCL C
    .language_version:
      - 2
      - 0
    .max_flat_workgroup_size: 256
    .name:           _ZN12_GLOBAL__N_135rocblas_gemm_batched_general_kernelIDF16_Li16ELi16ELi32ELi32ELi8ELi32ELi8ELi8ELi32ELc78ELc67EKPKDF16_S3_KPDF16_EEvlllT_PT11_llS8_llS6_PT12_llPT13_lli
    .private_segment_fixed_size: 0
    .sgpr_count:     48
    .sgpr_spill_count: 0
    .symbol:         _ZN12_GLOBAL__N_135rocblas_gemm_batched_general_kernelIDF16_Li16ELi16ELi32ELi32ELi8ELi32ELi8ELi8ELi32ELc78ELc67EKPKDF16_S3_KPDF16_EEvlllT_PT11_llS8_llS6_PT12_llPT13_lli.kd
    .uniform_work_group_size: 1
    .uses_dynamic_stack: false
    .vgpr_count:     43
    .vgpr_spill_count: 0
    .wavefront_size: 32
    .workgroup_processor_mode: 1
  - .args:
      - .offset:         0
        .size:           8
        .value_kind:     by_value
      - .offset:         8
        .size:           8
        .value_kind:     by_value
      - .offset:         16
        .size:           8
        .value_kind:     by_value
      - .offset:         24
        .size:           2
        .value_kind:     by_value
      - .address_space:  global
        .offset:         32
        .size:           8
        .value_kind:     global_buffer
      - .offset:         40
        .size:           8
        .value_kind:     by_value
      - .offset:         48
        .size:           8
        .value_kind:     by_value
      - .address_space:  global
        .offset:         56
        .size:           8
        .value_kind:     global_buffer
      - .offset:         64
        .size:           8
        .value_kind:     by_value
      - .offset:         72
        .size:           8
        .value_kind:     by_value
      - .offset:         80
        .size:           2
        .value_kind:     by_value
      - .address_space:  global
        .offset:         88
        .size:           8
        .value_kind:     global_buffer
      - .offset:         96
        .size:           8
        .value_kind:     by_value
      - .offset:         104
        .size:           8
        .value_kind:     by_value
      - .address_space:  global
        .offset:         112
        .size:           8
        .value_kind:     global_buffer
      - .offset:         120
        .size:           8
        .value_kind:     by_value
      - .offset:         128
        .size:           8
        .value_kind:     by_value
      - .offset:         136
        .size:           4
        .value_kind:     by_value
    .group_segment_fixed_size: 1024
    .kernarg_segment_align: 8
    .kernarg_segment_size: 140
    .language:       OpenCL C
    .language_version:
      - 2
      - 0
    .max_flat_workgroup_size: 256
    .name:           _ZN12_GLOBAL__N_135rocblas_gemm_batched_general_kernelIDF16_Li16ELi16ELi32ELi32ELi8ELi32ELi8ELi8ELi32ELc84ELc67EKPKDF16_S3_KPDF16_EEvlllT_PT11_llS8_llS6_PT12_llPT13_lli
    .private_segment_fixed_size: 0
    .sgpr_count:     46
    .sgpr_spill_count: 0
    .symbol:         _ZN12_GLOBAL__N_135rocblas_gemm_batched_general_kernelIDF16_Li16ELi16ELi32ELi32ELi8ELi32ELi8ELi8ELi32ELc84ELc67EKPKDF16_S3_KPDF16_EEvlllT_PT11_llS8_llS6_PT12_llPT13_lli.kd
    .uniform_work_group_size: 1
    .uses_dynamic_stack: false
    .vgpr_count:     43
    .vgpr_spill_count: 0
    .wavefront_size: 32
    .workgroup_processor_mode: 1
  - .args:
      - .offset:         0
        .size:           4
        .value_kind:     by_value
      - .offset:         4
        .size:           4
        .value_kind:     by_value
      - .offset:         8
        .size:           4
        .value_kind:     by_value
      - .address_space:  global
        .offset:         16
        .size:           8
        .value_kind:     global_buffer
      - .offset:         24
        .size:           8
        .value_kind:     by_value
      - .offset:         32
        .size:           8
        .value_kind:     by_value
      - .offset:         40
        .size:           8
        .value_kind:     by_value
      - .offset:         48
        .size:           4
        .value_kind:     by_value
    .group_segment_fixed_size: 0
    .kernarg_segment_align: 8
    .kernarg_segment_size: 52
    .language:       OpenCL C
    .language_version:
      - 2
      - 0
    .max_flat_workgroup_size: 1024
    .name:           _ZN12_GLOBAL__N_125rocblas_gemm_scale_kernelILi32ELi32EfPKPfEEviiT1_T2_llli
    .private_segment_fixed_size: 0
    .sgpr_count:     16
    .sgpr_spill_count: 0
    .symbol:         _ZN12_GLOBAL__N_125rocblas_gemm_scale_kernelILi32ELi32EfPKPfEEviiT1_T2_llli.kd
    .uniform_work_group_size: 1
    .uses_dynamic_stack: false
    .vgpr_count:     7
    .vgpr_spill_count: 0
    .wavefront_size: 32
    .workgroup_processor_mode: 1
  - .args:
      - .offset:         0
        .size:           4
        .value_kind:     by_value
      - .offset:         4
        .size:           4
        .value_kind:     by_value
      - .offset:         8
        .size:           4
        .value_kind:     by_value
      - .address_space:  global
        .offset:         16
        .size:           8
        .value_kind:     global_buffer
      - .offset:         24
        .size:           8
        .value_kind:     by_value
      - .offset:         32
        .size:           8
        .value_kind:     by_value
      - .offset:         40
        .size:           8
        .value_kind:     by_value
      - .address_space:  global
        .offset:         48
        .size:           8
        .value_kind:     global_buffer
      - .offset:         56
        .size:           8
        .value_kind:     by_value
      - .offset:         64
        .size:           8
        .value_kind:     by_value
      - .offset:         72
        .size:           8
        .value_kind:     by_value
      - .offset:         80
        .size:           4
        .value_kind:     by_value
    .group_segment_fixed_size: 0
    .kernarg_segment_align: 8
    .kernarg_segment_size: 84
    .language:       OpenCL C
    .language_version:
      - 2
      - 0
    .max_flat_workgroup_size: 1024
    .name:           _ZN12_GLOBAL__N_120gemm_ex_scale_kernelILi32ELi32EfPKPKfPKPfEEviiT1_T2_lllT3_llli
    .private_segment_fixed_size: 0
    .sgpr_count:     24
    .sgpr_spill_count: 0
    .symbol:         _ZN12_GLOBAL__N_120gemm_ex_scale_kernelILi32ELi32EfPKPKfPKPfEEviiT1_T2_lllT3_llli.kd
    .uniform_work_group_size: 1
    .uses_dynamic_stack: false
    .vgpr_count:     9
    .vgpr_spill_count: 0
    .wavefront_size: 32
    .workgroup_processor_mode: 1
  - .args:
      - .offset:         0
        .size:           8
        .value_kind:     by_value
      - .offset:         8
        .size:           8
        .value_kind:     by_value
      - .offset:         16
        .size:           8
        .value_kind:     by_value
      - .offset:         24
        .size:           4
        .value_kind:     by_value
      - .address_space:  global
        .offset:         32
        .size:           8
        .value_kind:     global_buffer
      - .offset:         40
        .size:           8
        .value_kind:     by_value
      - .offset:         48
        .size:           8
        .value_kind:     by_value
      - .address_space:  global
        .offset:         56
        .size:           8
        .value_kind:     global_buffer
      - .offset:         64
        .size:           8
        .value_kind:     by_value
      - .offset:         72
        .size:           8
        .value_kind:     by_value
      - .offset:         80
        .size:           4
        .value_kind:     by_value
      - .address_space:  global
        .offset:         88
        .size:           8
        .value_kind:     global_buffer
      - .offset:         96
        .size:           8
        .value_kind:     by_value
      - .offset:         104
        .size:           8
        .value_kind:     by_value
      - .address_space:  global
        .offset:         112
        .size:           8
        .value_kind:     global_buffer
      - .offset:         120
        .size:           8
        .value_kind:     by_value
      - .offset:         128
        .size:           8
        .value_kind:     by_value
      - .offset:         136
        .size:           4
        .value_kind:     by_value
    .group_segment_fixed_size: 2048
    .kernarg_segment_align: 8
    .kernarg_segment_size: 140
    .language:       OpenCL C
    .language_version:
      - 2
      - 0
    .max_flat_workgroup_size: 256
    .name:           _ZN12_GLOBAL__N_127rocblas_gemm_batched_kernelIfLi16ELi16ELi64ELi64ELi4ELi64ELi4ELi4ELi64ELc78ELc78EKPKfS3_KPfEEvlllT_PT11_llS8_llS6_PT12_llPT13_lli
    .private_segment_fixed_size: 0
    .sgpr_count:     38
    .sgpr_spill_count: 0
    .symbol:         _ZN12_GLOBAL__N_127rocblas_gemm_batched_kernelIfLi16ELi16ELi64ELi64ELi4ELi64ELi4ELi4ELi64ELc78ELc78EKPKfS3_KPfEEvlllT_PT11_llS8_llS6_PT12_llPT13_lli.kd
    .uniform_work_group_size: 1
    .uses_dynamic_stack: false
    .vgpr_count:     71
    .vgpr_spill_count: 0
    .wavefront_size: 32
    .workgroup_processor_mode: 1
  - .args:
      - .offset:         0
        .size:           8
        .value_kind:     by_value
      - .offset:         8
        .size:           8
        .value_kind:     by_value
      - .offset:         16
        .size:           8
        .value_kind:     by_value
      - .offset:         24
        .size:           4
        .value_kind:     by_value
      - .address_space:  global
        .offset:         32
        .size:           8
        .value_kind:     global_buffer
      - .offset:         40
        .size:           8
        .value_kind:     by_value
      - .offset:         48
        .size:           8
        .value_kind:     by_value
      - .address_space:  global
        .offset:         56
        .size:           8
        .value_kind:     global_buffer
      - .offset:         64
        .size:           8
        .value_kind:     by_value
      - .offset:         72
        .size:           8
        .value_kind:     by_value
      - .offset:         80
        .size:           4
        .value_kind:     by_value
      - .address_space:  global
        .offset:         88
        .size:           8
        .value_kind:     global_buffer
      - .offset:         96
        .size:           8
        .value_kind:     by_value
      - .offset:         104
        .size:           8
        .value_kind:     by_value
      - .address_space:  global
        .offset:         112
        .size:           8
        .value_kind:     global_buffer
      - .offset:         120
        .size:           8
        .value_kind:     by_value
      - .offset:         128
        .size:           8
        .value_kind:     by_value
      - .offset:         136
        .size:           4
        .value_kind:     by_value
    .group_segment_fixed_size: 2048
    .kernarg_segment_align: 8
    .kernarg_segment_size: 140
    .language:       OpenCL C
    .language_version:
      - 2
      - 0
    .max_flat_workgroup_size: 256
    .name:           _ZN12_GLOBAL__N_127rocblas_gemm_batched_kernelIfLi16ELi16ELi64ELi64ELi4ELi64ELi4ELi4ELi64ELc84ELc78EKPKfS3_KPfEEvlllT_PT11_llS8_llS6_PT12_llPT13_lli
    .private_segment_fixed_size: 0
    .sgpr_count:     38
    .sgpr_spill_count: 0
    .symbol:         _ZN12_GLOBAL__N_127rocblas_gemm_batched_kernelIfLi16ELi16ELi64ELi64ELi4ELi64ELi4ELi4ELi64ELc84ELc78EKPKfS3_KPfEEvlllT_PT11_llS8_llS6_PT12_llPT13_lli.kd
    .uniform_work_group_size: 1
    .uses_dynamic_stack: false
    .vgpr_count:     71
    .vgpr_spill_count: 0
    .wavefront_size: 32
    .workgroup_processor_mode: 1
  - .args:
      - .offset:         0
        .size:           8
        .value_kind:     by_value
      - .offset:         8
        .size:           8
        .value_kind:     by_value
      - .offset:         16
        .size:           8
        .value_kind:     by_value
      - .offset:         24
        .size:           4
        .value_kind:     by_value
      - .address_space:  global
        .offset:         32
        .size:           8
        .value_kind:     global_buffer
      - .offset:         40
        .size:           8
        .value_kind:     by_value
      - .offset:         48
        .size:           8
        .value_kind:     by_value
      - .address_space:  global
        .offset:         56
        .size:           8
        .value_kind:     global_buffer
      - .offset:         64
        .size:           8
        .value_kind:     by_value
      - .offset:         72
        .size:           8
        .value_kind:     by_value
      - .offset:         80
        .size:           4
        .value_kind:     by_value
      - .address_space:  global
        .offset:         88
        .size:           8
        .value_kind:     global_buffer
      - .offset:         96
        .size:           8
        .value_kind:     by_value
      - .offset:         104
        .size:           8
        .value_kind:     by_value
      - .address_space:  global
        .offset:         112
        .size:           8
        .value_kind:     global_buffer
      - .offset:         120
        .size:           8
        .value_kind:     by_value
      - .offset:         128
        .size:           8
        .value_kind:     by_value
      - .offset:         136
        .size:           4
        .value_kind:     by_value
    .group_segment_fixed_size: 2048
    .kernarg_segment_align: 8
    .kernarg_segment_size: 140
    .language:       OpenCL C
    .language_version:
      - 2
      - 0
    .max_flat_workgroup_size: 256
    .name:           _ZN12_GLOBAL__N_127rocblas_gemm_batched_kernelIfLi16ELi16ELi64ELi64ELi4ELi64ELi4ELi4ELi64ELc78ELc84EKPKfS3_KPfEEvlllT_PT11_llS8_llS6_PT12_llPT13_lli
    .private_segment_fixed_size: 0
    .sgpr_count:     41
    .sgpr_spill_count: 0
    .symbol:         _ZN12_GLOBAL__N_127rocblas_gemm_batched_kernelIfLi16ELi16ELi64ELi64ELi4ELi64ELi4ELi4ELi64ELc78ELc84EKPKfS3_KPfEEvlllT_PT11_llS8_llS6_PT12_llPT13_lli.kd
    .uniform_work_group_size: 1
    .uses_dynamic_stack: false
    .vgpr_count:     71
    .vgpr_spill_count: 0
    .wavefront_size: 32
    .workgroup_processor_mode: 1
  - .args:
      - .offset:         0
        .size:           8
        .value_kind:     by_value
      - .offset:         8
        .size:           8
        .value_kind:     by_value
      - .offset:         16
        .size:           8
        .value_kind:     by_value
      - .offset:         24
        .size:           4
        .value_kind:     by_value
      - .address_space:  global
        .offset:         32
        .size:           8
        .value_kind:     global_buffer
      - .offset:         40
        .size:           8
        .value_kind:     by_value
      - .offset:         48
        .size:           8
        .value_kind:     by_value
      - .address_space:  global
        .offset:         56
        .size:           8
        .value_kind:     global_buffer
      - .offset:         64
        .size:           8
        .value_kind:     by_value
      - .offset:         72
        .size:           8
        .value_kind:     by_value
      - .offset:         80
        .size:           4
        .value_kind:     by_value
      - .address_space:  global
        .offset:         88
        .size:           8
        .value_kind:     global_buffer
      - .offset:         96
        .size:           8
        .value_kind:     by_value
      - .offset:         104
        .size:           8
        .value_kind:     by_value
      - .address_space:  global
        .offset:         112
        .size:           8
        .value_kind:     global_buffer
      - .offset:         120
        .size:           8
        .value_kind:     by_value
      - .offset:         128
        .size:           8
        .value_kind:     by_value
      - .offset:         136
        .size:           4
        .value_kind:     by_value
    .group_segment_fixed_size: 2048
    .kernarg_segment_align: 8
    .kernarg_segment_size: 140
    .language:       OpenCL C
    .language_version:
      - 2
      - 0
    .max_flat_workgroup_size: 256
    .name:           _ZN12_GLOBAL__N_127rocblas_gemm_batched_kernelIfLi16ELi16ELi64ELi64ELi4ELi64ELi4ELi4ELi64ELc84ELc84EKPKfS3_KPfEEvlllT_PT11_llS8_llS6_PT12_llPT13_lli
    .private_segment_fixed_size: 0
    .sgpr_count:     40
    .sgpr_spill_count: 0
    .symbol:         _ZN12_GLOBAL__N_127rocblas_gemm_batched_kernelIfLi16ELi16ELi64ELi64ELi4ELi64ELi4ELi4ELi64ELc84ELc84EKPKfS3_KPfEEvlllT_PT11_llS8_llS6_PT12_llPT13_lli.kd
    .uniform_work_group_size: 1
    .uses_dynamic_stack: false
    .vgpr_count:     71
    .vgpr_spill_count: 0
    .wavefront_size: 32
    .workgroup_processor_mode: 1
  - .args:
      - .offset:         0
        .size:           8
        .value_kind:     by_value
      - .offset:         8
        .size:           8
        .value_kind:     by_value
      - .offset:         16
        .size:           8
        .value_kind:     by_value
      - .offset:         24
        .size:           4
        .value_kind:     by_value
      - .address_space:  global
        .offset:         32
        .size:           8
        .value_kind:     global_buffer
      - .offset:         40
        .size:           8
        .value_kind:     by_value
      - .offset:         48
        .size:           8
        .value_kind:     by_value
      - .address_space:  global
        .offset:         56
        .size:           8
        .value_kind:     global_buffer
      - .offset:         64
        .size:           8
        .value_kind:     by_value
      - .offset:         72
        .size:           8
        .value_kind:     by_value
      - .offset:         80
        .size:           4
        .value_kind:     by_value
      - .address_space:  global
        .offset:         88
        .size:           8
        .value_kind:     global_buffer
      - .offset:         96
        .size:           8
        .value_kind:     by_value
      - .offset:         104
        .size:           8
        .value_kind:     by_value
      - .address_space:  global
        .offset:         112
        .size:           8
        .value_kind:     global_buffer
      - .offset:         120
        .size:           8
        .value_kind:     by_value
      - .offset:         128
        .size:           8
        .value_kind:     by_value
      - .offset:         136
        .size:           4
        .value_kind:     by_value
    .group_segment_fixed_size: 2048
    .kernarg_segment_align: 8
    .kernarg_segment_size: 140
    .language:       OpenCL C
    .language_version:
      - 2
      - 0
    .max_flat_workgroup_size: 256
    .name:           _ZN12_GLOBAL__N_127rocblas_gemm_batched_kernelIfLi16ELi16ELi64ELi64ELi4ELi64ELi4ELi4ELi64ELc67ELc67EKPKfS3_KPfEEvlllT_PT11_llS8_llS6_PT12_llPT13_lli
    .private_segment_fixed_size: 0
    .sgpr_count:     40
    .sgpr_spill_count: 0
    .symbol:         _ZN12_GLOBAL__N_127rocblas_gemm_batched_kernelIfLi16ELi16ELi64ELi64ELi4ELi64ELi4ELi4ELi64ELc67ELc67EKPKfS3_KPfEEvlllT_PT11_llS8_llS6_PT12_llPT13_lli.kd
    .uniform_work_group_size: 1
    .uses_dynamic_stack: false
    .vgpr_count:     71
    .vgpr_spill_count: 0
    .wavefront_size: 32
    .workgroup_processor_mode: 1
  - .args:
      - .offset:         0
        .size:           8
        .value_kind:     by_value
      - .offset:         8
        .size:           8
        .value_kind:     by_value
      - .offset:         16
        .size:           8
        .value_kind:     by_value
      - .offset:         24
        .size:           4
        .value_kind:     by_value
      - .address_space:  global
        .offset:         32
        .size:           8
        .value_kind:     global_buffer
      - .offset:         40
        .size:           8
        .value_kind:     by_value
      - .offset:         48
        .size:           8
        .value_kind:     by_value
      - .address_space:  global
        .offset:         56
        .size:           8
        .value_kind:     global_buffer
      - .offset:         64
        .size:           8
        .value_kind:     by_value
      - .offset:         72
        .size:           8
        .value_kind:     by_value
      - .offset:         80
        .size:           4
        .value_kind:     by_value
      - .address_space:  global
        .offset:         88
        .size:           8
        .value_kind:     global_buffer
      - .offset:         96
        .size:           8
        .value_kind:     by_value
      - .offset:         104
        .size:           8
        .value_kind:     by_value
      - .address_space:  global
        .offset:         112
        .size:           8
        .value_kind:     global_buffer
      - .offset:         120
        .size:           8
        .value_kind:     by_value
      - .offset:         128
        .size:           8
        .value_kind:     by_value
      - .offset:         136
        .size:           4
        .value_kind:     by_value
    .group_segment_fixed_size: 2048
    .kernarg_segment_align: 8
    .kernarg_segment_size: 140
    .language:       OpenCL C
    .language_version:
      - 2
      - 0
    .max_flat_workgroup_size: 256
    .name:           _ZN12_GLOBAL__N_127rocblas_gemm_batched_kernelIfLi16ELi16ELi64ELi64ELi4ELi64ELi4ELi4ELi64ELc67ELc78EKPKfS3_KPfEEvlllT_PT11_llS8_llS6_PT12_llPT13_lli
    .private_segment_fixed_size: 0
    .sgpr_count:     38
    .sgpr_spill_count: 0
    .symbol:         _ZN12_GLOBAL__N_127rocblas_gemm_batched_kernelIfLi16ELi16ELi64ELi64ELi4ELi64ELi4ELi4ELi64ELc67ELc78EKPKfS3_KPfEEvlllT_PT11_llS8_llS6_PT12_llPT13_lli.kd
    .uniform_work_group_size: 1
    .uses_dynamic_stack: false
    .vgpr_count:     71
    .vgpr_spill_count: 0
    .wavefront_size: 32
    .workgroup_processor_mode: 1
  - .args:
      - .offset:         0
        .size:           8
        .value_kind:     by_value
      - .offset:         8
        .size:           8
        .value_kind:     by_value
      - .offset:         16
        .size:           8
        .value_kind:     by_value
      - .offset:         24
        .size:           4
        .value_kind:     by_value
      - .address_space:  global
        .offset:         32
        .size:           8
        .value_kind:     global_buffer
      - .offset:         40
        .size:           8
        .value_kind:     by_value
      - .offset:         48
        .size:           8
        .value_kind:     by_value
      - .address_space:  global
        .offset:         56
        .size:           8
        .value_kind:     global_buffer
      - .offset:         64
        .size:           8
        .value_kind:     by_value
      - .offset:         72
        .size:           8
        .value_kind:     by_value
      - .offset:         80
        .size:           4
        .value_kind:     by_value
      - .address_space:  global
        .offset:         88
        .size:           8
        .value_kind:     global_buffer
      - .offset:         96
        .size:           8
        .value_kind:     by_value
      - .offset:         104
        .size:           8
        .value_kind:     by_value
      - .address_space:  global
        .offset:         112
        .size:           8
        .value_kind:     global_buffer
      - .offset:         120
        .size:           8
        .value_kind:     by_value
      - .offset:         128
        .size:           8
        .value_kind:     by_value
      - .offset:         136
        .size:           4
        .value_kind:     by_value
    .group_segment_fixed_size: 2048
    .kernarg_segment_align: 8
    .kernarg_segment_size: 140
    .language:       OpenCL C
    .language_version:
      - 2
      - 0
    .max_flat_workgroup_size: 256
    .name:           _ZN12_GLOBAL__N_127rocblas_gemm_batched_kernelIfLi16ELi16ELi64ELi64ELi4ELi64ELi4ELi4ELi64ELc67ELc84EKPKfS3_KPfEEvlllT_PT11_llS8_llS6_PT12_llPT13_lli
    .private_segment_fixed_size: 0
    .sgpr_count:     40
    .sgpr_spill_count: 0
    .symbol:         _ZN12_GLOBAL__N_127rocblas_gemm_batched_kernelIfLi16ELi16ELi64ELi64ELi4ELi64ELi4ELi4ELi64ELc67ELc84EKPKfS3_KPfEEvlllT_PT11_llS8_llS6_PT12_llPT13_lli.kd
    .uniform_work_group_size: 1
    .uses_dynamic_stack: false
    .vgpr_count:     71
    .vgpr_spill_count: 0
    .wavefront_size: 32
    .workgroup_processor_mode: 1
  - .args:
      - .offset:         0
        .size:           8
        .value_kind:     by_value
      - .offset:         8
        .size:           8
        .value_kind:     by_value
      - .offset:         16
        .size:           8
        .value_kind:     by_value
      - .offset:         24
        .size:           4
        .value_kind:     by_value
      - .address_space:  global
        .offset:         32
        .size:           8
        .value_kind:     global_buffer
      - .offset:         40
        .size:           8
        .value_kind:     by_value
      - .offset:         48
        .size:           8
        .value_kind:     by_value
      - .address_space:  global
        .offset:         56
        .size:           8
        .value_kind:     global_buffer
      - .offset:         64
        .size:           8
        .value_kind:     by_value
      - .offset:         72
        .size:           8
        .value_kind:     by_value
      - .offset:         80
        .size:           4
        .value_kind:     by_value
      - .address_space:  global
        .offset:         88
        .size:           8
        .value_kind:     global_buffer
      - .offset:         96
        .size:           8
        .value_kind:     by_value
      - .offset:         104
        .size:           8
        .value_kind:     by_value
      - .address_space:  global
        .offset:         112
        .size:           8
        .value_kind:     global_buffer
      - .offset:         120
        .size:           8
        .value_kind:     by_value
      - .offset:         128
        .size:           8
        .value_kind:     by_value
      - .offset:         136
        .size:           4
        .value_kind:     by_value
    .group_segment_fixed_size: 2048
    .kernarg_segment_align: 8
    .kernarg_segment_size: 140
    .language:       OpenCL C
    .language_version:
      - 2
      - 0
    .max_flat_workgroup_size: 256
    .name:           _ZN12_GLOBAL__N_127rocblas_gemm_batched_kernelIfLi16ELi16ELi64ELi64ELi4ELi64ELi4ELi4ELi64ELc78ELc67EKPKfS3_KPfEEvlllT_PT11_llS8_llS6_PT12_llPT13_lli
    .private_segment_fixed_size: 0
    .sgpr_count:     41
    .sgpr_spill_count: 0
    .symbol:         _ZN12_GLOBAL__N_127rocblas_gemm_batched_kernelIfLi16ELi16ELi64ELi64ELi4ELi64ELi4ELi4ELi64ELc78ELc67EKPKfS3_KPfEEvlllT_PT11_llS8_llS6_PT12_llPT13_lli.kd
    .uniform_work_group_size: 1
    .uses_dynamic_stack: false
    .vgpr_count:     71
    .vgpr_spill_count: 0
    .wavefront_size: 32
    .workgroup_processor_mode: 1
  - .args:
      - .offset:         0
        .size:           8
        .value_kind:     by_value
      - .offset:         8
        .size:           8
        .value_kind:     by_value
      - .offset:         16
        .size:           8
        .value_kind:     by_value
      - .offset:         24
        .size:           4
        .value_kind:     by_value
      - .address_space:  global
        .offset:         32
        .size:           8
        .value_kind:     global_buffer
      - .offset:         40
        .size:           8
        .value_kind:     by_value
      - .offset:         48
        .size:           8
        .value_kind:     by_value
      - .address_space:  global
        .offset:         56
        .size:           8
        .value_kind:     global_buffer
      - .offset:         64
        .size:           8
        .value_kind:     by_value
      - .offset:         72
        .size:           8
        .value_kind:     by_value
      - .offset:         80
        .size:           4
        .value_kind:     by_value
      - .address_space:  global
        .offset:         88
        .size:           8
        .value_kind:     global_buffer
      - .offset:         96
        .size:           8
        .value_kind:     by_value
      - .offset:         104
        .size:           8
        .value_kind:     by_value
      - .address_space:  global
        .offset:         112
        .size:           8
        .value_kind:     global_buffer
      - .offset:         120
        .size:           8
        .value_kind:     by_value
      - .offset:         128
        .size:           8
        .value_kind:     by_value
      - .offset:         136
        .size:           4
        .value_kind:     by_value
    .group_segment_fixed_size: 2048
    .kernarg_segment_align: 8
    .kernarg_segment_size: 140
    .language:       OpenCL C
    .language_version:
      - 2
      - 0
    .max_flat_workgroup_size: 256
    .name:           _ZN12_GLOBAL__N_127rocblas_gemm_batched_kernelIfLi16ELi16ELi64ELi64ELi4ELi64ELi4ELi4ELi64ELc84ELc67EKPKfS3_KPfEEvlllT_PT11_llS8_llS6_PT12_llPT13_lli
    .private_segment_fixed_size: 0
    .sgpr_count:     40
    .sgpr_spill_count: 0
    .symbol:         _ZN12_GLOBAL__N_127rocblas_gemm_batched_kernelIfLi16ELi16ELi64ELi64ELi4ELi64ELi4ELi4ELi64ELc84ELc67EKPKfS3_KPfEEvlllT_PT11_llS8_llS6_PT12_llPT13_lli.kd
    .uniform_work_group_size: 1
    .uses_dynamic_stack: false
    .vgpr_count:     71
    .vgpr_spill_count: 0
    .wavefront_size: 32
    .workgroup_processor_mode: 1
  - .args:
      - .offset:         0
        .size:           8
        .value_kind:     by_value
      - .offset:         8
        .size:           8
        .value_kind:     by_value
      - .offset:         16
        .size:           8
        .value_kind:     by_value
      - .offset:         24
        .size:           4
        .value_kind:     by_value
      - .address_space:  global
        .offset:         32
        .size:           8
        .value_kind:     global_buffer
      - .offset:         40
        .size:           8
        .value_kind:     by_value
      - .offset:         48
        .size:           8
        .value_kind:     by_value
      - .address_space:  global
        .offset:         56
        .size:           8
        .value_kind:     global_buffer
      - .offset:         64
        .size:           8
        .value_kind:     by_value
      - .offset:         72
        .size:           8
        .value_kind:     by_value
      - .offset:         80
        .size:           4
        .value_kind:     by_value
      - .address_space:  global
        .offset:         88
        .size:           8
        .value_kind:     global_buffer
      - .offset:         96
        .size:           8
        .value_kind:     by_value
      - .offset:         104
        .size:           8
        .value_kind:     by_value
      - .address_space:  global
        .offset:         112
        .size:           8
        .value_kind:     global_buffer
      - .offset:         120
        .size:           8
        .value_kind:     by_value
      - .offset:         128
        .size:           8
        .value_kind:     by_value
      - .offset:         136
        .size:           4
        .value_kind:     by_value
    .group_segment_fixed_size: 2048
    .kernarg_segment_align: 8
    .kernarg_segment_size: 140
    .language:       OpenCL C
    .language_version:
      - 2
      - 0
    .max_flat_workgroup_size: 256
    .name:           _ZN12_GLOBAL__N_127rocblas_gemm_batched_kernelIfLi16ELi16ELi32ELi32ELi8ELi32ELi8ELi8ELi32ELc78ELc78EKPKfS3_KPfEEvlllT_PT11_llS8_llS6_PT12_llPT13_lli
    .private_segment_fixed_size: 0
    .sgpr_count:     38
    .sgpr_spill_count: 0
    .symbol:         _ZN12_GLOBAL__N_127rocblas_gemm_batched_kernelIfLi16ELi16ELi32ELi32ELi8ELi32ELi8ELi8ELi32ELc78ELc78EKPKfS3_KPfEEvlllT_PT11_llS8_llS6_PT12_llPT13_lli.kd
    .uniform_work_group_size: 1
    .uses_dynamic_stack: false
    .vgpr_count:     59
    .vgpr_spill_count: 0
    .wavefront_size: 32
    .workgroup_processor_mode: 1
  - .args:
      - .offset:         0
        .size:           8
        .value_kind:     by_value
      - .offset:         8
        .size:           8
        .value_kind:     by_value
      - .offset:         16
        .size:           8
        .value_kind:     by_value
      - .offset:         24
        .size:           4
        .value_kind:     by_value
      - .address_space:  global
        .offset:         32
        .size:           8
        .value_kind:     global_buffer
      - .offset:         40
        .size:           8
        .value_kind:     by_value
      - .offset:         48
        .size:           8
        .value_kind:     by_value
      - .address_space:  global
        .offset:         56
        .size:           8
        .value_kind:     global_buffer
      - .offset:         64
        .size:           8
        .value_kind:     by_value
      - .offset:         72
        .size:           8
        .value_kind:     by_value
      - .offset:         80
        .size:           4
        .value_kind:     by_value
      - .address_space:  global
        .offset:         88
        .size:           8
        .value_kind:     global_buffer
      - .offset:         96
        .size:           8
        .value_kind:     by_value
      - .offset:         104
        .size:           8
        .value_kind:     by_value
      - .address_space:  global
        .offset:         112
        .size:           8
        .value_kind:     global_buffer
      - .offset:         120
        .size:           8
        .value_kind:     by_value
      - .offset:         128
        .size:           8
        .value_kind:     by_value
      - .offset:         136
        .size:           4
        .value_kind:     by_value
    .group_segment_fixed_size: 2048
    .kernarg_segment_align: 8
    .kernarg_segment_size: 140
    .language:       OpenCL C
    .language_version:
      - 2
      - 0
    .max_flat_workgroup_size: 256
    .name:           _ZN12_GLOBAL__N_127rocblas_gemm_batched_kernelIfLi16ELi16ELi32ELi32ELi8ELi32ELi8ELi8ELi32ELc84ELc78EKPKfS3_KPfEEvlllT_PT11_llS8_llS6_PT12_llPT13_lli
    .private_segment_fixed_size: 0
    .sgpr_count:     38
    .sgpr_spill_count: 0
    .symbol:         _ZN12_GLOBAL__N_127rocblas_gemm_batched_kernelIfLi16ELi16ELi32ELi32ELi8ELi32ELi8ELi8ELi32ELc84ELc78EKPKfS3_KPfEEvlllT_PT11_llS8_llS6_PT12_llPT13_lli.kd
    .uniform_work_group_size: 1
    .uses_dynamic_stack: false
    .vgpr_count:     59
    .vgpr_spill_count: 0
    .wavefront_size: 32
    .workgroup_processor_mode: 1
  - .args:
      - .offset:         0
        .size:           8
        .value_kind:     by_value
      - .offset:         8
        .size:           8
        .value_kind:     by_value
      - .offset:         16
        .size:           8
        .value_kind:     by_value
      - .offset:         24
        .size:           4
        .value_kind:     by_value
      - .address_space:  global
        .offset:         32
        .size:           8
        .value_kind:     global_buffer
      - .offset:         40
        .size:           8
        .value_kind:     by_value
      - .offset:         48
        .size:           8
        .value_kind:     by_value
      - .address_space:  global
        .offset:         56
        .size:           8
        .value_kind:     global_buffer
      - .offset:         64
        .size:           8
        .value_kind:     by_value
      - .offset:         72
        .size:           8
        .value_kind:     by_value
      - .offset:         80
        .size:           4
        .value_kind:     by_value
      - .address_space:  global
        .offset:         88
        .size:           8
        .value_kind:     global_buffer
      - .offset:         96
        .size:           8
        .value_kind:     by_value
      - .offset:         104
        .size:           8
        .value_kind:     by_value
      - .address_space:  global
        .offset:         112
        .size:           8
        .value_kind:     global_buffer
      - .offset:         120
        .size:           8
        .value_kind:     by_value
      - .offset:         128
        .size:           8
        .value_kind:     by_value
      - .offset:         136
        .size:           4
        .value_kind:     by_value
    .group_segment_fixed_size: 2048
    .kernarg_segment_align: 8
    .kernarg_segment_size: 140
    .language:       OpenCL C
    .language_version:
      - 2
      - 0
    .max_flat_workgroup_size: 256
    .name:           _ZN12_GLOBAL__N_127rocblas_gemm_batched_kernelIfLi16ELi16ELi32ELi32ELi8ELi32ELi8ELi8ELi32ELc78ELc84EKPKfS3_KPfEEvlllT_PT11_llS8_llS6_PT12_llPT13_lli
    .private_segment_fixed_size: 0
    .sgpr_count:     41
    .sgpr_spill_count: 0
    .symbol:         _ZN12_GLOBAL__N_127rocblas_gemm_batched_kernelIfLi16ELi16ELi32ELi32ELi8ELi32ELi8ELi8ELi32ELc78ELc84EKPKfS3_KPfEEvlllT_PT11_llS8_llS6_PT12_llPT13_lli.kd
    .uniform_work_group_size: 1
    .uses_dynamic_stack: false
    .vgpr_count:     59
    .vgpr_spill_count: 0
    .wavefront_size: 32
    .workgroup_processor_mode: 1
  - .args:
      - .offset:         0
        .size:           8
        .value_kind:     by_value
      - .offset:         8
        .size:           8
        .value_kind:     by_value
      - .offset:         16
        .size:           8
        .value_kind:     by_value
      - .offset:         24
        .size:           4
        .value_kind:     by_value
      - .address_space:  global
        .offset:         32
        .size:           8
        .value_kind:     global_buffer
      - .offset:         40
        .size:           8
        .value_kind:     by_value
      - .offset:         48
        .size:           8
        .value_kind:     by_value
      - .address_space:  global
        .offset:         56
        .size:           8
        .value_kind:     global_buffer
      - .offset:         64
        .size:           8
        .value_kind:     by_value
      - .offset:         72
        .size:           8
        .value_kind:     by_value
      - .offset:         80
        .size:           4
        .value_kind:     by_value
      - .address_space:  global
        .offset:         88
        .size:           8
        .value_kind:     global_buffer
      - .offset:         96
        .size:           8
        .value_kind:     by_value
      - .offset:         104
        .size:           8
        .value_kind:     by_value
      - .address_space:  global
        .offset:         112
        .size:           8
        .value_kind:     global_buffer
      - .offset:         120
        .size:           8
        .value_kind:     by_value
      - .offset:         128
        .size:           8
        .value_kind:     by_value
      - .offset:         136
        .size:           4
        .value_kind:     by_value
    .group_segment_fixed_size: 2048
    .kernarg_segment_align: 8
    .kernarg_segment_size: 140
    .language:       OpenCL C
    .language_version:
      - 2
      - 0
    .max_flat_workgroup_size: 256
    .name:           _ZN12_GLOBAL__N_127rocblas_gemm_batched_kernelIfLi16ELi16ELi32ELi32ELi8ELi32ELi8ELi8ELi32ELc84ELc84EKPKfS3_KPfEEvlllT_PT11_llS8_llS6_PT12_llPT13_lli
    .private_segment_fixed_size: 0
    .sgpr_count:     40
    .sgpr_spill_count: 0
    .symbol:         _ZN12_GLOBAL__N_127rocblas_gemm_batched_kernelIfLi16ELi16ELi32ELi32ELi8ELi32ELi8ELi8ELi32ELc84ELc84EKPKfS3_KPfEEvlllT_PT11_llS8_llS6_PT12_llPT13_lli.kd
    .uniform_work_group_size: 1
    .uses_dynamic_stack: false
    .vgpr_count:     59
    .vgpr_spill_count: 0
    .wavefront_size: 32
    .workgroup_processor_mode: 1
  - .args:
      - .offset:         0
        .size:           8
        .value_kind:     by_value
      - .offset:         8
        .size:           8
        .value_kind:     by_value
      - .offset:         16
        .size:           8
        .value_kind:     by_value
      - .offset:         24
        .size:           4
        .value_kind:     by_value
      - .address_space:  global
        .offset:         32
        .size:           8
        .value_kind:     global_buffer
      - .offset:         40
        .size:           8
        .value_kind:     by_value
      - .offset:         48
        .size:           8
        .value_kind:     by_value
      - .address_space:  global
        .offset:         56
        .size:           8
        .value_kind:     global_buffer
      - .offset:         64
        .size:           8
        .value_kind:     by_value
      - .offset:         72
        .size:           8
        .value_kind:     by_value
      - .offset:         80
        .size:           4
        .value_kind:     by_value
      - .address_space:  global
        .offset:         88
        .size:           8
        .value_kind:     global_buffer
      - .offset:         96
        .size:           8
        .value_kind:     by_value
      - .offset:         104
        .size:           8
        .value_kind:     by_value
      - .address_space:  global
        .offset:         112
        .size:           8
        .value_kind:     global_buffer
      - .offset:         120
        .size:           8
        .value_kind:     by_value
      - .offset:         128
        .size:           8
        .value_kind:     by_value
      - .offset:         136
        .size:           4
        .value_kind:     by_value
    .group_segment_fixed_size: 2048
    .kernarg_segment_align: 8
    .kernarg_segment_size: 140
    .language:       OpenCL C
    .language_version:
      - 2
      - 0
    .max_flat_workgroup_size: 256
    .name:           _ZN12_GLOBAL__N_127rocblas_gemm_batched_kernelIfLi16ELi16ELi32ELi32ELi8ELi32ELi8ELi8ELi32ELc67ELc67EKPKfS3_KPfEEvlllT_PT11_llS8_llS6_PT12_llPT13_lli
    .private_segment_fixed_size: 0
    .sgpr_count:     40
    .sgpr_spill_count: 0
    .symbol:         _ZN12_GLOBAL__N_127rocblas_gemm_batched_kernelIfLi16ELi16ELi32ELi32ELi8ELi32ELi8ELi8ELi32ELc67ELc67EKPKfS3_KPfEEvlllT_PT11_llS8_llS6_PT12_llPT13_lli.kd
    .uniform_work_group_size: 1
    .uses_dynamic_stack: false
    .vgpr_count:     59
    .vgpr_spill_count: 0
    .wavefront_size: 32
    .workgroup_processor_mode: 1
  - .args:
      - .offset:         0
        .size:           8
        .value_kind:     by_value
      - .offset:         8
        .size:           8
        .value_kind:     by_value
      - .offset:         16
        .size:           8
        .value_kind:     by_value
      - .offset:         24
        .size:           4
        .value_kind:     by_value
      - .address_space:  global
        .offset:         32
        .size:           8
        .value_kind:     global_buffer
      - .offset:         40
        .size:           8
        .value_kind:     by_value
      - .offset:         48
        .size:           8
        .value_kind:     by_value
      - .address_space:  global
        .offset:         56
        .size:           8
        .value_kind:     global_buffer
      - .offset:         64
        .size:           8
        .value_kind:     by_value
      - .offset:         72
        .size:           8
        .value_kind:     by_value
      - .offset:         80
        .size:           4
        .value_kind:     by_value
      - .address_space:  global
        .offset:         88
        .size:           8
        .value_kind:     global_buffer
      - .offset:         96
        .size:           8
        .value_kind:     by_value
      - .offset:         104
        .size:           8
        .value_kind:     by_value
      - .address_space:  global
        .offset:         112
        .size:           8
        .value_kind:     global_buffer
      - .offset:         120
        .size:           8
        .value_kind:     by_value
      - .offset:         128
        .size:           8
        .value_kind:     by_value
      - .offset:         136
        .size:           4
        .value_kind:     by_value
    .group_segment_fixed_size: 2048
    .kernarg_segment_align: 8
    .kernarg_segment_size: 140
    .language:       OpenCL C
    .language_version:
      - 2
      - 0
    .max_flat_workgroup_size: 256
    .name:           _ZN12_GLOBAL__N_127rocblas_gemm_batched_kernelIfLi16ELi16ELi32ELi32ELi8ELi32ELi8ELi8ELi32ELc67ELc78EKPKfS3_KPfEEvlllT_PT11_llS8_llS6_PT12_llPT13_lli
    .private_segment_fixed_size: 0
    .sgpr_count:     38
    .sgpr_spill_count: 0
    .symbol:         _ZN12_GLOBAL__N_127rocblas_gemm_batched_kernelIfLi16ELi16ELi32ELi32ELi8ELi32ELi8ELi8ELi32ELc67ELc78EKPKfS3_KPfEEvlllT_PT11_llS8_llS6_PT12_llPT13_lli.kd
    .uniform_work_group_size: 1
    .uses_dynamic_stack: false
    .vgpr_count:     59
    .vgpr_spill_count: 0
    .wavefront_size: 32
    .workgroup_processor_mode: 1
  - .args:
      - .offset:         0
        .size:           8
        .value_kind:     by_value
      - .offset:         8
        .size:           8
        .value_kind:     by_value
      - .offset:         16
        .size:           8
        .value_kind:     by_value
      - .offset:         24
        .size:           4
        .value_kind:     by_value
      - .address_space:  global
        .offset:         32
        .size:           8
        .value_kind:     global_buffer
      - .offset:         40
        .size:           8
        .value_kind:     by_value
      - .offset:         48
        .size:           8
        .value_kind:     by_value
      - .address_space:  global
        .offset:         56
        .size:           8
        .value_kind:     global_buffer
      - .offset:         64
        .size:           8
        .value_kind:     by_value
      - .offset:         72
        .size:           8
        .value_kind:     by_value
      - .offset:         80
        .size:           4
        .value_kind:     by_value
      - .address_space:  global
        .offset:         88
        .size:           8
        .value_kind:     global_buffer
      - .offset:         96
        .size:           8
        .value_kind:     by_value
      - .offset:         104
        .size:           8
        .value_kind:     by_value
      - .address_space:  global
        .offset:         112
        .size:           8
        .value_kind:     global_buffer
      - .offset:         120
        .size:           8
        .value_kind:     by_value
      - .offset:         128
        .size:           8
        .value_kind:     by_value
      - .offset:         136
        .size:           4
        .value_kind:     by_value
    .group_segment_fixed_size: 2048
    .kernarg_segment_align: 8
    .kernarg_segment_size: 140
    .language:       OpenCL C
    .language_version:
      - 2
      - 0
    .max_flat_workgroup_size: 256
    .name:           _ZN12_GLOBAL__N_127rocblas_gemm_batched_kernelIfLi16ELi16ELi32ELi32ELi8ELi32ELi8ELi8ELi32ELc67ELc84EKPKfS3_KPfEEvlllT_PT11_llS8_llS6_PT12_llPT13_lli
    .private_segment_fixed_size: 0
    .sgpr_count:     40
    .sgpr_spill_count: 0
    .symbol:         _ZN12_GLOBAL__N_127rocblas_gemm_batched_kernelIfLi16ELi16ELi32ELi32ELi8ELi32ELi8ELi8ELi32ELc67ELc84EKPKfS3_KPfEEvlllT_PT11_llS8_llS6_PT12_llPT13_lli.kd
    .uniform_work_group_size: 1
    .uses_dynamic_stack: false
    .vgpr_count:     59
    .vgpr_spill_count: 0
    .wavefront_size: 32
    .workgroup_processor_mode: 1
  - .args:
      - .offset:         0
        .size:           8
        .value_kind:     by_value
      - .offset:         8
        .size:           8
        .value_kind:     by_value
      - .offset:         16
        .size:           8
        .value_kind:     by_value
      - .offset:         24
        .size:           4
        .value_kind:     by_value
      - .address_space:  global
        .offset:         32
        .size:           8
        .value_kind:     global_buffer
      - .offset:         40
        .size:           8
        .value_kind:     by_value
      - .offset:         48
        .size:           8
        .value_kind:     by_value
      - .address_space:  global
        .offset:         56
        .size:           8
        .value_kind:     global_buffer
      - .offset:         64
        .size:           8
        .value_kind:     by_value
      - .offset:         72
        .size:           8
        .value_kind:     by_value
      - .offset:         80
        .size:           4
        .value_kind:     by_value
      - .address_space:  global
        .offset:         88
        .size:           8
        .value_kind:     global_buffer
      - .offset:         96
        .size:           8
        .value_kind:     by_value
      - .offset:         104
        .size:           8
        .value_kind:     by_value
      - .address_space:  global
        .offset:         112
        .size:           8
        .value_kind:     global_buffer
      - .offset:         120
        .size:           8
        .value_kind:     by_value
      - .offset:         128
        .size:           8
        .value_kind:     by_value
      - .offset:         136
        .size:           4
        .value_kind:     by_value
    .group_segment_fixed_size: 2048
    .kernarg_segment_align: 8
    .kernarg_segment_size: 140
    .language:       OpenCL C
    .language_version:
      - 2
      - 0
    .max_flat_workgroup_size: 256
    .name:           _ZN12_GLOBAL__N_127rocblas_gemm_batched_kernelIfLi16ELi16ELi32ELi32ELi8ELi32ELi8ELi8ELi32ELc78ELc67EKPKfS3_KPfEEvlllT_PT11_llS8_llS6_PT12_llPT13_lli
    .private_segment_fixed_size: 0
    .sgpr_count:     41
    .sgpr_spill_count: 0
    .symbol:         _ZN12_GLOBAL__N_127rocblas_gemm_batched_kernelIfLi16ELi16ELi32ELi32ELi8ELi32ELi8ELi8ELi32ELc78ELc67EKPKfS3_KPfEEvlllT_PT11_llS8_llS6_PT12_llPT13_lli.kd
    .uniform_work_group_size: 1
    .uses_dynamic_stack: false
    .vgpr_count:     59
    .vgpr_spill_count: 0
    .wavefront_size: 32
    .workgroup_processor_mode: 1
  - .args:
      - .offset:         0
        .size:           8
        .value_kind:     by_value
      - .offset:         8
        .size:           8
        .value_kind:     by_value
      - .offset:         16
        .size:           8
        .value_kind:     by_value
      - .offset:         24
        .size:           4
        .value_kind:     by_value
      - .address_space:  global
        .offset:         32
        .size:           8
        .value_kind:     global_buffer
      - .offset:         40
        .size:           8
        .value_kind:     by_value
      - .offset:         48
        .size:           8
        .value_kind:     by_value
      - .address_space:  global
        .offset:         56
        .size:           8
        .value_kind:     global_buffer
      - .offset:         64
        .size:           8
        .value_kind:     by_value
      - .offset:         72
        .size:           8
        .value_kind:     by_value
      - .offset:         80
        .size:           4
        .value_kind:     by_value
      - .address_space:  global
        .offset:         88
        .size:           8
        .value_kind:     global_buffer
      - .offset:         96
        .size:           8
        .value_kind:     by_value
      - .offset:         104
        .size:           8
        .value_kind:     by_value
      - .address_space:  global
        .offset:         112
        .size:           8
        .value_kind:     global_buffer
      - .offset:         120
        .size:           8
        .value_kind:     by_value
      - .offset:         128
        .size:           8
        .value_kind:     by_value
      - .offset:         136
        .size:           4
        .value_kind:     by_value
    .group_segment_fixed_size: 2048
    .kernarg_segment_align: 8
    .kernarg_segment_size: 140
    .language:       OpenCL C
    .language_version:
      - 2
      - 0
    .max_flat_workgroup_size: 256
    .name:           _ZN12_GLOBAL__N_127rocblas_gemm_batched_kernelIfLi16ELi16ELi32ELi32ELi8ELi32ELi8ELi8ELi32ELc84ELc67EKPKfS3_KPfEEvlllT_PT11_llS8_llS6_PT12_llPT13_lli
    .private_segment_fixed_size: 0
    .sgpr_count:     40
    .sgpr_spill_count: 0
    .symbol:         _ZN12_GLOBAL__N_127rocblas_gemm_batched_kernelIfLi16ELi16ELi32ELi32ELi8ELi32ELi8ELi8ELi32ELc84ELc67EKPKfS3_KPfEEvlllT_PT11_llS8_llS6_PT12_llPT13_lli.kd
    .uniform_work_group_size: 1
    .uses_dynamic_stack: false
    .vgpr_count:     59
    .vgpr_spill_count: 0
    .wavefront_size: 32
    .workgroup_processor_mode: 1
  - .args:
      - .offset:         0
        .size:           8
        .value_kind:     by_value
      - .offset:         8
        .size:           8
        .value_kind:     by_value
      - .offset:         16
        .size:           8
        .value_kind:     by_value
      - .offset:         24
        .size:           4
        .value_kind:     by_value
      - .address_space:  global
        .offset:         32
        .size:           8
        .value_kind:     global_buffer
      - .offset:         40
        .size:           8
        .value_kind:     by_value
      - .offset:         48
        .size:           8
        .value_kind:     by_value
      - .address_space:  global
        .offset:         56
        .size:           8
        .value_kind:     global_buffer
      - .offset:         64
        .size:           8
        .value_kind:     by_value
      - .offset:         72
        .size:           8
        .value_kind:     by_value
      - .offset:         80
        .size:           4
        .value_kind:     by_value
      - .address_space:  global
        .offset:         88
        .size:           8
        .value_kind:     global_buffer
      - .offset:         96
        .size:           8
        .value_kind:     by_value
      - .offset:         104
        .size:           8
        .value_kind:     by_value
      - .address_space:  global
        .offset:         112
        .size:           8
        .value_kind:     global_buffer
      - .offset:         120
        .size:           8
        .value_kind:     by_value
      - .offset:         128
        .size:           8
        .value_kind:     by_value
      - .offset:         136
        .size:           4
        .value_kind:     by_value
    .group_segment_fixed_size: 2048
    .kernarg_segment_align: 8
    .kernarg_segment_size: 140
    .language:       OpenCL C
    .language_version:
      - 2
      - 0
    .max_flat_workgroup_size: 256
    .name:           _ZN12_GLOBAL__N_135rocblas_gemm_batched_general_kernelIfLi16ELi16ELi32ELi32ELi8ELi32ELi8ELi8ELi32ELc78ELc78EKPKfS3_KPfEEvlllT_PT11_llS8_llS6_PT12_llPT13_lli
    .private_segment_fixed_size: 0
    .sgpr_count:     45
    .sgpr_spill_count: 0
    .symbol:         _ZN12_GLOBAL__N_135rocblas_gemm_batched_general_kernelIfLi16ELi16ELi32ELi32ELi8ELi32ELi8ELi8ELi32ELc78ELc78EKPKfS3_KPfEEvlllT_PT11_llS8_llS6_PT12_llPT13_lli.kd
    .uniform_work_group_size: 1
    .uses_dynamic_stack: false
    .vgpr_count:     57
    .vgpr_spill_count: 0
    .wavefront_size: 32
    .workgroup_processor_mode: 1
  - .args:
      - .offset:         0
        .size:           8
        .value_kind:     by_value
      - .offset:         8
        .size:           8
        .value_kind:     by_value
      - .offset:         16
        .size:           8
        .value_kind:     by_value
      - .offset:         24
        .size:           4
        .value_kind:     by_value
      - .address_space:  global
        .offset:         32
        .size:           8
        .value_kind:     global_buffer
      - .offset:         40
        .size:           8
        .value_kind:     by_value
      - .offset:         48
        .size:           8
        .value_kind:     by_value
      - .address_space:  global
        .offset:         56
        .size:           8
        .value_kind:     global_buffer
      - .offset:         64
        .size:           8
        .value_kind:     by_value
      - .offset:         72
        .size:           8
        .value_kind:     by_value
      - .offset:         80
        .size:           4
        .value_kind:     by_value
      - .address_space:  global
        .offset:         88
        .size:           8
        .value_kind:     global_buffer
      - .offset:         96
        .size:           8
        .value_kind:     by_value
      - .offset:         104
        .size:           8
        .value_kind:     by_value
      - .address_space:  global
        .offset:         112
        .size:           8
        .value_kind:     global_buffer
      - .offset:         120
        .size:           8
        .value_kind:     by_value
      - .offset:         128
        .size:           8
        .value_kind:     by_value
      - .offset:         136
        .size:           4
        .value_kind:     by_value
    .group_segment_fixed_size: 2048
    .kernarg_segment_align: 8
    .kernarg_segment_size: 140
    .language:       OpenCL C
    .language_version:
      - 2
      - 0
    .max_flat_workgroup_size: 256
    .name:           _ZN12_GLOBAL__N_135rocblas_gemm_batched_general_kernelIfLi16ELi16ELi32ELi32ELi8ELi32ELi8ELi8ELi32ELc84ELc78EKPKfS3_KPfEEvlllT_PT11_llS8_llS6_PT12_llPT13_lli
    .private_segment_fixed_size: 0
    .sgpr_count:     44
    .sgpr_spill_count: 0
    .symbol:         _ZN12_GLOBAL__N_135rocblas_gemm_batched_general_kernelIfLi16ELi16ELi32ELi32ELi8ELi32ELi8ELi8ELi32ELc84ELc78EKPKfS3_KPfEEvlllT_PT11_llS8_llS6_PT12_llPT13_lli.kd
    .uniform_work_group_size: 1
    .uses_dynamic_stack: false
    .vgpr_count:     57
    .vgpr_spill_count: 0
    .wavefront_size: 32
    .workgroup_processor_mode: 1
  - .args:
      - .offset:         0
        .size:           8
        .value_kind:     by_value
      - .offset:         8
        .size:           8
        .value_kind:     by_value
      - .offset:         16
        .size:           8
        .value_kind:     by_value
      - .offset:         24
        .size:           4
        .value_kind:     by_value
      - .address_space:  global
        .offset:         32
        .size:           8
        .value_kind:     global_buffer
      - .offset:         40
        .size:           8
        .value_kind:     by_value
      - .offset:         48
        .size:           8
        .value_kind:     by_value
      - .address_space:  global
        .offset:         56
        .size:           8
        .value_kind:     global_buffer
      - .offset:         64
        .size:           8
        .value_kind:     by_value
      - .offset:         72
        .size:           8
        .value_kind:     by_value
      - .offset:         80
        .size:           4
        .value_kind:     by_value
      - .address_space:  global
        .offset:         88
        .size:           8
        .value_kind:     global_buffer
      - .offset:         96
        .size:           8
        .value_kind:     by_value
      - .offset:         104
        .size:           8
        .value_kind:     by_value
      - .address_space:  global
        .offset:         112
        .size:           8
        .value_kind:     global_buffer
      - .offset:         120
        .size:           8
        .value_kind:     by_value
      - .offset:         128
        .size:           8
        .value_kind:     by_value
      - .offset:         136
        .size:           4
        .value_kind:     by_value
    .group_segment_fixed_size: 2048
    .kernarg_segment_align: 8
    .kernarg_segment_size: 140
    .language:       OpenCL C
    .language_version:
      - 2
      - 0
    .max_flat_workgroup_size: 256
    .name:           _ZN12_GLOBAL__N_135rocblas_gemm_batched_general_kernelIfLi16ELi16ELi32ELi32ELi8ELi32ELi8ELi8ELi32ELc78ELc84EKPKfS3_KPfEEvlllT_PT11_llS8_llS6_PT12_llPT13_lli
    .private_segment_fixed_size: 0
    .sgpr_count:     48
    .sgpr_spill_count: 0
    .symbol:         _ZN12_GLOBAL__N_135rocblas_gemm_batched_general_kernelIfLi16ELi16ELi32ELi32ELi8ELi32ELi8ELi8ELi32ELc78ELc84EKPKfS3_KPfEEvlllT_PT11_llS8_llS6_PT12_llPT13_lli.kd
    .uniform_work_group_size: 1
    .uses_dynamic_stack: false
    .vgpr_count:     57
    .vgpr_spill_count: 0
    .wavefront_size: 32
    .workgroup_processor_mode: 1
  - .args:
      - .offset:         0
        .size:           8
        .value_kind:     by_value
      - .offset:         8
        .size:           8
        .value_kind:     by_value
      - .offset:         16
        .size:           8
        .value_kind:     by_value
      - .offset:         24
        .size:           4
        .value_kind:     by_value
      - .address_space:  global
        .offset:         32
        .size:           8
        .value_kind:     global_buffer
      - .offset:         40
        .size:           8
        .value_kind:     by_value
      - .offset:         48
        .size:           8
        .value_kind:     by_value
      - .address_space:  global
        .offset:         56
        .size:           8
        .value_kind:     global_buffer
      - .offset:         64
        .size:           8
        .value_kind:     by_value
      - .offset:         72
        .size:           8
        .value_kind:     by_value
      - .offset:         80
        .size:           4
        .value_kind:     by_value
      - .address_space:  global
        .offset:         88
        .size:           8
        .value_kind:     global_buffer
      - .offset:         96
        .size:           8
        .value_kind:     by_value
      - .offset:         104
        .size:           8
        .value_kind:     by_value
      - .address_space:  global
        .offset:         112
        .size:           8
        .value_kind:     global_buffer
      - .offset:         120
        .size:           8
        .value_kind:     by_value
      - .offset:         128
        .size:           8
        .value_kind:     by_value
      - .offset:         136
        .size:           4
        .value_kind:     by_value
    .group_segment_fixed_size: 2048
    .kernarg_segment_align: 8
    .kernarg_segment_size: 140
    .language:       OpenCL C
    .language_version:
      - 2
      - 0
    .max_flat_workgroup_size: 256
    .name:           _ZN12_GLOBAL__N_135rocblas_gemm_batched_general_kernelIfLi16ELi16ELi32ELi32ELi8ELi32ELi8ELi8ELi32ELc84ELc84EKPKfS3_KPfEEvlllT_PT11_llS8_llS6_PT12_llPT13_lli
    .private_segment_fixed_size: 0
    .sgpr_count:     46
    .sgpr_spill_count: 0
    .symbol:         _ZN12_GLOBAL__N_135rocblas_gemm_batched_general_kernelIfLi16ELi16ELi32ELi32ELi8ELi32ELi8ELi8ELi32ELc84ELc84EKPKfS3_KPfEEvlllT_PT11_llS8_llS6_PT12_llPT13_lli.kd
    .uniform_work_group_size: 1
    .uses_dynamic_stack: false
    .vgpr_count:     57
    .vgpr_spill_count: 0
    .wavefront_size: 32
    .workgroup_processor_mode: 1
  - .args:
      - .offset:         0
        .size:           8
        .value_kind:     by_value
      - .offset:         8
        .size:           8
        .value_kind:     by_value
      - .offset:         16
        .size:           8
        .value_kind:     by_value
      - .offset:         24
        .size:           4
        .value_kind:     by_value
      - .address_space:  global
        .offset:         32
        .size:           8
        .value_kind:     global_buffer
      - .offset:         40
        .size:           8
        .value_kind:     by_value
      - .offset:         48
        .size:           8
        .value_kind:     by_value
      - .address_space:  global
        .offset:         56
        .size:           8
        .value_kind:     global_buffer
      - .offset:         64
        .size:           8
        .value_kind:     by_value
      - .offset:         72
        .size:           8
        .value_kind:     by_value
      - .offset:         80
        .size:           4
        .value_kind:     by_value
      - .address_space:  global
        .offset:         88
        .size:           8
        .value_kind:     global_buffer
      - .offset:         96
        .size:           8
        .value_kind:     by_value
      - .offset:         104
        .size:           8
        .value_kind:     by_value
      - .address_space:  global
        .offset:         112
        .size:           8
        .value_kind:     global_buffer
      - .offset:         120
        .size:           8
        .value_kind:     by_value
      - .offset:         128
        .size:           8
        .value_kind:     by_value
      - .offset:         136
        .size:           4
        .value_kind:     by_value
    .group_segment_fixed_size: 2048
    .kernarg_segment_align: 8
    .kernarg_segment_size: 140
    .language:       OpenCL C
    .language_version:
      - 2
      - 0
    .max_flat_workgroup_size: 256
    .name:           _ZN12_GLOBAL__N_135rocblas_gemm_batched_general_kernelIfLi16ELi16ELi32ELi32ELi8ELi32ELi8ELi8ELi32ELc67ELc67EKPKfS3_KPfEEvlllT_PT11_llS8_llS6_PT12_llPT13_lli
    .private_segment_fixed_size: 0
    .sgpr_count:     46
    .sgpr_spill_count: 0
    .symbol:         _ZN12_GLOBAL__N_135rocblas_gemm_batched_general_kernelIfLi16ELi16ELi32ELi32ELi8ELi32ELi8ELi8ELi32ELc67ELc67EKPKfS3_KPfEEvlllT_PT11_llS8_llS6_PT12_llPT13_lli.kd
    .uniform_work_group_size: 1
    .uses_dynamic_stack: false
    .vgpr_count:     57
    .vgpr_spill_count: 0
    .wavefront_size: 32
    .workgroup_processor_mode: 1
  - .args:
      - .offset:         0
        .size:           8
        .value_kind:     by_value
      - .offset:         8
        .size:           8
        .value_kind:     by_value
      - .offset:         16
        .size:           8
        .value_kind:     by_value
      - .offset:         24
        .size:           4
        .value_kind:     by_value
      - .address_space:  global
        .offset:         32
        .size:           8
        .value_kind:     global_buffer
      - .offset:         40
        .size:           8
        .value_kind:     by_value
      - .offset:         48
        .size:           8
        .value_kind:     by_value
      - .address_space:  global
        .offset:         56
        .size:           8
        .value_kind:     global_buffer
      - .offset:         64
        .size:           8
        .value_kind:     by_value
      - .offset:         72
        .size:           8
        .value_kind:     by_value
      - .offset:         80
        .size:           4
        .value_kind:     by_value
      - .address_space:  global
        .offset:         88
        .size:           8
        .value_kind:     global_buffer
      - .offset:         96
        .size:           8
        .value_kind:     by_value
      - .offset:         104
        .size:           8
        .value_kind:     by_value
      - .address_space:  global
        .offset:         112
        .size:           8
        .value_kind:     global_buffer
      - .offset:         120
        .size:           8
        .value_kind:     by_value
      - .offset:         128
        .size:           8
        .value_kind:     by_value
      - .offset:         136
        .size:           4
        .value_kind:     by_value
    .group_segment_fixed_size: 2048
    .kernarg_segment_align: 8
    .kernarg_segment_size: 140
    .language:       OpenCL C
    .language_version:
      - 2
      - 0
    .max_flat_workgroup_size: 256
    .name:           _ZN12_GLOBAL__N_135rocblas_gemm_batched_general_kernelIfLi16ELi16ELi32ELi32ELi8ELi32ELi8ELi8ELi32ELc67ELc78EKPKfS3_KPfEEvlllT_PT11_llS8_llS6_PT12_llPT13_lli
    .private_segment_fixed_size: 0
    .sgpr_count:     44
    .sgpr_spill_count: 0
    .symbol:         _ZN12_GLOBAL__N_135rocblas_gemm_batched_general_kernelIfLi16ELi16ELi32ELi32ELi8ELi32ELi8ELi8ELi32ELc67ELc78EKPKfS3_KPfEEvlllT_PT11_llS8_llS6_PT12_llPT13_lli.kd
    .uniform_work_group_size: 1
    .uses_dynamic_stack: false
    .vgpr_count:     57
    .vgpr_spill_count: 0
    .wavefront_size: 32
    .workgroup_processor_mode: 1
  - .args:
      - .offset:         0
        .size:           8
        .value_kind:     by_value
      - .offset:         8
        .size:           8
        .value_kind:     by_value
      - .offset:         16
        .size:           8
        .value_kind:     by_value
      - .offset:         24
        .size:           4
        .value_kind:     by_value
      - .address_space:  global
        .offset:         32
        .size:           8
        .value_kind:     global_buffer
      - .offset:         40
        .size:           8
        .value_kind:     by_value
      - .offset:         48
        .size:           8
        .value_kind:     by_value
      - .address_space:  global
        .offset:         56
        .size:           8
        .value_kind:     global_buffer
      - .offset:         64
        .size:           8
        .value_kind:     by_value
      - .offset:         72
        .size:           8
        .value_kind:     by_value
      - .offset:         80
        .size:           4
        .value_kind:     by_value
      - .address_space:  global
        .offset:         88
        .size:           8
        .value_kind:     global_buffer
      - .offset:         96
        .size:           8
        .value_kind:     by_value
      - .offset:         104
        .size:           8
        .value_kind:     by_value
      - .address_space:  global
        .offset:         112
        .size:           8
        .value_kind:     global_buffer
      - .offset:         120
        .size:           8
        .value_kind:     by_value
      - .offset:         128
        .size:           8
        .value_kind:     by_value
      - .offset:         136
        .size:           4
        .value_kind:     by_value
    .group_segment_fixed_size: 2048
    .kernarg_segment_align: 8
    .kernarg_segment_size: 140
    .language:       OpenCL C
    .language_version:
      - 2
      - 0
    .max_flat_workgroup_size: 256
    .name:           _ZN12_GLOBAL__N_135rocblas_gemm_batched_general_kernelIfLi16ELi16ELi32ELi32ELi8ELi32ELi8ELi8ELi32ELc67ELc84EKPKfS3_KPfEEvlllT_PT11_llS8_llS6_PT12_llPT13_lli
    .private_segment_fixed_size: 0
    .sgpr_count:     46
    .sgpr_spill_count: 0
    .symbol:         _ZN12_GLOBAL__N_135rocblas_gemm_batched_general_kernelIfLi16ELi16ELi32ELi32ELi8ELi32ELi8ELi8ELi32ELc67ELc84EKPKfS3_KPfEEvlllT_PT11_llS8_llS6_PT12_llPT13_lli.kd
    .uniform_work_group_size: 1
    .uses_dynamic_stack: false
    .vgpr_count:     57
    .vgpr_spill_count: 0
    .wavefront_size: 32
    .workgroup_processor_mode: 1
  - .args:
      - .offset:         0
        .size:           8
        .value_kind:     by_value
      - .offset:         8
        .size:           8
        .value_kind:     by_value
      - .offset:         16
        .size:           8
        .value_kind:     by_value
      - .offset:         24
        .size:           4
        .value_kind:     by_value
      - .address_space:  global
        .offset:         32
        .size:           8
        .value_kind:     global_buffer
      - .offset:         40
        .size:           8
        .value_kind:     by_value
      - .offset:         48
        .size:           8
        .value_kind:     by_value
      - .address_space:  global
        .offset:         56
        .size:           8
        .value_kind:     global_buffer
      - .offset:         64
        .size:           8
        .value_kind:     by_value
      - .offset:         72
        .size:           8
        .value_kind:     by_value
      - .offset:         80
        .size:           4
        .value_kind:     by_value
      - .address_space:  global
        .offset:         88
        .size:           8
        .value_kind:     global_buffer
      - .offset:         96
        .size:           8
        .value_kind:     by_value
      - .offset:         104
        .size:           8
        .value_kind:     by_value
      - .address_space:  global
        .offset:         112
        .size:           8
        .value_kind:     global_buffer
      - .offset:         120
        .size:           8
        .value_kind:     by_value
      - .offset:         128
        .size:           8
        .value_kind:     by_value
      - .offset:         136
        .size:           4
        .value_kind:     by_value
    .group_segment_fixed_size: 2048
    .kernarg_segment_align: 8
    .kernarg_segment_size: 140
    .language:       OpenCL C
    .language_version:
      - 2
      - 0
    .max_flat_workgroup_size: 256
    .name:           _ZN12_GLOBAL__N_135rocblas_gemm_batched_general_kernelIfLi16ELi16ELi32ELi32ELi8ELi32ELi8ELi8ELi32ELc78ELc67EKPKfS3_KPfEEvlllT_PT11_llS8_llS6_PT12_llPT13_lli
    .private_segment_fixed_size: 0
    .sgpr_count:     48
    .sgpr_spill_count: 0
    .symbol:         _ZN12_GLOBAL__N_135rocblas_gemm_batched_general_kernelIfLi16ELi16ELi32ELi32ELi8ELi32ELi8ELi8ELi32ELc78ELc67EKPKfS3_KPfEEvlllT_PT11_llS8_llS6_PT12_llPT13_lli.kd
    .uniform_work_group_size: 1
    .uses_dynamic_stack: false
    .vgpr_count:     57
    .vgpr_spill_count: 0
    .wavefront_size: 32
    .workgroup_processor_mode: 1
  - .args:
      - .offset:         0
        .size:           8
        .value_kind:     by_value
      - .offset:         8
        .size:           8
        .value_kind:     by_value
      - .offset:         16
        .size:           8
        .value_kind:     by_value
      - .offset:         24
        .size:           4
        .value_kind:     by_value
      - .address_space:  global
        .offset:         32
        .size:           8
        .value_kind:     global_buffer
      - .offset:         40
        .size:           8
        .value_kind:     by_value
      - .offset:         48
        .size:           8
        .value_kind:     by_value
      - .address_space:  global
        .offset:         56
        .size:           8
        .value_kind:     global_buffer
      - .offset:         64
        .size:           8
        .value_kind:     by_value
      - .offset:         72
        .size:           8
        .value_kind:     by_value
      - .offset:         80
        .size:           4
        .value_kind:     by_value
      - .address_space:  global
        .offset:         88
        .size:           8
        .value_kind:     global_buffer
      - .offset:         96
        .size:           8
        .value_kind:     by_value
      - .offset:         104
        .size:           8
        .value_kind:     by_value
      - .address_space:  global
        .offset:         112
        .size:           8
        .value_kind:     global_buffer
      - .offset:         120
        .size:           8
        .value_kind:     by_value
      - .offset:         128
        .size:           8
        .value_kind:     by_value
      - .offset:         136
        .size:           4
        .value_kind:     by_value
    .group_segment_fixed_size: 2048
    .kernarg_segment_align: 8
    .kernarg_segment_size: 140
    .language:       OpenCL C
    .language_version:
      - 2
      - 0
    .max_flat_workgroup_size: 256
    .name:           _ZN12_GLOBAL__N_135rocblas_gemm_batched_general_kernelIfLi16ELi16ELi32ELi32ELi8ELi32ELi8ELi8ELi32ELc84ELc67EKPKfS3_KPfEEvlllT_PT11_llS8_llS6_PT12_llPT13_lli
    .private_segment_fixed_size: 0
    .sgpr_count:     46
    .sgpr_spill_count: 0
    .symbol:         _ZN12_GLOBAL__N_135rocblas_gemm_batched_general_kernelIfLi16ELi16ELi32ELi32ELi8ELi32ELi8ELi8ELi32ELc84ELc67EKPKfS3_KPfEEvlllT_PT11_llS8_llS6_PT12_llPT13_lli.kd
    .uniform_work_group_size: 1
    .uses_dynamic_stack: false
    .vgpr_count:     57
    .vgpr_spill_count: 0
    .wavefront_size: 32
    .workgroup_processor_mode: 1
  - .args:
      - .offset:         0
        .size:           4
        .value_kind:     by_value
      - .offset:         4
        .size:           4
        .value_kind:     by_value
      - .offset:         8
        .size:           8
        .value_kind:     by_value
      - .address_space:  global
        .offset:         16
        .size:           8
        .value_kind:     global_buffer
      - .offset:         24
        .size:           8
        .value_kind:     by_value
      - .offset:         32
        .size:           8
        .value_kind:     by_value
      - .offset:         40
        .size:           8
        .value_kind:     by_value
      - .offset:         48
        .size:           4
        .value_kind:     by_value
    .group_segment_fixed_size: 0
    .kernarg_segment_align: 8
    .kernarg_segment_size: 52
    .language:       OpenCL C
    .language_version:
      - 2
      - 0
    .max_flat_workgroup_size: 1024
    .name:           _ZN12_GLOBAL__N_125rocblas_gemm_scale_kernelILi32ELi32EdPKPdEEviiT1_T2_llli
    .private_segment_fixed_size: 0
    .sgpr_count:     16
    .sgpr_spill_count: 0
    .symbol:         _ZN12_GLOBAL__N_125rocblas_gemm_scale_kernelILi32ELi32EdPKPdEEviiT1_T2_llli.kd
    .uniform_work_group_size: 1
    .uses_dynamic_stack: false
    .vgpr_count:     8
    .vgpr_spill_count: 0
    .wavefront_size: 32
    .workgroup_processor_mode: 1
  - .args:
      - .offset:         0
        .size:           4
        .value_kind:     by_value
      - .offset:         4
        .size:           4
        .value_kind:     by_value
      - .offset:         8
        .size:           8
        .value_kind:     by_value
      - .address_space:  global
        .offset:         16
        .size:           8
        .value_kind:     global_buffer
      - .offset:         24
        .size:           8
        .value_kind:     by_value
      - .offset:         32
        .size:           8
        .value_kind:     by_value
      - .offset:         40
        .size:           8
        .value_kind:     by_value
      - .address_space:  global
        .offset:         48
        .size:           8
        .value_kind:     global_buffer
      - .offset:         56
        .size:           8
        .value_kind:     by_value
      - .offset:         64
        .size:           8
        .value_kind:     by_value
      - .offset:         72
        .size:           8
        .value_kind:     by_value
      - .offset:         80
        .size:           4
        .value_kind:     by_value
    .group_segment_fixed_size: 0
    .kernarg_segment_align: 8
    .kernarg_segment_size: 84
    .language:       OpenCL C
    .language_version:
      - 2
      - 0
    .max_flat_workgroup_size: 1024
    .name:           _ZN12_GLOBAL__N_120gemm_ex_scale_kernelILi32ELi32EdPKPKdPKPdEEviiT1_T2_lllT3_llli
    .private_segment_fixed_size: 0
    .sgpr_count:     24
    .sgpr_spill_count: 0
    .symbol:         _ZN12_GLOBAL__N_120gemm_ex_scale_kernelILi32ELi32EdPKPKdPKPdEEviiT1_T2_lllT3_llli.kd
    .uniform_work_group_size: 1
    .uses_dynamic_stack: false
    .vgpr_count:     10
    .vgpr_spill_count: 0
    .wavefront_size: 32
    .workgroup_processor_mode: 1
  - .args:
      - .offset:         0
        .size:           8
        .value_kind:     by_value
      - .offset:         8
        .size:           8
        .value_kind:     by_value
      - .offset:         16
        .size:           8
        .value_kind:     by_value
      - .offset:         24
        .size:           8
        .value_kind:     by_value
      - .address_space:  global
        .offset:         32
        .size:           8
        .value_kind:     global_buffer
      - .offset:         40
        .size:           8
        .value_kind:     by_value
      - .offset:         48
        .size:           8
        .value_kind:     by_value
      - .address_space:  global
        .offset:         56
        .size:           8
        .value_kind:     global_buffer
      - .offset:         64
        .size:           8
        .value_kind:     by_value
      - .offset:         72
        .size:           8
        .value_kind:     by_value
      - .offset:         80
        .size:           8
        .value_kind:     by_value
      - .address_space:  global
        .offset:         88
        .size:           8
        .value_kind:     global_buffer
      - .offset:         96
        .size:           8
        .value_kind:     by_value
      - .offset:         104
        .size:           8
        .value_kind:     by_value
      - .address_space:  global
        .offset:         112
        .size:           8
        .value_kind:     global_buffer
      - .offset:         120
        .size:           8
        .value_kind:     by_value
      - .offset:         128
        .size:           8
        .value_kind:     by_value
      - .offset:         136
        .size:           4
        .value_kind:     by_value
    .group_segment_fixed_size: 4096
    .kernarg_segment_align: 8
    .kernarg_segment_size: 140
    .language:       OpenCL C
    .language_version:
      - 2
      - 0
    .max_flat_workgroup_size: 256
    .name:           _ZN12_GLOBAL__N_127rocblas_gemm_batched_kernelIdLi16ELi16ELi64ELi64ELi4ELi64ELi4ELi4ELi64ELc78ELc78EKPKdS3_KPdEEvlllT_PT11_llS8_llS6_PT12_llPT13_lli
    .private_segment_fixed_size: 0
    .sgpr_count:     46
    .sgpr_spill_count: 0
    .symbol:         _ZN12_GLOBAL__N_127rocblas_gemm_batched_kernelIdLi16ELi16ELi64ELi64ELi4ELi64ELi4ELi4ELi64ELc78ELc78EKPKdS3_KPdEEvlllT_PT11_llS8_llS6_PT12_llPT13_lli.kd
    .uniform_work_group_size: 1
    .uses_dynamic_stack: false
    .vgpr_count:     95
    .vgpr_spill_count: 0
    .wavefront_size: 32
    .workgroup_processor_mode: 1
  - .args:
      - .offset:         0
        .size:           8
        .value_kind:     by_value
      - .offset:         8
        .size:           8
        .value_kind:     by_value
      - .offset:         16
        .size:           8
        .value_kind:     by_value
      - .offset:         24
        .size:           8
        .value_kind:     by_value
      - .address_space:  global
        .offset:         32
        .size:           8
        .value_kind:     global_buffer
      - .offset:         40
        .size:           8
        .value_kind:     by_value
      - .offset:         48
        .size:           8
        .value_kind:     by_value
      - .address_space:  global
        .offset:         56
        .size:           8
        .value_kind:     global_buffer
      - .offset:         64
        .size:           8
        .value_kind:     by_value
      - .offset:         72
        .size:           8
        .value_kind:     by_value
      - .offset:         80
        .size:           8
        .value_kind:     by_value
      - .address_space:  global
        .offset:         88
        .size:           8
        .value_kind:     global_buffer
      - .offset:         96
        .size:           8
        .value_kind:     by_value
      - .offset:         104
        .size:           8
        .value_kind:     by_value
      - .address_space:  global
        .offset:         112
        .size:           8
        .value_kind:     global_buffer
      - .offset:         120
        .size:           8
        .value_kind:     by_value
      - .offset:         128
        .size:           8
        .value_kind:     by_value
      - .offset:         136
        .size:           4
        .value_kind:     by_value
    .group_segment_fixed_size: 4096
    .kernarg_segment_align: 8
    .kernarg_segment_size: 140
    .language:       OpenCL C
    .language_version:
      - 2
      - 0
    .max_flat_workgroup_size: 256
    .name:           _ZN12_GLOBAL__N_127rocblas_gemm_batched_kernelIdLi16ELi16ELi64ELi64ELi4ELi64ELi4ELi4ELi64ELc84ELc78EKPKdS3_KPdEEvlllT_PT11_llS8_llS6_PT12_llPT13_lli
    .private_segment_fixed_size: 0
    .sgpr_count:     46
    .sgpr_spill_count: 0
    .symbol:         _ZN12_GLOBAL__N_127rocblas_gemm_batched_kernelIdLi16ELi16ELi64ELi64ELi4ELi64ELi4ELi4ELi64ELc84ELc78EKPKdS3_KPdEEvlllT_PT11_llS8_llS6_PT12_llPT13_lli.kd
    .uniform_work_group_size: 1
    .uses_dynamic_stack: false
    .vgpr_count:     95
    .vgpr_spill_count: 0
    .wavefront_size: 32
    .workgroup_processor_mode: 1
  - .args:
      - .offset:         0
        .size:           8
        .value_kind:     by_value
      - .offset:         8
        .size:           8
        .value_kind:     by_value
      - .offset:         16
        .size:           8
        .value_kind:     by_value
      - .offset:         24
        .size:           8
        .value_kind:     by_value
      - .address_space:  global
        .offset:         32
        .size:           8
        .value_kind:     global_buffer
      - .offset:         40
        .size:           8
        .value_kind:     by_value
      - .offset:         48
        .size:           8
        .value_kind:     by_value
      - .address_space:  global
        .offset:         56
        .size:           8
        .value_kind:     global_buffer
      - .offset:         64
        .size:           8
        .value_kind:     by_value
      - .offset:         72
        .size:           8
        .value_kind:     by_value
      - .offset:         80
        .size:           8
        .value_kind:     by_value
      - .address_space:  global
        .offset:         88
        .size:           8
        .value_kind:     global_buffer
      - .offset:         96
        .size:           8
        .value_kind:     by_value
      - .offset:         104
        .size:           8
        .value_kind:     by_value
      - .address_space:  global
        .offset:         112
        .size:           8
        .value_kind:     global_buffer
      - .offset:         120
        .size:           8
        .value_kind:     by_value
      - .offset:         128
        .size:           8
        .value_kind:     by_value
      - .offset:         136
        .size:           4
        .value_kind:     by_value
    .group_segment_fixed_size: 4096
    .kernarg_segment_align: 8
    .kernarg_segment_size: 140
    .language:       OpenCL C
    .language_version:
      - 2
      - 0
    .max_flat_workgroup_size: 256
    .name:           _ZN12_GLOBAL__N_127rocblas_gemm_batched_kernelIdLi16ELi16ELi64ELi64ELi4ELi64ELi4ELi4ELi64ELc78ELc84EKPKdS3_KPdEEvlllT_PT11_llS8_llS6_PT12_llPT13_lli
    .private_segment_fixed_size: 0
    .sgpr_count:     46
    .sgpr_spill_count: 0
    .symbol:         _ZN12_GLOBAL__N_127rocblas_gemm_batched_kernelIdLi16ELi16ELi64ELi64ELi4ELi64ELi4ELi4ELi64ELc78ELc84EKPKdS3_KPdEEvlllT_PT11_llS8_llS6_PT12_llPT13_lli.kd
    .uniform_work_group_size: 1
    .uses_dynamic_stack: false
    .vgpr_count:     95
    .vgpr_spill_count: 0
    .wavefront_size: 32
    .workgroup_processor_mode: 1
  - .args:
      - .offset:         0
        .size:           8
        .value_kind:     by_value
      - .offset:         8
        .size:           8
        .value_kind:     by_value
      - .offset:         16
        .size:           8
        .value_kind:     by_value
      - .offset:         24
        .size:           8
        .value_kind:     by_value
      - .address_space:  global
        .offset:         32
        .size:           8
        .value_kind:     global_buffer
      - .offset:         40
        .size:           8
        .value_kind:     by_value
      - .offset:         48
        .size:           8
        .value_kind:     by_value
      - .address_space:  global
        .offset:         56
        .size:           8
        .value_kind:     global_buffer
      - .offset:         64
        .size:           8
        .value_kind:     by_value
      - .offset:         72
        .size:           8
        .value_kind:     by_value
      - .offset:         80
        .size:           8
        .value_kind:     by_value
      - .address_space:  global
        .offset:         88
        .size:           8
        .value_kind:     global_buffer
      - .offset:         96
        .size:           8
        .value_kind:     by_value
      - .offset:         104
        .size:           8
        .value_kind:     by_value
      - .address_space:  global
        .offset:         112
        .size:           8
        .value_kind:     global_buffer
      - .offset:         120
        .size:           8
        .value_kind:     by_value
      - .offset:         128
        .size:           8
        .value_kind:     by_value
      - .offset:         136
        .size:           4
        .value_kind:     by_value
    .group_segment_fixed_size: 4096
    .kernarg_segment_align: 8
    .kernarg_segment_size: 140
    .language:       OpenCL C
    .language_version:
      - 2
      - 0
    .max_flat_workgroup_size: 256
    .name:           _ZN12_GLOBAL__N_127rocblas_gemm_batched_kernelIdLi16ELi16ELi64ELi64ELi4ELi64ELi4ELi4ELi64ELc84ELc84EKPKdS3_KPdEEvlllT_PT11_llS8_llS6_PT12_llPT13_lli
    .private_segment_fixed_size: 0
    .sgpr_count:     46
    .sgpr_spill_count: 0
    .symbol:         _ZN12_GLOBAL__N_127rocblas_gemm_batched_kernelIdLi16ELi16ELi64ELi64ELi4ELi64ELi4ELi4ELi64ELc84ELc84EKPKdS3_KPdEEvlllT_PT11_llS8_llS6_PT12_llPT13_lli.kd
    .uniform_work_group_size: 1
    .uses_dynamic_stack: false
    .vgpr_count:     95
    .vgpr_spill_count: 0
    .wavefront_size: 32
    .workgroup_processor_mode: 1
  - .args:
      - .offset:         0
        .size:           8
        .value_kind:     by_value
      - .offset:         8
        .size:           8
        .value_kind:     by_value
      - .offset:         16
        .size:           8
        .value_kind:     by_value
      - .offset:         24
        .size:           8
        .value_kind:     by_value
      - .address_space:  global
        .offset:         32
        .size:           8
        .value_kind:     global_buffer
      - .offset:         40
        .size:           8
        .value_kind:     by_value
      - .offset:         48
        .size:           8
        .value_kind:     by_value
      - .address_space:  global
        .offset:         56
        .size:           8
        .value_kind:     global_buffer
      - .offset:         64
        .size:           8
        .value_kind:     by_value
      - .offset:         72
        .size:           8
        .value_kind:     by_value
      - .offset:         80
        .size:           8
        .value_kind:     by_value
      - .address_space:  global
        .offset:         88
        .size:           8
        .value_kind:     global_buffer
      - .offset:         96
        .size:           8
        .value_kind:     by_value
      - .offset:         104
        .size:           8
        .value_kind:     by_value
      - .address_space:  global
        .offset:         112
        .size:           8
        .value_kind:     global_buffer
      - .offset:         120
        .size:           8
        .value_kind:     by_value
      - .offset:         128
        .size:           8
        .value_kind:     by_value
      - .offset:         136
        .size:           4
        .value_kind:     by_value
    .group_segment_fixed_size: 4096
    .kernarg_segment_align: 8
    .kernarg_segment_size: 140
    .language:       OpenCL C
    .language_version:
      - 2
      - 0
    .max_flat_workgroup_size: 256
    .name:           _ZN12_GLOBAL__N_127rocblas_gemm_batched_kernelIdLi16ELi16ELi64ELi64ELi4ELi64ELi4ELi4ELi64ELc67ELc67EKPKdS3_KPdEEvlllT_PT11_llS8_llS6_PT12_llPT13_lli
    .private_segment_fixed_size: 0
    .sgpr_count:     46
    .sgpr_spill_count: 0
    .symbol:         _ZN12_GLOBAL__N_127rocblas_gemm_batched_kernelIdLi16ELi16ELi64ELi64ELi4ELi64ELi4ELi4ELi64ELc67ELc67EKPKdS3_KPdEEvlllT_PT11_llS8_llS6_PT12_llPT13_lli.kd
    .uniform_work_group_size: 1
    .uses_dynamic_stack: false
    .vgpr_count:     95
    .vgpr_spill_count: 0
    .wavefront_size: 32
    .workgroup_processor_mode: 1
  - .args:
      - .offset:         0
        .size:           8
        .value_kind:     by_value
      - .offset:         8
        .size:           8
        .value_kind:     by_value
      - .offset:         16
        .size:           8
        .value_kind:     by_value
      - .offset:         24
        .size:           8
        .value_kind:     by_value
      - .address_space:  global
        .offset:         32
        .size:           8
        .value_kind:     global_buffer
      - .offset:         40
        .size:           8
        .value_kind:     by_value
      - .offset:         48
        .size:           8
        .value_kind:     by_value
      - .address_space:  global
        .offset:         56
        .size:           8
        .value_kind:     global_buffer
      - .offset:         64
        .size:           8
        .value_kind:     by_value
      - .offset:         72
        .size:           8
        .value_kind:     by_value
      - .offset:         80
        .size:           8
        .value_kind:     by_value
      - .address_space:  global
        .offset:         88
        .size:           8
        .value_kind:     global_buffer
      - .offset:         96
        .size:           8
        .value_kind:     by_value
      - .offset:         104
        .size:           8
        .value_kind:     by_value
      - .address_space:  global
        .offset:         112
        .size:           8
        .value_kind:     global_buffer
      - .offset:         120
        .size:           8
        .value_kind:     by_value
      - .offset:         128
        .size:           8
        .value_kind:     by_value
      - .offset:         136
        .size:           4
        .value_kind:     by_value
    .group_segment_fixed_size: 4096
    .kernarg_segment_align: 8
    .kernarg_segment_size: 140
    .language:       OpenCL C
    .language_version:
      - 2
      - 0
    .max_flat_workgroup_size: 256
    .name:           _ZN12_GLOBAL__N_127rocblas_gemm_batched_kernelIdLi16ELi16ELi64ELi64ELi4ELi64ELi4ELi4ELi64ELc67ELc78EKPKdS3_KPdEEvlllT_PT11_llS8_llS6_PT12_llPT13_lli
    .private_segment_fixed_size: 0
    .sgpr_count:     46
    .sgpr_spill_count: 0
    .symbol:         _ZN12_GLOBAL__N_127rocblas_gemm_batched_kernelIdLi16ELi16ELi64ELi64ELi4ELi64ELi4ELi4ELi64ELc67ELc78EKPKdS3_KPdEEvlllT_PT11_llS8_llS6_PT12_llPT13_lli.kd
    .uniform_work_group_size: 1
    .uses_dynamic_stack: false
    .vgpr_count:     95
    .vgpr_spill_count: 0
    .wavefront_size: 32
    .workgroup_processor_mode: 1
  - .args:
      - .offset:         0
        .size:           8
        .value_kind:     by_value
      - .offset:         8
        .size:           8
        .value_kind:     by_value
      - .offset:         16
        .size:           8
        .value_kind:     by_value
      - .offset:         24
        .size:           8
        .value_kind:     by_value
      - .address_space:  global
        .offset:         32
        .size:           8
        .value_kind:     global_buffer
      - .offset:         40
        .size:           8
        .value_kind:     by_value
      - .offset:         48
        .size:           8
        .value_kind:     by_value
      - .address_space:  global
        .offset:         56
        .size:           8
        .value_kind:     global_buffer
      - .offset:         64
        .size:           8
        .value_kind:     by_value
      - .offset:         72
        .size:           8
        .value_kind:     by_value
      - .offset:         80
        .size:           8
        .value_kind:     by_value
      - .address_space:  global
        .offset:         88
        .size:           8
        .value_kind:     global_buffer
      - .offset:         96
        .size:           8
        .value_kind:     by_value
      - .offset:         104
        .size:           8
        .value_kind:     by_value
      - .address_space:  global
        .offset:         112
        .size:           8
        .value_kind:     global_buffer
      - .offset:         120
        .size:           8
        .value_kind:     by_value
      - .offset:         128
        .size:           8
        .value_kind:     by_value
      - .offset:         136
        .size:           4
        .value_kind:     by_value
    .group_segment_fixed_size: 4096
    .kernarg_segment_align: 8
    .kernarg_segment_size: 140
    .language:       OpenCL C
    .language_version:
      - 2
      - 0
    .max_flat_workgroup_size: 256
    .name:           _ZN12_GLOBAL__N_127rocblas_gemm_batched_kernelIdLi16ELi16ELi64ELi64ELi4ELi64ELi4ELi4ELi64ELc67ELc84EKPKdS3_KPdEEvlllT_PT11_llS8_llS6_PT12_llPT13_lli
    .private_segment_fixed_size: 0
    .sgpr_count:     46
    .sgpr_spill_count: 0
    .symbol:         _ZN12_GLOBAL__N_127rocblas_gemm_batched_kernelIdLi16ELi16ELi64ELi64ELi4ELi64ELi4ELi4ELi64ELc67ELc84EKPKdS3_KPdEEvlllT_PT11_llS8_llS6_PT12_llPT13_lli.kd
    .uniform_work_group_size: 1
    .uses_dynamic_stack: false
    .vgpr_count:     95
    .vgpr_spill_count: 0
    .wavefront_size: 32
    .workgroup_processor_mode: 1
  - .args:
      - .offset:         0
        .size:           8
        .value_kind:     by_value
      - .offset:         8
        .size:           8
        .value_kind:     by_value
      - .offset:         16
        .size:           8
        .value_kind:     by_value
      - .offset:         24
        .size:           8
        .value_kind:     by_value
      - .address_space:  global
        .offset:         32
        .size:           8
        .value_kind:     global_buffer
      - .offset:         40
        .size:           8
        .value_kind:     by_value
      - .offset:         48
        .size:           8
        .value_kind:     by_value
      - .address_space:  global
        .offset:         56
        .size:           8
        .value_kind:     global_buffer
      - .offset:         64
        .size:           8
        .value_kind:     by_value
      - .offset:         72
        .size:           8
        .value_kind:     by_value
      - .offset:         80
        .size:           8
        .value_kind:     by_value
      - .address_space:  global
        .offset:         88
        .size:           8
        .value_kind:     global_buffer
      - .offset:         96
        .size:           8
        .value_kind:     by_value
      - .offset:         104
        .size:           8
        .value_kind:     by_value
      - .address_space:  global
        .offset:         112
        .size:           8
        .value_kind:     global_buffer
      - .offset:         120
        .size:           8
        .value_kind:     by_value
      - .offset:         128
        .size:           8
        .value_kind:     by_value
      - .offset:         136
        .size:           4
        .value_kind:     by_value
    .group_segment_fixed_size: 4096
    .kernarg_segment_align: 8
    .kernarg_segment_size: 140
    .language:       OpenCL C
    .language_version:
      - 2
      - 0
    .max_flat_workgroup_size: 256
    .name:           _ZN12_GLOBAL__N_127rocblas_gemm_batched_kernelIdLi16ELi16ELi64ELi64ELi4ELi64ELi4ELi4ELi64ELc78ELc67EKPKdS3_KPdEEvlllT_PT11_llS8_llS6_PT12_llPT13_lli
    .private_segment_fixed_size: 0
    .sgpr_count:     46
    .sgpr_spill_count: 0
    .symbol:         _ZN12_GLOBAL__N_127rocblas_gemm_batched_kernelIdLi16ELi16ELi64ELi64ELi4ELi64ELi4ELi4ELi64ELc78ELc67EKPKdS3_KPdEEvlllT_PT11_llS8_llS6_PT12_llPT13_lli.kd
    .uniform_work_group_size: 1
    .uses_dynamic_stack: false
    .vgpr_count:     95
    .vgpr_spill_count: 0
    .wavefront_size: 32
    .workgroup_processor_mode: 1
  - .args:
      - .offset:         0
        .size:           8
        .value_kind:     by_value
      - .offset:         8
        .size:           8
        .value_kind:     by_value
      - .offset:         16
        .size:           8
        .value_kind:     by_value
      - .offset:         24
        .size:           8
        .value_kind:     by_value
      - .address_space:  global
        .offset:         32
        .size:           8
        .value_kind:     global_buffer
      - .offset:         40
        .size:           8
        .value_kind:     by_value
      - .offset:         48
        .size:           8
        .value_kind:     by_value
      - .address_space:  global
        .offset:         56
        .size:           8
        .value_kind:     global_buffer
      - .offset:         64
        .size:           8
        .value_kind:     by_value
      - .offset:         72
        .size:           8
        .value_kind:     by_value
      - .offset:         80
        .size:           8
        .value_kind:     by_value
      - .address_space:  global
        .offset:         88
        .size:           8
        .value_kind:     global_buffer
      - .offset:         96
        .size:           8
        .value_kind:     by_value
      - .offset:         104
        .size:           8
        .value_kind:     by_value
      - .address_space:  global
        .offset:         112
        .size:           8
        .value_kind:     global_buffer
      - .offset:         120
        .size:           8
        .value_kind:     by_value
      - .offset:         128
        .size:           8
        .value_kind:     by_value
      - .offset:         136
        .size:           4
        .value_kind:     by_value
    .group_segment_fixed_size: 4096
    .kernarg_segment_align: 8
    .kernarg_segment_size: 140
    .language:       OpenCL C
    .language_version:
      - 2
      - 0
    .max_flat_workgroup_size: 256
    .name:           _ZN12_GLOBAL__N_127rocblas_gemm_batched_kernelIdLi16ELi16ELi64ELi64ELi4ELi64ELi4ELi4ELi64ELc84ELc67EKPKdS3_KPdEEvlllT_PT11_llS8_llS6_PT12_llPT13_lli
    .private_segment_fixed_size: 0
    .sgpr_count:     46
    .sgpr_spill_count: 0
    .symbol:         _ZN12_GLOBAL__N_127rocblas_gemm_batched_kernelIdLi16ELi16ELi64ELi64ELi4ELi64ELi4ELi4ELi64ELc84ELc67EKPKdS3_KPdEEvlllT_PT11_llS8_llS6_PT12_llPT13_lli.kd
    .uniform_work_group_size: 1
    .uses_dynamic_stack: false
    .vgpr_count:     95
    .vgpr_spill_count: 0
    .wavefront_size: 32
    .workgroup_processor_mode: 1
  - .args:
      - .offset:         0
        .size:           8
        .value_kind:     by_value
      - .offset:         8
        .size:           8
        .value_kind:     by_value
      - .offset:         16
        .size:           8
        .value_kind:     by_value
      - .offset:         24
        .size:           8
        .value_kind:     by_value
      - .address_space:  global
        .offset:         32
        .size:           8
        .value_kind:     global_buffer
      - .offset:         40
        .size:           8
        .value_kind:     by_value
      - .offset:         48
        .size:           8
        .value_kind:     by_value
      - .address_space:  global
        .offset:         56
        .size:           8
        .value_kind:     global_buffer
      - .offset:         64
        .size:           8
        .value_kind:     by_value
      - .offset:         72
        .size:           8
        .value_kind:     by_value
      - .offset:         80
        .size:           8
        .value_kind:     by_value
      - .address_space:  global
        .offset:         88
        .size:           8
        .value_kind:     global_buffer
      - .offset:         96
        .size:           8
        .value_kind:     by_value
      - .offset:         104
        .size:           8
        .value_kind:     by_value
      - .address_space:  global
        .offset:         112
        .size:           8
        .value_kind:     global_buffer
      - .offset:         120
        .size:           8
        .value_kind:     by_value
      - .offset:         128
        .size:           8
        .value_kind:     by_value
      - .offset:         136
        .size:           4
        .value_kind:     by_value
    .group_segment_fixed_size: 4096
    .kernarg_segment_align: 8
    .kernarg_segment_size: 140
    .language:       OpenCL C
    .language_version:
      - 2
      - 0
    .max_flat_workgroup_size: 256
    .name:           _ZN12_GLOBAL__N_127rocblas_gemm_batched_kernelIdLi16ELi16ELi32ELi32ELi8ELi32ELi8ELi8ELi32ELc78ELc78EKPKdS3_KPdEEvlllT_PT11_llS8_llS6_PT12_llPT13_lli
    .private_segment_fixed_size: 0
    .sgpr_count:     46
    .sgpr_spill_count: 0
    .symbol:         _ZN12_GLOBAL__N_127rocblas_gemm_batched_kernelIdLi16ELi16ELi32ELi32ELi8ELi32ELi8ELi8ELi32ELc78ELc78EKPKdS3_KPdEEvlllT_PT11_llS8_llS6_PT12_llPT13_lli.kd
    .uniform_work_group_size: 1
    .uses_dynamic_stack: false
    .vgpr_count:     51
    .vgpr_spill_count: 0
    .wavefront_size: 32
    .workgroup_processor_mode: 1
  - .args:
      - .offset:         0
        .size:           8
        .value_kind:     by_value
      - .offset:         8
        .size:           8
        .value_kind:     by_value
      - .offset:         16
        .size:           8
        .value_kind:     by_value
      - .offset:         24
        .size:           8
        .value_kind:     by_value
      - .address_space:  global
        .offset:         32
        .size:           8
        .value_kind:     global_buffer
      - .offset:         40
        .size:           8
        .value_kind:     by_value
      - .offset:         48
        .size:           8
        .value_kind:     by_value
      - .address_space:  global
        .offset:         56
        .size:           8
        .value_kind:     global_buffer
      - .offset:         64
        .size:           8
        .value_kind:     by_value
      - .offset:         72
        .size:           8
        .value_kind:     by_value
      - .offset:         80
        .size:           8
        .value_kind:     by_value
      - .address_space:  global
        .offset:         88
        .size:           8
        .value_kind:     global_buffer
      - .offset:         96
        .size:           8
        .value_kind:     by_value
      - .offset:         104
        .size:           8
        .value_kind:     by_value
      - .address_space:  global
        .offset:         112
        .size:           8
        .value_kind:     global_buffer
      - .offset:         120
        .size:           8
        .value_kind:     by_value
      - .offset:         128
        .size:           8
        .value_kind:     by_value
      - .offset:         136
        .size:           4
        .value_kind:     by_value
    .group_segment_fixed_size: 4096
    .kernarg_segment_align: 8
    .kernarg_segment_size: 140
    .language:       OpenCL C
    .language_version:
      - 2
      - 0
    .max_flat_workgroup_size: 256
    .name:           _ZN12_GLOBAL__N_127rocblas_gemm_batched_kernelIdLi16ELi16ELi32ELi32ELi8ELi32ELi8ELi8ELi32ELc84ELc78EKPKdS3_KPdEEvlllT_PT11_llS8_llS6_PT12_llPT13_lli
    .private_segment_fixed_size: 0
    .sgpr_count:     46
    .sgpr_spill_count: 0
    .symbol:         _ZN12_GLOBAL__N_127rocblas_gemm_batched_kernelIdLi16ELi16ELi32ELi32ELi8ELi32ELi8ELi8ELi32ELc84ELc78EKPKdS3_KPdEEvlllT_PT11_llS8_llS6_PT12_llPT13_lli.kd
    .uniform_work_group_size: 1
    .uses_dynamic_stack: false
    .vgpr_count:     51
    .vgpr_spill_count: 0
    .wavefront_size: 32
    .workgroup_processor_mode: 1
  - .args:
      - .offset:         0
        .size:           8
        .value_kind:     by_value
      - .offset:         8
        .size:           8
        .value_kind:     by_value
      - .offset:         16
        .size:           8
        .value_kind:     by_value
      - .offset:         24
        .size:           8
        .value_kind:     by_value
      - .address_space:  global
        .offset:         32
        .size:           8
        .value_kind:     global_buffer
      - .offset:         40
        .size:           8
        .value_kind:     by_value
      - .offset:         48
        .size:           8
        .value_kind:     by_value
      - .address_space:  global
        .offset:         56
        .size:           8
        .value_kind:     global_buffer
      - .offset:         64
        .size:           8
        .value_kind:     by_value
      - .offset:         72
        .size:           8
        .value_kind:     by_value
      - .offset:         80
        .size:           8
        .value_kind:     by_value
      - .address_space:  global
        .offset:         88
        .size:           8
        .value_kind:     global_buffer
      - .offset:         96
        .size:           8
        .value_kind:     by_value
      - .offset:         104
        .size:           8
        .value_kind:     by_value
      - .address_space:  global
        .offset:         112
        .size:           8
        .value_kind:     global_buffer
      - .offset:         120
        .size:           8
        .value_kind:     by_value
      - .offset:         128
        .size:           8
        .value_kind:     by_value
      - .offset:         136
        .size:           4
        .value_kind:     by_value
    .group_segment_fixed_size: 4096
    .kernarg_segment_align: 8
    .kernarg_segment_size: 140
    .language:       OpenCL C
    .language_version:
      - 2
      - 0
    .max_flat_workgroup_size: 256
    .name:           _ZN12_GLOBAL__N_127rocblas_gemm_batched_kernelIdLi16ELi16ELi32ELi32ELi8ELi32ELi8ELi8ELi32ELc78ELc84EKPKdS3_KPdEEvlllT_PT11_llS8_llS6_PT12_llPT13_lli
    .private_segment_fixed_size: 0
    .sgpr_count:     46
    .sgpr_spill_count: 0
    .symbol:         _ZN12_GLOBAL__N_127rocblas_gemm_batched_kernelIdLi16ELi16ELi32ELi32ELi8ELi32ELi8ELi8ELi32ELc78ELc84EKPKdS3_KPdEEvlllT_PT11_llS8_llS6_PT12_llPT13_lli.kd
    .uniform_work_group_size: 1
    .uses_dynamic_stack: false
    .vgpr_count:     51
    .vgpr_spill_count: 0
    .wavefront_size: 32
    .workgroup_processor_mode: 1
  - .args:
      - .offset:         0
        .size:           8
        .value_kind:     by_value
      - .offset:         8
        .size:           8
        .value_kind:     by_value
      - .offset:         16
        .size:           8
        .value_kind:     by_value
      - .offset:         24
        .size:           8
        .value_kind:     by_value
      - .address_space:  global
        .offset:         32
        .size:           8
        .value_kind:     global_buffer
      - .offset:         40
        .size:           8
        .value_kind:     by_value
      - .offset:         48
        .size:           8
        .value_kind:     by_value
      - .address_space:  global
        .offset:         56
        .size:           8
        .value_kind:     global_buffer
      - .offset:         64
        .size:           8
        .value_kind:     by_value
      - .offset:         72
        .size:           8
        .value_kind:     by_value
      - .offset:         80
        .size:           8
        .value_kind:     by_value
      - .address_space:  global
        .offset:         88
        .size:           8
        .value_kind:     global_buffer
      - .offset:         96
        .size:           8
        .value_kind:     by_value
      - .offset:         104
        .size:           8
        .value_kind:     by_value
      - .address_space:  global
        .offset:         112
        .size:           8
        .value_kind:     global_buffer
      - .offset:         120
        .size:           8
        .value_kind:     by_value
      - .offset:         128
        .size:           8
        .value_kind:     by_value
      - .offset:         136
        .size:           4
        .value_kind:     by_value
    .group_segment_fixed_size: 4096
    .kernarg_segment_align: 8
    .kernarg_segment_size: 140
    .language:       OpenCL C
    .language_version:
      - 2
      - 0
    .max_flat_workgroup_size: 256
    .name:           _ZN12_GLOBAL__N_127rocblas_gemm_batched_kernelIdLi16ELi16ELi32ELi32ELi8ELi32ELi8ELi8ELi32ELc84ELc84EKPKdS3_KPdEEvlllT_PT11_llS8_llS6_PT12_llPT13_lli
    .private_segment_fixed_size: 0
    .sgpr_count:     46
    .sgpr_spill_count: 0
    .symbol:         _ZN12_GLOBAL__N_127rocblas_gemm_batched_kernelIdLi16ELi16ELi32ELi32ELi8ELi32ELi8ELi8ELi32ELc84ELc84EKPKdS3_KPdEEvlllT_PT11_llS8_llS6_PT12_llPT13_lli.kd
    .uniform_work_group_size: 1
    .uses_dynamic_stack: false
    .vgpr_count:     51
    .vgpr_spill_count: 0
    .wavefront_size: 32
    .workgroup_processor_mode: 1
  - .args:
      - .offset:         0
        .size:           8
        .value_kind:     by_value
      - .offset:         8
        .size:           8
        .value_kind:     by_value
      - .offset:         16
        .size:           8
        .value_kind:     by_value
      - .offset:         24
        .size:           8
        .value_kind:     by_value
      - .address_space:  global
        .offset:         32
        .size:           8
        .value_kind:     global_buffer
      - .offset:         40
        .size:           8
        .value_kind:     by_value
      - .offset:         48
        .size:           8
        .value_kind:     by_value
      - .address_space:  global
        .offset:         56
        .size:           8
        .value_kind:     global_buffer
      - .offset:         64
        .size:           8
        .value_kind:     by_value
      - .offset:         72
        .size:           8
        .value_kind:     by_value
      - .offset:         80
        .size:           8
        .value_kind:     by_value
      - .address_space:  global
        .offset:         88
        .size:           8
        .value_kind:     global_buffer
      - .offset:         96
        .size:           8
        .value_kind:     by_value
      - .offset:         104
        .size:           8
        .value_kind:     by_value
      - .address_space:  global
        .offset:         112
        .size:           8
        .value_kind:     global_buffer
      - .offset:         120
        .size:           8
        .value_kind:     by_value
      - .offset:         128
        .size:           8
        .value_kind:     by_value
      - .offset:         136
        .size:           4
        .value_kind:     by_value
    .group_segment_fixed_size: 4096
    .kernarg_segment_align: 8
    .kernarg_segment_size: 140
    .language:       OpenCL C
    .language_version:
      - 2
      - 0
    .max_flat_workgroup_size: 256
    .name:           _ZN12_GLOBAL__N_127rocblas_gemm_batched_kernelIdLi16ELi16ELi32ELi32ELi8ELi32ELi8ELi8ELi32ELc67ELc67EKPKdS3_KPdEEvlllT_PT11_llS8_llS6_PT12_llPT13_lli
    .private_segment_fixed_size: 0
    .sgpr_count:     46
    .sgpr_spill_count: 0
    .symbol:         _ZN12_GLOBAL__N_127rocblas_gemm_batched_kernelIdLi16ELi16ELi32ELi32ELi8ELi32ELi8ELi8ELi32ELc67ELc67EKPKdS3_KPdEEvlllT_PT11_llS8_llS6_PT12_llPT13_lli.kd
    .uniform_work_group_size: 1
    .uses_dynamic_stack: false
    .vgpr_count:     51
    .vgpr_spill_count: 0
    .wavefront_size: 32
    .workgroup_processor_mode: 1
  - .args:
      - .offset:         0
        .size:           8
        .value_kind:     by_value
      - .offset:         8
        .size:           8
        .value_kind:     by_value
      - .offset:         16
        .size:           8
        .value_kind:     by_value
      - .offset:         24
        .size:           8
        .value_kind:     by_value
      - .address_space:  global
        .offset:         32
        .size:           8
        .value_kind:     global_buffer
      - .offset:         40
        .size:           8
        .value_kind:     by_value
      - .offset:         48
        .size:           8
        .value_kind:     by_value
      - .address_space:  global
        .offset:         56
        .size:           8
        .value_kind:     global_buffer
      - .offset:         64
        .size:           8
        .value_kind:     by_value
      - .offset:         72
        .size:           8
        .value_kind:     by_value
      - .offset:         80
        .size:           8
        .value_kind:     by_value
      - .address_space:  global
        .offset:         88
        .size:           8
        .value_kind:     global_buffer
      - .offset:         96
        .size:           8
        .value_kind:     by_value
      - .offset:         104
        .size:           8
        .value_kind:     by_value
      - .address_space:  global
        .offset:         112
        .size:           8
        .value_kind:     global_buffer
      - .offset:         120
        .size:           8
        .value_kind:     by_value
      - .offset:         128
        .size:           8
        .value_kind:     by_value
      - .offset:         136
        .size:           4
        .value_kind:     by_value
    .group_segment_fixed_size: 4096
    .kernarg_segment_align: 8
    .kernarg_segment_size: 140
    .language:       OpenCL C
    .language_version:
      - 2
      - 0
    .max_flat_workgroup_size: 256
    .name:           _ZN12_GLOBAL__N_127rocblas_gemm_batched_kernelIdLi16ELi16ELi32ELi32ELi8ELi32ELi8ELi8ELi32ELc67ELc78EKPKdS3_KPdEEvlllT_PT11_llS8_llS6_PT12_llPT13_lli
    .private_segment_fixed_size: 0
    .sgpr_count:     46
    .sgpr_spill_count: 0
    .symbol:         _ZN12_GLOBAL__N_127rocblas_gemm_batched_kernelIdLi16ELi16ELi32ELi32ELi8ELi32ELi8ELi8ELi32ELc67ELc78EKPKdS3_KPdEEvlllT_PT11_llS8_llS6_PT12_llPT13_lli.kd
    .uniform_work_group_size: 1
    .uses_dynamic_stack: false
    .vgpr_count:     51
    .vgpr_spill_count: 0
    .wavefront_size: 32
    .workgroup_processor_mode: 1
  - .args:
      - .offset:         0
        .size:           8
        .value_kind:     by_value
      - .offset:         8
        .size:           8
        .value_kind:     by_value
      - .offset:         16
        .size:           8
        .value_kind:     by_value
      - .offset:         24
        .size:           8
        .value_kind:     by_value
      - .address_space:  global
        .offset:         32
        .size:           8
        .value_kind:     global_buffer
      - .offset:         40
        .size:           8
        .value_kind:     by_value
      - .offset:         48
        .size:           8
        .value_kind:     by_value
      - .address_space:  global
        .offset:         56
        .size:           8
        .value_kind:     global_buffer
      - .offset:         64
        .size:           8
        .value_kind:     by_value
      - .offset:         72
        .size:           8
        .value_kind:     by_value
      - .offset:         80
        .size:           8
        .value_kind:     by_value
      - .address_space:  global
        .offset:         88
        .size:           8
        .value_kind:     global_buffer
      - .offset:         96
        .size:           8
        .value_kind:     by_value
      - .offset:         104
        .size:           8
        .value_kind:     by_value
      - .address_space:  global
        .offset:         112
        .size:           8
        .value_kind:     global_buffer
      - .offset:         120
        .size:           8
        .value_kind:     by_value
      - .offset:         128
        .size:           8
        .value_kind:     by_value
      - .offset:         136
        .size:           4
        .value_kind:     by_value
    .group_segment_fixed_size: 4096
    .kernarg_segment_align: 8
    .kernarg_segment_size: 140
    .language:       OpenCL C
    .language_version:
      - 2
      - 0
    .max_flat_workgroup_size: 256
    .name:           _ZN12_GLOBAL__N_127rocblas_gemm_batched_kernelIdLi16ELi16ELi32ELi32ELi8ELi32ELi8ELi8ELi32ELc67ELc84EKPKdS3_KPdEEvlllT_PT11_llS8_llS6_PT12_llPT13_lli
    .private_segment_fixed_size: 0
    .sgpr_count:     46
    .sgpr_spill_count: 0
    .symbol:         _ZN12_GLOBAL__N_127rocblas_gemm_batched_kernelIdLi16ELi16ELi32ELi32ELi8ELi32ELi8ELi8ELi32ELc67ELc84EKPKdS3_KPdEEvlllT_PT11_llS8_llS6_PT12_llPT13_lli.kd
    .uniform_work_group_size: 1
    .uses_dynamic_stack: false
    .vgpr_count:     51
    .vgpr_spill_count: 0
    .wavefront_size: 32
    .workgroup_processor_mode: 1
  - .args:
      - .offset:         0
        .size:           8
        .value_kind:     by_value
      - .offset:         8
        .size:           8
        .value_kind:     by_value
      - .offset:         16
        .size:           8
        .value_kind:     by_value
      - .offset:         24
        .size:           8
        .value_kind:     by_value
      - .address_space:  global
        .offset:         32
        .size:           8
        .value_kind:     global_buffer
      - .offset:         40
        .size:           8
        .value_kind:     by_value
      - .offset:         48
        .size:           8
        .value_kind:     by_value
      - .address_space:  global
        .offset:         56
        .size:           8
        .value_kind:     global_buffer
      - .offset:         64
        .size:           8
        .value_kind:     by_value
      - .offset:         72
        .size:           8
        .value_kind:     by_value
      - .offset:         80
        .size:           8
        .value_kind:     by_value
      - .address_space:  global
        .offset:         88
        .size:           8
        .value_kind:     global_buffer
      - .offset:         96
        .size:           8
        .value_kind:     by_value
      - .offset:         104
        .size:           8
        .value_kind:     by_value
      - .address_space:  global
        .offset:         112
        .size:           8
        .value_kind:     global_buffer
      - .offset:         120
        .size:           8
        .value_kind:     by_value
      - .offset:         128
        .size:           8
        .value_kind:     by_value
      - .offset:         136
        .size:           4
        .value_kind:     by_value
    .group_segment_fixed_size: 4096
    .kernarg_segment_align: 8
    .kernarg_segment_size: 140
    .language:       OpenCL C
    .language_version:
      - 2
      - 0
    .max_flat_workgroup_size: 256
    .name:           _ZN12_GLOBAL__N_127rocblas_gemm_batched_kernelIdLi16ELi16ELi32ELi32ELi8ELi32ELi8ELi8ELi32ELc78ELc67EKPKdS3_KPdEEvlllT_PT11_llS8_llS6_PT12_llPT13_lli
    .private_segment_fixed_size: 0
    .sgpr_count:     46
    .sgpr_spill_count: 0
    .symbol:         _ZN12_GLOBAL__N_127rocblas_gemm_batched_kernelIdLi16ELi16ELi32ELi32ELi8ELi32ELi8ELi8ELi32ELc78ELc67EKPKdS3_KPdEEvlllT_PT11_llS8_llS6_PT12_llPT13_lli.kd
    .uniform_work_group_size: 1
    .uses_dynamic_stack: false
    .vgpr_count:     51
    .vgpr_spill_count: 0
    .wavefront_size: 32
    .workgroup_processor_mode: 1
  - .args:
      - .offset:         0
        .size:           8
        .value_kind:     by_value
      - .offset:         8
        .size:           8
        .value_kind:     by_value
      - .offset:         16
        .size:           8
        .value_kind:     by_value
      - .offset:         24
        .size:           8
        .value_kind:     by_value
      - .address_space:  global
        .offset:         32
        .size:           8
        .value_kind:     global_buffer
      - .offset:         40
        .size:           8
        .value_kind:     by_value
      - .offset:         48
        .size:           8
        .value_kind:     by_value
      - .address_space:  global
        .offset:         56
        .size:           8
        .value_kind:     global_buffer
      - .offset:         64
        .size:           8
        .value_kind:     by_value
      - .offset:         72
        .size:           8
        .value_kind:     by_value
      - .offset:         80
        .size:           8
        .value_kind:     by_value
      - .address_space:  global
        .offset:         88
        .size:           8
        .value_kind:     global_buffer
      - .offset:         96
        .size:           8
        .value_kind:     by_value
      - .offset:         104
        .size:           8
        .value_kind:     by_value
      - .address_space:  global
        .offset:         112
        .size:           8
        .value_kind:     global_buffer
      - .offset:         120
        .size:           8
        .value_kind:     by_value
      - .offset:         128
        .size:           8
        .value_kind:     by_value
      - .offset:         136
        .size:           4
        .value_kind:     by_value
    .group_segment_fixed_size: 4096
    .kernarg_segment_align: 8
    .kernarg_segment_size: 140
    .language:       OpenCL C
    .language_version:
      - 2
      - 0
    .max_flat_workgroup_size: 256
    .name:           _ZN12_GLOBAL__N_127rocblas_gemm_batched_kernelIdLi16ELi16ELi32ELi32ELi8ELi32ELi8ELi8ELi32ELc84ELc67EKPKdS3_KPdEEvlllT_PT11_llS8_llS6_PT12_llPT13_lli
    .private_segment_fixed_size: 0
    .sgpr_count:     46
    .sgpr_spill_count: 0
    .symbol:         _ZN12_GLOBAL__N_127rocblas_gemm_batched_kernelIdLi16ELi16ELi32ELi32ELi8ELi32ELi8ELi8ELi32ELc84ELc67EKPKdS3_KPdEEvlllT_PT11_llS8_llS6_PT12_llPT13_lli.kd
    .uniform_work_group_size: 1
    .uses_dynamic_stack: false
    .vgpr_count:     51
    .vgpr_spill_count: 0
    .wavefront_size: 32
    .workgroup_processor_mode: 1
  - .args:
      - .offset:         0
        .size:           8
        .value_kind:     by_value
      - .offset:         8
        .size:           8
        .value_kind:     by_value
      - .offset:         16
        .size:           8
        .value_kind:     by_value
      - .offset:         24
        .size:           8
        .value_kind:     by_value
      - .address_space:  global
        .offset:         32
        .size:           8
        .value_kind:     global_buffer
      - .offset:         40
        .size:           8
        .value_kind:     by_value
      - .offset:         48
        .size:           8
        .value_kind:     by_value
      - .address_space:  global
        .offset:         56
        .size:           8
        .value_kind:     global_buffer
      - .offset:         64
        .size:           8
        .value_kind:     by_value
      - .offset:         72
        .size:           8
        .value_kind:     by_value
      - .offset:         80
        .size:           8
        .value_kind:     by_value
      - .address_space:  global
        .offset:         88
        .size:           8
        .value_kind:     global_buffer
      - .offset:         96
        .size:           8
        .value_kind:     by_value
      - .offset:         104
        .size:           8
        .value_kind:     by_value
      - .address_space:  global
        .offset:         112
        .size:           8
        .value_kind:     global_buffer
      - .offset:         120
        .size:           8
        .value_kind:     by_value
      - .offset:         128
        .size:           8
        .value_kind:     by_value
      - .offset:         136
        .size:           4
        .value_kind:     by_value
    .group_segment_fixed_size: 4096
    .kernarg_segment_align: 8
    .kernarg_segment_size: 140
    .language:       OpenCL C
    .language_version:
      - 2
      - 0
    .max_flat_workgroup_size: 256
    .name:           _ZN12_GLOBAL__N_135rocblas_gemm_batched_general_kernelIdLi16ELi16ELi32ELi32ELi8ELi32ELi8ELi8ELi32ELc78ELc78EKPKdS3_KPdEEvlllT_PT11_llS8_llS6_PT12_llPT13_lli
    .private_segment_fixed_size: 0
    .sgpr_count:     54
    .sgpr_spill_count: 0
    .symbol:         _ZN12_GLOBAL__N_135rocblas_gemm_batched_general_kernelIdLi16ELi16ELi32ELi32ELi8ELi32ELi8ELi8ELi32ELc78ELc78EKPKdS3_KPdEEvlllT_PT11_llS8_llS6_PT12_llPT13_lli.kd
    .uniform_work_group_size: 1
    .uses_dynamic_stack: false
    .vgpr_count:     53
    .vgpr_spill_count: 0
    .wavefront_size: 32
    .workgroup_processor_mode: 1
  - .args:
      - .offset:         0
        .size:           8
        .value_kind:     by_value
      - .offset:         8
        .size:           8
        .value_kind:     by_value
      - .offset:         16
        .size:           8
        .value_kind:     by_value
      - .offset:         24
        .size:           8
        .value_kind:     by_value
      - .address_space:  global
        .offset:         32
        .size:           8
        .value_kind:     global_buffer
      - .offset:         40
        .size:           8
        .value_kind:     by_value
      - .offset:         48
        .size:           8
        .value_kind:     by_value
      - .address_space:  global
        .offset:         56
        .size:           8
        .value_kind:     global_buffer
      - .offset:         64
        .size:           8
        .value_kind:     by_value
      - .offset:         72
        .size:           8
        .value_kind:     by_value
      - .offset:         80
        .size:           8
        .value_kind:     by_value
      - .address_space:  global
        .offset:         88
        .size:           8
        .value_kind:     global_buffer
      - .offset:         96
        .size:           8
        .value_kind:     by_value
      - .offset:         104
        .size:           8
        .value_kind:     by_value
      - .address_space:  global
        .offset:         112
        .size:           8
        .value_kind:     global_buffer
      - .offset:         120
        .size:           8
        .value_kind:     by_value
      - .offset:         128
        .size:           8
        .value_kind:     by_value
      - .offset:         136
        .size:           4
        .value_kind:     by_value
    .group_segment_fixed_size: 4096
    .kernarg_segment_align: 8
    .kernarg_segment_size: 140
    .language:       OpenCL C
    .language_version:
      - 2
      - 0
    .max_flat_workgroup_size: 256
    .name:           _ZN12_GLOBAL__N_135rocblas_gemm_batched_general_kernelIdLi16ELi16ELi32ELi32ELi8ELi32ELi8ELi8ELi32ELc84ELc78EKPKdS3_KPdEEvlllT_PT11_llS8_llS6_PT12_llPT13_lli
    .private_segment_fixed_size: 0
    .sgpr_count:     54
    .sgpr_spill_count: 0
    .symbol:         _ZN12_GLOBAL__N_135rocblas_gemm_batched_general_kernelIdLi16ELi16ELi32ELi32ELi8ELi32ELi8ELi8ELi32ELc84ELc78EKPKdS3_KPdEEvlllT_PT11_llS8_llS6_PT12_llPT13_lli.kd
    .uniform_work_group_size: 1
    .uses_dynamic_stack: false
    .vgpr_count:     53
    .vgpr_spill_count: 0
    .wavefront_size: 32
    .workgroup_processor_mode: 1
  - .args:
      - .offset:         0
        .size:           8
        .value_kind:     by_value
      - .offset:         8
        .size:           8
        .value_kind:     by_value
      - .offset:         16
        .size:           8
        .value_kind:     by_value
      - .offset:         24
        .size:           8
        .value_kind:     by_value
      - .address_space:  global
        .offset:         32
        .size:           8
        .value_kind:     global_buffer
      - .offset:         40
        .size:           8
        .value_kind:     by_value
      - .offset:         48
        .size:           8
        .value_kind:     by_value
      - .address_space:  global
        .offset:         56
        .size:           8
        .value_kind:     global_buffer
      - .offset:         64
        .size:           8
        .value_kind:     by_value
      - .offset:         72
        .size:           8
        .value_kind:     by_value
      - .offset:         80
        .size:           8
        .value_kind:     by_value
      - .address_space:  global
        .offset:         88
        .size:           8
        .value_kind:     global_buffer
      - .offset:         96
        .size:           8
        .value_kind:     by_value
      - .offset:         104
        .size:           8
        .value_kind:     by_value
      - .address_space:  global
        .offset:         112
        .size:           8
        .value_kind:     global_buffer
      - .offset:         120
        .size:           8
        .value_kind:     by_value
      - .offset:         128
        .size:           8
        .value_kind:     by_value
      - .offset:         136
        .size:           4
        .value_kind:     by_value
    .group_segment_fixed_size: 4096
    .kernarg_segment_align: 8
    .kernarg_segment_size: 140
    .language:       OpenCL C
    .language_version:
      - 2
      - 0
    .max_flat_workgroup_size: 256
    .name:           _ZN12_GLOBAL__N_135rocblas_gemm_batched_general_kernelIdLi16ELi16ELi32ELi32ELi8ELi32ELi8ELi8ELi32ELc78ELc84EKPKdS3_KPdEEvlllT_PT11_llS8_llS6_PT12_llPT13_lli
    .private_segment_fixed_size: 0
    .sgpr_count:     54
    .sgpr_spill_count: 0
    .symbol:         _ZN12_GLOBAL__N_135rocblas_gemm_batched_general_kernelIdLi16ELi16ELi32ELi32ELi8ELi32ELi8ELi8ELi32ELc78ELc84EKPKdS3_KPdEEvlllT_PT11_llS8_llS6_PT12_llPT13_lli.kd
    .uniform_work_group_size: 1
    .uses_dynamic_stack: false
    .vgpr_count:     53
    .vgpr_spill_count: 0
    .wavefront_size: 32
    .workgroup_processor_mode: 1
  - .args:
      - .offset:         0
        .size:           8
        .value_kind:     by_value
      - .offset:         8
        .size:           8
        .value_kind:     by_value
      - .offset:         16
        .size:           8
        .value_kind:     by_value
      - .offset:         24
        .size:           8
        .value_kind:     by_value
      - .address_space:  global
        .offset:         32
        .size:           8
        .value_kind:     global_buffer
      - .offset:         40
        .size:           8
        .value_kind:     by_value
      - .offset:         48
        .size:           8
        .value_kind:     by_value
      - .address_space:  global
        .offset:         56
        .size:           8
        .value_kind:     global_buffer
      - .offset:         64
        .size:           8
        .value_kind:     by_value
      - .offset:         72
        .size:           8
        .value_kind:     by_value
      - .offset:         80
        .size:           8
        .value_kind:     by_value
      - .address_space:  global
        .offset:         88
        .size:           8
        .value_kind:     global_buffer
      - .offset:         96
        .size:           8
        .value_kind:     by_value
      - .offset:         104
        .size:           8
        .value_kind:     by_value
      - .address_space:  global
        .offset:         112
        .size:           8
        .value_kind:     global_buffer
      - .offset:         120
        .size:           8
        .value_kind:     by_value
      - .offset:         128
        .size:           8
        .value_kind:     by_value
      - .offset:         136
        .size:           4
        .value_kind:     by_value
    .group_segment_fixed_size: 4096
    .kernarg_segment_align: 8
    .kernarg_segment_size: 140
    .language:       OpenCL C
    .language_version:
      - 2
      - 0
    .max_flat_workgroup_size: 256
    .name:           _ZN12_GLOBAL__N_135rocblas_gemm_batched_general_kernelIdLi16ELi16ELi32ELi32ELi8ELi32ELi8ELi8ELi32ELc84ELc84EKPKdS3_KPdEEvlllT_PT11_llS8_llS6_PT12_llPT13_lli
    .private_segment_fixed_size: 0
    .sgpr_count:     54
    .sgpr_spill_count: 0
    .symbol:         _ZN12_GLOBAL__N_135rocblas_gemm_batched_general_kernelIdLi16ELi16ELi32ELi32ELi8ELi32ELi8ELi8ELi32ELc84ELc84EKPKdS3_KPdEEvlllT_PT11_llS8_llS6_PT12_llPT13_lli.kd
    .uniform_work_group_size: 1
    .uses_dynamic_stack: false
    .vgpr_count:     53
    .vgpr_spill_count: 0
    .wavefront_size: 32
    .workgroup_processor_mode: 1
  - .args:
      - .offset:         0
        .size:           8
        .value_kind:     by_value
      - .offset:         8
        .size:           8
        .value_kind:     by_value
      - .offset:         16
        .size:           8
        .value_kind:     by_value
      - .offset:         24
        .size:           8
        .value_kind:     by_value
      - .address_space:  global
        .offset:         32
        .size:           8
        .value_kind:     global_buffer
      - .offset:         40
        .size:           8
        .value_kind:     by_value
      - .offset:         48
        .size:           8
        .value_kind:     by_value
      - .address_space:  global
        .offset:         56
        .size:           8
        .value_kind:     global_buffer
      - .offset:         64
        .size:           8
        .value_kind:     by_value
      - .offset:         72
        .size:           8
        .value_kind:     by_value
      - .offset:         80
        .size:           8
        .value_kind:     by_value
      - .address_space:  global
        .offset:         88
        .size:           8
        .value_kind:     global_buffer
      - .offset:         96
        .size:           8
        .value_kind:     by_value
      - .offset:         104
        .size:           8
        .value_kind:     by_value
      - .address_space:  global
        .offset:         112
        .size:           8
        .value_kind:     global_buffer
      - .offset:         120
        .size:           8
        .value_kind:     by_value
      - .offset:         128
        .size:           8
        .value_kind:     by_value
      - .offset:         136
        .size:           4
        .value_kind:     by_value
    .group_segment_fixed_size: 4096
    .kernarg_segment_align: 8
    .kernarg_segment_size: 140
    .language:       OpenCL C
    .language_version:
      - 2
      - 0
    .max_flat_workgroup_size: 256
    .name:           _ZN12_GLOBAL__N_135rocblas_gemm_batched_general_kernelIdLi16ELi16ELi32ELi32ELi8ELi32ELi8ELi8ELi32ELc67ELc67EKPKdS3_KPdEEvlllT_PT11_llS8_llS6_PT12_llPT13_lli
    .private_segment_fixed_size: 0
    .sgpr_count:     54
    .sgpr_spill_count: 0
    .symbol:         _ZN12_GLOBAL__N_135rocblas_gemm_batched_general_kernelIdLi16ELi16ELi32ELi32ELi8ELi32ELi8ELi8ELi32ELc67ELc67EKPKdS3_KPdEEvlllT_PT11_llS8_llS6_PT12_llPT13_lli.kd
    .uniform_work_group_size: 1
    .uses_dynamic_stack: false
    .vgpr_count:     53
    .vgpr_spill_count: 0
    .wavefront_size: 32
    .workgroup_processor_mode: 1
  - .args:
      - .offset:         0
        .size:           8
        .value_kind:     by_value
      - .offset:         8
        .size:           8
        .value_kind:     by_value
      - .offset:         16
        .size:           8
        .value_kind:     by_value
      - .offset:         24
        .size:           8
        .value_kind:     by_value
      - .address_space:  global
        .offset:         32
        .size:           8
        .value_kind:     global_buffer
      - .offset:         40
        .size:           8
        .value_kind:     by_value
      - .offset:         48
        .size:           8
        .value_kind:     by_value
      - .address_space:  global
        .offset:         56
        .size:           8
        .value_kind:     global_buffer
      - .offset:         64
        .size:           8
        .value_kind:     by_value
      - .offset:         72
        .size:           8
        .value_kind:     by_value
      - .offset:         80
        .size:           8
        .value_kind:     by_value
      - .address_space:  global
        .offset:         88
        .size:           8
        .value_kind:     global_buffer
      - .offset:         96
        .size:           8
        .value_kind:     by_value
      - .offset:         104
        .size:           8
        .value_kind:     by_value
      - .address_space:  global
        .offset:         112
        .size:           8
        .value_kind:     global_buffer
      - .offset:         120
        .size:           8
        .value_kind:     by_value
      - .offset:         128
        .size:           8
        .value_kind:     by_value
      - .offset:         136
        .size:           4
        .value_kind:     by_value
    .group_segment_fixed_size: 4096
    .kernarg_segment_align: 8
    .kernarg_segment_size: 140
    .language:       OpenCL C
    .language_version:
      - 2
      - 0
    .max_flat_workgroup_size: 256
    .name:           _ZN12_GLOBAL__N_135rocblas_gemm_batched_general_kernelIdLi16ELi16ELi32ELi32ELi8ELi32ELi8ELi8ELi32ELc67ELc78EKPKdS3_KPdEEvlllT_PT11_llS8_llS6_PT12_llPT13_lli
    .private_segment_fixed_size: 0
    .sgpr_count:     54
    .sgpr_spill_count: 0
    .symbol:         _ZN12_GLOBAL__N_135rocblas_gemm_batched_general_kernelIdLi16ELi16ELi32ELi32ELi8ELi32ELi8ELi8ELi32ELc67ELc78EKPKdS3_KPdEEvlllT_PT11_llS8_llS6_PT12_llPT13_lli.kd
    .uniform_work_group_size: 1
    .uses_dynamic_stack: false
    .vgpr_count:     53
    .vgpr_spill_count: 0
    .wavefront_size: 32
    .workgroup_processor_mode: 1
  - .args:
      - .offset:         0
        .size:           8
        .value_kind:     by_value
      - .offset:         8
        .size:           8
        .value_kind:     by_value
      - .offset:         16
        .size:           8
        .value_kind:     by_value
      - .offset:         24
        .size:           8
        .value_kind:     by_value
      - .address_space:  global
        .offset:         32
        .size:           8
        .value_kind:     global_buffer
      - .offset:         40
        .size:           8
        .value_kind:     by_value
      - .offset:         48
        .size:           8
        .value_kind:     by_value
      - .address_space:  global
        .offset:         56
        .size:           8
        .value_kind:     global_buffer
      - .offset:         64
        .size:           8
        .value_kind:     by_value
      - .offset:         72
        .size:           8
        .value_kind:     by_value
      - .offset:         80
        .size:           8
        .value_kind:     by_value
      - .address_space:  global
        .offset:         88
        .size:           8
        .value_kind:     global_buffer
      - .offset:         96
        .size:           8
        .value_kind:     by_value
      - .offset:         104
        .size:           8
        .value_kind:     by_value
      - .address_space:  global
        .offset:         112
        .size:           8
        .value_kind:     global_buffer
      - .offset:         120
        .size:           8
        .value_kind:     by_value
      - .offset:         128
        .size:           8
        .value_kind:     by_value
      - .offset:         136
        .size:           4
        .value_kind:     by_value
    .group_segment_fixed_size: 4096
    .kernarg_segment_align: 8
    .kernarg_segment_size: 140
    .language:       OpenCL C
    .language_version:
      - 2
      - 0
    .max_flat_workgroup_size: 256
    .name:           _ZN12_GLOBAL__N_135rocblas_gemm_batched_general_kernelIdLi16ELi16ELi32ELi32ELi8ELi32ELi8ELi8ELi32ELc67ELc84EKPKdS3_KPdEEvlllT_PT11_llS8_llS6_PT12_llPT13_lli
    .private_segment_fixed_size: 0
    .sgpr_count:     54
    .sgpr_spill_count: 0
    .symbol:         _ZN12_GLOBAL__N_135rocblas_gemm_batched_general_kernelIdLi16ELi16ELi32ELi32ELi8ELi32ELi8ELi8ELi32ELc67ELc84EKPKdS3_KPdEEvlllT_PT11_llS8_llS6_PT12_llPT13_lli.kd
    .uniform_work_group_size: 1
    .uses_dynamic_stack: false
    .vgpr_count:     53
    .vgpr_spill_count: 0
    .wavefront_size: 32
    .workgroup_processor_mode: 1
  - .args:
      - .offset:         0
        .size:           8
        .value_kind:     by_value
      - .offset:         8
        .size:           8
        .value_kind:     by_value
      - .offset:         16
        .size:           8
        .value_kind:     by_value
      - .offset:         24
        .size:           8
        .value_kind:     by_value
      - .address_space:  global
        .offset:         32
        .size:           8
        .value_kind:     global_buffer
      - .offset:         40
        .size:           8
        .value_kind:     by_value
      - .offset:         48
        .size:           8
        .value_kind:     by_value
      - .address_space:  global
        .offset:         56
        .size:           8
        .value_kind:     global_buffer
      - .offset:         64
        .size:           8
        .value_kind:     by_value
      - .offset:         72
        .size:           8
        .value_kind:     by_value
      - .offset:         80
        .size:           8
        .value_kind:     by_value
      - .address_space:  global
        .offset:         88
        .size:           8
        .value_kind:     global_buffer
      - .offset:         96
        .size:           8
        .value_kind:     by_value
      - .offset:         104
        .size:           8
        .value_kind:     by_value
      - .address_space:  global
        .offset:         112
        .size:           8
        .value_kind:     global_buffer
      - .offset:         120
        .size:           8
        .value_kind:     by_value
      - .offset:         128
        .size:           8
        .value_kind:     by_value
      - .offset:         136
        .size:           4
        .value_kind:     by_value
    .group_segment_fixed_size: 4096
    .kernarg_segment_align: 8
    .kernarg_segment_size: 140
    .language:       OpenCL C
    .language_version:
      - 2
      - 0
    .max_flat_workgroup_size: 256
    .name:           _ZN12_GLOBAL__N_135rocblas_gemm_batched_general_kernelIdLi16ELi16ELi32ELi32ELi8ELi32ELi8ELi8ELi32ELc78ELc67EKPKdS3_KPdEEvlllT_PT11_llS8_llS6_PT12_llPT13_lli
    .private_segment_fixed_size: 0
    .sgpr_count:     54
    .sgpr_spill_count: 0
    .symbol:         _ZN12_GLOBAL__N_135rocblas_gemm_batched_general_kernelIdLi16ELi16ELi32ELi32ELi8ELi32ELi8ELi8ELi32ELc78ELc67EKPKdS3_KPdEEvlllT_PT11_llS8_llS6_PT12_llPT13_lli.kd
    .uniform_work_group_size: 1
    .uses_dynamic_stack: false
    .vgpr_count:     53
    .vgpr_spill_count: 0
    .wavefront_size: 32
    .workgroup_processor_mode: 1
  - .args:
      - .offset:         0
        .size:           8
        .value_kind:     by_value
      - .offset:         8
        .size:           8
        .value_kind:     by_value
      - .offset:         16
        .size:           8
        .value_kind:     by_value
      - .offset:         24
        .size:           8
        .value_kind:     by_value
      - .address_space:  global
        .offset:         32
        .size:           8
        .value_kind:     global_buffer
      - .offset:         40
        .size:           8
        .value_kind:     by_value
      - .offset:         48
        .size:           8
        .value_kind:     by_value
      - .address_space:  global
        .offset:         56
        .size:           8
        .value_kind:     global_buffer
      - .offset:         64
        .size:           8
        .value_kind:     by_value
      - .offset:         72
        .size:           8
        .value_kind:     by_value
      - .offset:         80
        .size:           8
        .value_kind:     by_value
      - .address_space:  global
        .offset:         88
        .size:           8
        .value_kind:     global_buffer
      - .offset:         96
        .size:           8
        .value_kind:     by_value
      - .offset:         104
        .size:           8
        .value_kind:     by_value
      - .address_space:  global
        .offset:         112
        .size:           8
        .value_kind:     global_buffer
      - .offset:         120
        .size:           8
        .value_kind:     by_value
      - .offset:         128
        .size:           8
        .value_kind:     by_value
      - .offset:         136
        .size:           4
        .value_kind:     by_value
    .group_segment_fixed_size: 4096
    .kernarg_segment_align: 8
    .kernarg_segment_size: 140
    .language:       OpenCL C
    .language_version:
      - 2
      - 0
    .max_flat_workgroup_size: 256
    .name:           _ZN12_GLOBAL__N_135rocblas_gemm_batched_general_kernelIdLi16ELi16ELi32ELi32ELi8ELi32ELi8ELi8ELi32ELc84ELc67EKPKdS3_KPdEEvlllT_PT11_llS8_llS6_PT12_llPT13_lli
    .private_segment_fixed_size: 0
    .sgpr_count:     54
    .sgpr_spill_count: 0
    .symbol:         _ZN12_GLOBAL__N_135rocblas_gemm_batched_general_kernelIdLi16ELi16ELi32ELi32ELi8ELi32ELi8ELi8ELi32ELc84ELc67EKPKdS3_KPdEEvlllT_PT11_llS8_llS6_PT12_llPT13_lli.kd
    .uniform_work_group_size: 1
    .uses_dynamic_stack: false
    .vgpr_count:     53
    .vgpr_spill_count: 0
    .wavefront_size: 32
    .workgroup_processor_mode: 1
  - .args:
      - .offset:         0
        .size:           4
        .value_kind:     by_value
      - .offset:         4
        .size:           4
        .value_kind:     by_value
      - .offset:         8
        .size:           8
        .value_kind:     by_value
      - .address_space:  global
        .offset:         16
        .size:           8
        .value_kind:     global_buffer
      - .offset:         24
        .size:           8
        .value_kind:     by_value
      - .offset:         32
        .size:           8
        .value_kind:     by_value
      - .offset:         40
        .size:           8
        .value_kind:     by_value
      - .offset:         48
        .size:           4
        .value_kind:     by_value
    .group_segment_fixed_size: 0
    .kernarg_segment_align: 8
    .kernarg_segment_size: 52
    .language:       OpenCL C
    .language_version:
      - 2
      - 0
    .max_flat_workgroup_size: 1024
    .name:           _ZN12_GLOBAL__N_125rocblas_gemm_scale_kernelILi32ELi32E19rocblas_complex_numIfEPKPS2_EEviiT1_T2_llli
    .private_segment_fixed_size: 0
    .sgpr_count:     18
    .sgpr_spill_count: 0
    .symbol:         _ZN12_GLOBAL__N_125rocblas_gemm_scale_kernelILi32ELi32E19rocblas_complex_numIfEPKPS2_EEviiT1_T2_llli.kd
    .uniform_work_group_size: 1
    .uses_dynamic_stack: false
    .vgpr_count:     11
    .vgpr_spill_count: 0
    .wavefront_size: 32
    .workgroup_processor_mode: 1
  - .args:
      - .offset:         0
        .size:           4
        .value_kind:     by_value
      - .offset:         4
        .size:           4
        .value_kind:     by_value
      - .offset:         8
        .size:           8
        .value_kind:     by_value
      - .address_space:  global
        .offset:         16
        .size:           8
        .value_kind:     global_buffer
      - .offset:         24
        .size:           8
        .value_kind:     by_value
      - .offset:         32
        .size:           8
        .value_kind:     by_value
      - .offset:         40
        .size:           8
        .value_kind:     by_value
      - .address_space:  global
        .offset:         48
        .size:           8
        .value_kind:     global_buffer
      - .offset:         56
        .size:           8
        .value_kind:     by_value
      - .offset:         64
        .size:           8
        .value_kind:     by_value
      - .offset:         72
        .size:           8
        .value_kind:     by_value
      - .offset:         80
        .size:           4
        .value_kind:     by_value
    .group_segment_fixed_size: 0
    .kernarg_segment_align: 8
    .kernarg_segment_size: 84
    .language:       OpenCL C
    .language_version:
      - 2
      - 0
    .max_flat_workgroup_size: 1024
    .name:           _ZN12_GLOBAL__N_120gemm_ex_scale_kernelILi32ELi32E19rocblas_complex_numIfEPKPKS2_PKPS2_EEviiT1_T2_lllT3_llli
    .private_segment_fixed_size: 0
    .sgpr_count:     24
    .sgpr_spill_count: 0
    .symbol:         _ZN12_GLOBAL__N_120gemm_ex_scale_kernelILi32ELi32E19rocblas_complex_numIfEPKPKS2_PKPS2_EEviiT1_T2_lllT3_llli.kd
    .uniform_work_group_size: 1
    .uses_dynamic_stack: false
    .vgpr_count:     14
    .vgpr_spill_count: 0
    .wavefront_size: 32
    .workgroup_processor_mode: 1
  - .args:
      - .offset:         0
        .size:           8
        .value_kind:     by_value
      - .offset:         8
        .size:           8
        .value_kind:     by_value
      - .offset:         16
        .size:           8
        .value_kind:     by_value
      - .offset:         24
        .size:           8
        .value_kind:     by_value
      - .address_space:  global
        .offset:         32
        .size:           8
        .value_kind:     global_buffer
      - .offset:         40
        .size:           8
        .value_kind:     by_value
      - .offset:         48
        .size:           8
        .value_kind:     by_value
      - .address_space:  global
        .offset:         56
        .size:           8
        .value_kind:     global_buffer
      - .offset:         64
        .size:           8
        .value_kind:     by_value
      - .offset:         72
        .size:           8
        .value_kind:     by_value
      - .offset:         80
        .size:           8
        .value_kind:     by_value
      - .address_space:  global
        .offset:         88
        .size:           8
        .value_kind:     global_buffer
      - .offset:         96
        .size:           8
        .value_kind:     by_value
      - .offset:         104
        .size:           8
        .value_kind:     by_value
      - .address_space:  global
        .offset:         112
        .size:           8
        .value_kind:     global_buffer
      - .offset:         120
        .size:           8
        .value_kind:     by_value
      - .offset:         128
        .size:           8
        .value_kind:     by_value
      - .offset:         136
        .size:           4
        .value_kind:     by_value
    .group_segment_fixed_size: 4096
    .kernarg_segment_align: 8
    .kernarg_segment_size: 140
    .language:       OpenCL C
    .language_version:
      - 2
      - 0
    .max_flat_workgroup_size: 256
    .name:           _ZN12_GLOBAL__N_127rocblas_gemm_batched_kernelI19rocblas_complex_numIfELi16ELi16ELi64ELi64ELi4ELi64ELi4ELi4ELi64ELc78ELc78EKPKS2_S5_KPS2_EEvlllT_PT11_llSA_llS8_PT12_llPT13_lli
    .private_segment_fixed_size: 0
    .sgpr_count:     40
    .sgpr_spill_count: 0
    .symbol:         _ZN12_GLOBAL__N_127rocblas_gemm_batched_kernelI19rocblas_complex_numIfELi16ELi16ELi64ELi64ELi4ELi64ELi4ELi4ELi64ELc78ELc78EKPKS2_S5_KPS2_EEvlllT_PT11_llSA_llS8_PT12_llPT13_lli.kd
    .uniform_work_group_size: 1
    .uses_dynamic_stack: false
    .vgpr_count:     201
    .vgpr_spill_count: 0
    .wavefront_size: 32
    .workgroup_processor_mode: 1
  - .args:
      - .offset:         0
        .size:           8
        .value_kind:     by_value
      - .offset:         8
        .size:           8
        .value_kind:     by_value
      - .offset:         16
        .size:           8
        .value_kind:     by_value
      - .offset:         24
        .size:           8
        .value_kind:     by_value
      - .address_space:  global
        .offset:         32
        .size:           8
        .value_kind:     global_buffer
      - .offset:         40
        .size:           8
        .value_kind:     by_value
      - .offset:         48
        .size:           8
        .value_kind:     by_value
      - .address_space:  global
        .offset:         56
        .size:           8
        .value_kind:     global_buffer
      - .offset:         64
        .size:           8
        .value_kind:     by_value
      - .offset:         72
        .size:           8
        .value_kind:     by_value
      - .offset:         80
        .size:           8
        .value_kind:     by_value
      - .address_space:  global
        .offset:         88
        .size:           8
        .value_kind:     global_buffer
      - .offset:         96
        .size:           8
        .value_kind:     by_value
      - .offset:         104
        .size:           8
        .value_kind:     by_value
      - .address_space:  global
        .offset:         112
        .size:           8
        .value_kind:     global_buffer
      - .offset:         120
        .size:           8
        .value_kind:     by_value
      - .offset:         128
        .size:           8
        .value_kind:     by_value
      - .offset:         136
        .size:           4
        .value_kind:     by_value
    .group_segment_fixed_size: 4096
    .kernarg_segment_align: 8
    .kernarg_segment_size: 140
    .language:       OpenCL C
    .language_version:
      - 2
      - 0
    .max_flat_workgroup_size: 256
    .name:           _ZN12_GLOBAL__N_127rocblas_gemm_batched_kernelI19rocblas_complex_numIfELi16ELi16ELi64ELi64ELi4ELi64ELi4ELi4ELi64ELc84ELc78EKPKS2_S5_KPS2_EEvlllT_PT11_llSA_llS8_PT12_llPT13_lli
    .private_segment_fixed_size: 0
    .sgpr_count:     40
    .sgpr_spill_count: 0
    .symbol:         _ZN12_GLOBAL__N_127rocblas_gemm_batched_kernelI19rocblas_complex_numIfELi16ELi16ELi64ELi64ELi4ELi64ELi4ELi4ELi64ELc84ELc78EKPKS2_S5_KPS2_EEvlllT_PT11_llSA_llS8_PT12_llPT13_lli.kd
    .uniform_work_group_size: 1
    .uses_dynamic_stack: false
    .vgpr_count:     201
    .vgpr_spill_count: 0
    .wavefront_size: 32
    .workgroup_processor_mode: 1
  - .args:
      - .offset:         0
        .size:           8
        .value_kind:     by_value
      - .offset:         8
        .size:           8
        .value_kind:     by_value
      - .offset:         16
        .size:           8
        .value_kind:     by_value
      - .offset:         24
        .size:           8
        .value_kind:     by_value
      - .address_space:  global
        .offset:         32
        .size:           8
        .value_kind:     global_buffer
      - .offset:         40
        .size:           8
        .value_kind:     by_value
      - .offset:         48
        .size:           8
        .value_kind:     by_value
      - .address_space:  global
        .offset:         56
        .size:           8
        .value_kind:     global_buffer
      - .offset:         64
        .size:           8
        .value_kind:     by_value
      - .offset:         72
        .size:           8
        .value_kind:     by_value
      - .offset:         80
        .size:           8
        .value_kind:     by_value
      - .address_space:  global
        .offset:         88
        .size:           8
        .value_kind:     global_buffer
      - .offset:         96
        .size:           8
        .value_kind:     by_value
      - .offset:         104
        .size:           8
        .value_kind:     by_value
      - .address_space:  global
        .offset:         112
        .size:           8
        .value_kind:     global_buffer
      - .offset:         120
        .size:           8
        .value_kind:     by_value
      - .offset:         128
        .size:           8
        .value_kind:     by_value
      - .offset:         136
        .size:           4
        .value_kind:     by_value
    .group_segment_fixed_size: 4096
    .kernarg_segment_align: 8
    .kernarg_segment_size: 140
    .language:       OpenCL C
    .language_version:
      - 2
      - 0
    .max_flat_workgroup_size: 256
    .name:           _ZN12_GLOBAL__N_127rocblas_gemm_batched_kernelI19rocblas_complex_numIfELi16ELi16ELi64ELi64ELi4ELi64ELi4ELi4ELi64ELc78ELc84EKPKS2_S5_KPS2_EEvlllT_PT11_llSA_llS8_PT12_llPT13_lli
    .private_segment_fixed_size: 0
    .sgpr_count:     42
    .sgpr_spill_count: 0
    .symbol:         _ZN12_GLOBAL__N_127rocblas_gemm_batched_kernelI19rocblas_complex_numIfELi16ELi16ELi64ELi64ELi4ELi64ELi4ELi4ELi64ELc78ELc84EKPKS2_S5_KPS2_EEvlllT_PT11_llSA_llS8_PT12_llPT13_lli.kd
    .uniform_work_group_size: 1
    .uses_dynamic_stack: false
    .vgpr_count:     201
    .vgpr_spill_count: 0
    .wavefront_size: 32
    .workgroup_processor_mode: 1
  - .args:
      - .offset:         0
        .size:           8
        .value_kind:     by_value
      - .offset:         8
        .size:           8
        .value_kind:     by_value
      - .offset:         16
        .size:           8
        .value_kind:     by_value
      - .offset:         24
        .size:           8
        .value_kind:     by_value
      - .address_space:  global
        .offset:         32
        .size:           8
        .value_kind:     global_buffer
      - .offset:         40
        .size:           8
        .value_kind:     by_value
      - .offset:         48
        .size:           8
        .value_kind:     by_value
      - .address_space:  global
        .offset:         56
        .size:           8
        .value_kind:     global_buffer
      - .offset:         64
        .size:           8
        .value_kind:     by_value
      - .offset:         72
        .size:           8
        .value_kind:     by_value
      - .offset:         80
        .size:           8
        .value_kind:     by_value
      - .address_space:  global
        .offset:         88
        .size:           8
        .value_kind:     global_buffer
      - .offset:         96
        .size:           8
        .value_kind:     by_value
      - .offset:         104
        .size:           8
        .value_kind:     by_value
      - .address_space:  global
        .offset:         112
        .size:           8
        .value_kind:     global_buffer
      - .offset:         120
        .size:           8
        .value_kind:     by_value
      - .offset:         128
        .size:           8
        .value_kind:     by_value
      - .offset:         136
        .size:           4
        .value_kind:     by_value
    .group_segment_fixed_size: 4096
    .kernarg_segment_align: 8
    .kernarg_segment_size: 140
    .language:       OpenCL C
    .language_version:
      - 2
      - 0
    .max_flat_workgroup_size: 256
    .name:           _ZN12_GLOBAL__N_127rocblas_gemm_batched_kernelI19rocblas_complex_numIfELi16ELi16ELi64ELi64ELi4ELi64ELi4ELi4ELi64ELc84ELc84EKPKS2_S5_KPS2_EEvlllT_PT11_llSA_llS8_PT12_llPT13_lli
    .private_segment_fixed_size: 0
    .sgpr_count:     42
    .sgpr_spill_count: 0
    .symbol:         _ZN12_GLOBAL__N_127rocblas_gemm_batched_kernelI19rocblas_complex_numIfELi16ELi16ELi64ELi64ELi4ELi64ELi4ELi4ELi64ELc84ELc84EKPKS2_S5_KPS2_EEvlllT_PT11_llSA_llS8_PT12_llPT13_lli.kd
    .uniform_work_group_size: 1
    .uses_dynamic_stack: false
    .vgpr_count:     201
    .vgpr_spill_count: 0
    .wavefront_size: 32
    .workgroup_processor_mode: 1
  - .args:
      - .offset:         0
        .size:           8
        .value_kind:     by_value
      - .offset:         8
        .size:           8
        .value_kind:     by_value
      - .offset:         16
        .size:           8
        .value_kind:     by_value
      - .offset:         24
        .size:           8
        .value_kind:     by_value
      - .address_space:  global
        .offset:         32
        .size:           8
        .value_kind:     global_buffer
      - .offset:         40
        .size:           8
        .value_kind:     by_value
      - .offset:         48
        .size:           8
        .value_kind:     by_value
      - .address_space:  global
        .offset:         56
        .size:           8
        .value_kind:     global_buffer
      - .offset:         64
        .size:           8
        .value_kind:     by_value
      - .offset:         72
        .size:           8
        .value_kind:     by_value
      - .offset:         80
        .size:           8
        .value_kind:     by_value
      - .address_space:  global
        .offset:         88
        .size:           8
        .value_kind:     global_buffer
      - .offset:         96
        .size:           8
        .value_kind:     by_value
      - .offset:         104
        .size:           8
        .value_kind:     by_value
      - .address_space:  global
        .offset:         112
        .size:           8
        .value_kind:     global_buffer
      - .offset:         120
        .size:           8
        .value_kind:     by_value
      - .offset:         128
        .size:           8
        .value_kind:     by_value
      - .offset:         136
        .size:           4
        .value_kind:     by_value
    .group_segment_fixed_size: 4096
    .kernarg_segment_align: 8
    .kernarg_segment_size: 140
    .language:       OpenCL C
    .language_version:
      - 2
      - 0
    .max_flat_workgroup_size: 256
    .name:           _ZN12_GLOBAL__N_127rocblas_gemm_batched_kernelI19rocblas_complex_numIfELi16ELi16ELi64ELi64ELi4ELi64ELi4ELi4ELi64ELc67ELc67EKPKS2_S5_KPS2_EEvlllT_PT11_llSA_llS8_PT12_llPT13_lli
    .private_segment_fixed_size: 0
    .sgpr_count:     42
    .sgpr_spill_count: 0
    .symbol:         _ZN12_GLOBAL__N_127rocblas_gemm_batched_kernelI19rocblas_complex_numIfELi16ELi16ELi64ELi64ELi4ELi64ELi4ELi4ELi64ELc67ELc67EKPKS2_S5_KPS2_EEvlllT_PT11_llSA_llS8_PT12_llPT13_lli.kd
    .uniform_work_group_size: 1
    .uses_dynamic_stack: false
    .vgpr_count:     201
    .vgpr_spill_count: 0
    .wavefront_size: 32
    .workgroup_processor_mode: 1
  - .args:
      - .offset:         0
        .size:           8
        .value_kind:     by_value
      - .offset:         8
        .size:           8
        .value_kind:     by_value
      - .offset:         16
        .size:           8
        .value_kind:     by_value
      - .offset:         24
        .size:           8
        .value_kind:     by_value
      - .address_space:  global
        .offset:         32
        .size:           8
        .value_kind:     global_buffer
      - .offset:         40
        .size:           8
        .value_kind:     by_value
      - .offset:         48
        .size:           8
        .value_kind:     by_value
      - .address_space:  global
        .offset:         56
        .size:           8
        .value_kind:     global_buffer
      - .offset:         64
        .size:           8
        .value_kind:     by_value
      - .offset:         72
        .size:           8
        .value_kind:     by_value
      - .offset:         80
        .size:           8
        .value_kind:     by_value
      - .address_space:  global
        .offset:         88
        .size:           8
        .value_kind:     global_buffer
      - .offset:         96
        .size:           8
        .value_kind:     by_value
      - .offset:         104
        .size:           8
        .value_kind:     by_value
      - .address_space:  global
        .offset:         112
        .size:           8
        .value_kind:     global_buffer
      - .offset:         120
        .size:           8
        .value_kind:     by_value
      - .offset:         128
        .size:           8
        .value_kind:     by_value
      - .offset:         136
        .size:           4
        .value_kind:     by_value
    .group_segment_fixed_size: 4096
    .kernarg_segment_align: 8
    .kernarg_segment_size: 140
    .language:       OpenCL C
    .language_version:
      - 2
      - 0
    .max_flat_workgroup_size: 256
    .name:           _ZN12_GLOBAL__N_127rocblas_gemm_batched_kernelI19rocblas_complex_numIfELi16ELi16ELi64ELi64ELi4ELi64ELi4ELi4ELi64ELc67ELc78EKPKS2_S5_KPS2_EEvlllT_PT11_llSA_llS8_PT12_llPT13_lli
    .private_segment_fixed_size: 0
    .sgpr_count:     40
    .sgpr_spill_count: 0
    .symbol:         _ZN12_GLOBAL__N_127rocblas_gemm_batched_kernelI19rocblas_complex_numIfELi16ELi16ELi64ELi64ELi4ELi64ELi4ELi4ELi64ELc67ELc78EKPKS2_S5_KPS2_EEvlllT_PT11_llSA_llS8_PT12_llPT13_lli.kd
    .uniform_work_group_size: 1
    .uses_dynamic_stack: false
    .vgpr_count:     201
    .vgpr_spill_count: 0
    .wavefront_size: 32
    .workgroup_processor_mode: 1
  - .args:
      - .offset:         0
        .size:           8
        .value_kind:     by_value
      - .offset:         8
        .size:           8
        .value_kind:     by_value
      - .offset:         16
        .size:           8
        .value_kind:     by_value
      - .offset:         24
        .size:           8
        .value_kind:     by_value
      - .address_space:  global
        .offset:         32
        .size:           8
        .value_kind:     global_buffer
      - .offset:         40
        .size:           8
        .value_kind:     by_value
      - .offset:         48
        .size:           8
        .value_kind:     by_value
      - .address_space:  global
        .offset:         56
        .size:           8
        .value_kind:     global_buffer
      - .offset:         64
        .size:           8
        .value_kind:     by_value
      - .offset:         72
        .size:           8
        .value_kind:     by_value
      - .offset:         80
        .size:           8
        .value_kind:     by_value
      - .address_space:  global
        .offset:         88
        .size:           8
        .value_kind:     global_buffer
      - .offset:         96
        .size:           8
        .value_kind:     by_value
      - .offset:         104
        .size:           8
        .value_kind:     by_value
      - .address_space:  global
        .offset:         112
        .size:           8
        .value_kind:     global_buffer
      - .offset:         120
        .size:           8
        .value_kind:     by_value
      - .offset:         128
        .size:           8
        .value_kind:     by_value
      - .offset:         136
        .size:           4
        .value_kind:     by_value
    .group_segment_fixed_size: 4096
    .kernarg_segment_align: 8
    .kernarg_segment_size: 140
    .language:       OpenCL C
    .language_version:
      - 2
      - 0
    .max_flat_workgroup_size: 256
    .name:           _ZN12_GLOBAL__N_127rocblas_gemm_batched_kernelI19rocblas_complex_numIfELi16ELi16ELi64ELi64ELi4ELi64ELi4ELi4ELi64ELc67ELc84EKPKS2_S5_KPS2_EEvlllT_PT11_llSA_llS8_PT12_llPT13_lli
    .private_segment_fixed_size: 0
    .sgpr_count:     42
    .sgpr_spill_count: 0
    .symbol:         _ZN12_GLOBAL__N_127rocblas_gemm_batched_kernelI19rocblas_complex_numIfELi16ELi16ELi64ELi64ELi4ELi64ELi4ELi4ELi64ELc67ELc84EKPKS2_S5_KPS2_EEvlllT_PT11_llSA_llS8_PT12_llPT13_lli.kd
    .uniform_work_group_size: 1
    .uses_dynamic_stack: false
    .vgpr_count:     201
    .vgpr_spill_count: 0
    .wavefront_size: 32
    .workgroup_processor_mode: 1
  - .args:
      - .offset:         0
        .size:           8
        .value_kind:     by_value
      - .offset:         8
        .size:           8
        .value_kind:     by_value
      - .offset:         16
        .size:           8
        .value_kind:     by_value
      - .offset:         24
        .size:           8
        .value_kind:     by_value
      - .address_space:  global
        .offset:         32
        .size:           8
        .value_kind:     global_buffer
      - .offset:         40
        .size:           8
        .value_kind:     by_value
      - .offset:         48
        .size:           8
        .value_kind:     by_value
      - .address_space:  global
        .offset:         56
        .size:           8
        .value_kind:     global_buffer
      - .offset:         64
        .size:           8
        .value_kind:     by_value
      - .offset:         72
        .size:           8
        .value_kind:     by_value
      - .offset:         80
        .size:           8
        .value_kind:     by_value
      - .address_space:  global
        .offset:         88
        .size:           8
        .value_kind:     global_buffer
      - .offset:         96
        .size:           8
        .value_kind:     by_value
      - .offset:         104
        .size:           8
        .value_kind:     by_value
      - .address_space:  global
        .offset:         112
        .size:           8
        .value_kind:     global_buffer
      - .offset:         120
        .size:           8
        .value_kind:     by_value
      - .offset:         128
        .size:           8
        .value_kind:     by_value
      - .offset:         136
        .size:           4
        .value_kind:     by_value
    .group_segment_fixed_size: 4096
    .kernarg_segment_align: 8
    .kernarg_segment_size: 140
    .language:       OpenCL C
    .language_version:
      - 2
      - 0
    .max_flat_workgroup_size: 256
    .name:           _ZN12_GLOBAL__N_127rocblas_gemm_batched_kernelI19rocblas_complex_numIfELi16ELi16ELi64ELi64ELi4ELi64ELi4ELi4ELi64ELc78ELc67EKPKS2_S5_KPS2_EEvlllT_PT11_llSA_llS8_PT12_llPT13_lli
    .private_segment_fixed_size: 0
    .sgpr_count:     42
    .sgpr_spill_count: 0
    .symbol:         _ZN12_GLOBAL__N_127rocblas_gemm_batched_kernelI19rocblas_complex_numIfELi16ELi16ELi64ELi64ELi4ELi64ELi4ELi4ELi64ELc78ELc67EKPKS2_S5_KPS2_EEvlllT_PT11_llSA_llS8_PT12_llPT13_lli.kd
    .uniform_work_group_size: 1
    .uses_dynamic_stack: false
    .vgpr_count:     201
    .vgpr_spill_count: 0
    .wavefront_size: 32
    .workgroup_processor_mode: 1
  - .args:
      - .offset:         0
        .size:           8
        .value_kind:     by_value
      - .offset:         8
        .size:           8
        .value_kind:     by_value
      - .offset:         16
        .size:           8
        .value_kind:     by_value
      - .offset:         24
        .size:           8
        .value_kind:     by_value
      - .address_space:  global
        .offset:         32
        .size:           8
        .value_kind:     global_buffer
      - .offset:         40
        .size:           8
        .value_kind:     by_value
      - .offset:         48
        .size:           8
        .value_kind:     by_value
      - .address_space:  global
        .offset:         56
        .size:           8
        .value_kind:     global_buffer
      - .offset:         64
        .size:           8
        .value_kind:     by_value
      - .offset:         72
        .size:           8
        .value_kind:     by_value
      - .offset:         80
        .size:           8
        .value_kind:     by_value
      - .address_space:  global
        .offset:         88
        .size:           8
        .value_kind:     global_buffer
      - .offset:         96
        .size:           8
        .value_kind:     by_value
      - .offset:         104
        .size:           8
        .value_kind:     by_value
      - .address_space:  global
        .offset:         112
        .size:           8
        .value_kind:     global_buffer
      - .offset:         120
        .size:           8
        .value_kind:     by_value
      - .offset:         128
        .size:           8
        .value_kind:     by_value
      - .offset:         136
        .size:           4
        .value_kind:     by_value
    .group_segment_fixed_size: 4096
    .kernarg_segment_align: 8
    .kernarg_segment_size: 140
    .language:       OpenCL C
    .language_version:
      - 2
      - 0
    .max_flat_workgroup_size: 256
    .name:           _ZN12_GLOBAL__N_127rocblas_gemm_batched_kernelI19rocblas_complex_numIfELi16ELi16ELi64ELi64ELi4ELi64ELi4ELi4ELi64ELc84ELc67EKPKS2_S5_KPS2_EEvlllT_PT11_llSA_llS8_PT12_llPT13_lli
    .private_segment_fixed_size: 0
    .sgpr_count:     42
    .sgpr_spill_count: 0
    .symbol:         _ZN12_GLOBAL__N_127rocblas_gemm_batched_kernelI19rocblas_complex_numIfELi16ELi16ELi64ELi64ELi4ELi64ELi4ELi4ELi64ELc84ELc67EKPKS2_S5_KPS2_EEvlllT_PT11_llSA_llS8_PT12_llPT13_lli.kd
    .uniform_work_group_size: 1
    .uses_dynamic_stack: false
    .vgpr_count:     201
    .vgpr_spill_count: 0
    .wavefront_size: 32
    .workgroup_processor_mode: 1
  - .args:
      - .offset:         0
        .size:           8
        .value_kind:     by_value
      - .offset:         8
        .size:           8
        .value_kind:     by_value
      - .offset:         16
        .size:           8
        .value_kind:     by_value
      - .offset:         24
        .size:           8
        .value_kind:     by_value
      - .address_space:  global
        .offset:         32
        .size:           8
        .value_kind:     global_buffer
      - .offset:         40
        .size:           8
        .value_kind:     by_value
      - .offset:         48
        .size:           8
        .value_kind:     by_value
      - .address_space:  global
        .offset:         56
        .size:           8
        .value_kind:     global_buffer
      - .offset:         64
        .size:           8
        .value_kind:     by_value
      - .offset:         72
        .size:           8
        .value_kind:     by_value
      - .offset:         80
        .size:           8
        .value_kind:     by_value
      - .address_space:  global
        .offset:         88
        .size:           8
        .value_kind:     global_buffer
      - .offset:         96
        .size:           8
        .value_kind:     by_value
      - .offset:         104
        .size:           8
        .value_kind:     by_value
      - .address_space:  global
        .offset:         112
        .size:           8
        .value_kind:     global_buffer
      - .offset:         120
        .size:           8
        .value_kind:     by_value
      - .offset:         128
        .size:           8
        .value_kind:     by_value
      - .offset:         136
        .size:           4
        .value_kind:     by_value
    .group_segment_fixed_size: 4096
    .kernarg_segment_align: 8
    .kernarg_segment_size: 140
    .language:       OpenCL C
    .language_version:
      - 2
      - 0
    .max_flat_workgroup_size: 256
    .name:           _ZN12_GLOBAL__N_127rocblas_gemm_batched_kernelI19rocblas_complex_numIfELi16ELi16ELi32ELi32ELi8ELi32ELi8ELi8ELi32ELc78ELc78EKPKS2_S5_KPS2_EEvlllT_PT11_llSA_llS8_PT12_llPT13_lli
    .private_segment_fixed_size: 0
    .sgpr_count:     40
    .sgpr_spill_count: 0
    .symbol:         _ZN12_GLOBAL__N_127rocblas_gemm_batched_kernelI19rocblas_complex_numIfELi16ELi16ELi32ELi32ELi8ELi32ELi8ELi8ELi32ELc78ELc78EKPKS2_S5_KPS2_EEvlllT_PT11_llSA_llS8_PT12_llPT13_lli.kd
    .uniform_work_group_size: 1
    .uses_dynamic_stack: false
    .vgpr_count:     123
    .vgpr_spill_count: 0
    .wavefront_size: 32
    .workgroup_processor_mode: 1
  - .args:
      - .offset:         0
        .size:           8
        .value_kind:     by_value
      - .offset:         8
        .size:           8
        .value_kind:     by_value
      - .offset:         16
        .size:           8
        .value_kind:     by_value
      - .offset:         24
        .size:           8
        .value_kind:     by_value
      - .address_space:  global
        .offset:         32
        .size:           8
        .value_kind:     global_buffer
      - .offset:         40
        .size:           8
        .value_kind:     by_value
      - .offset:         48
        .size:           8
        .value_kind:     by_value
      - .address_space:  global
        .offset:         56
        .size:           8
        .value_kind:     global_buffer
      - .offset:         64
        .size:           8
        .value_kind:     by_value
      - .offset:         72
        .size:           8
        .value_kind:     by_value
      - .offset:         80
        .size:           8
        .value_kind:     by_value
      - .address_space:  global
        .offset:         88
        .size:           8
        .value_kind:     global_buffer
      - .offset:         96
        .size:           8
        .value_kind:     by_value
      - .offset:         104
        .size:           8
        .value_kind:     by_value
      - .address_space:  global
        .offset:         112
        .size:           8
        .value_kind:     global_buffer
      - .offset:         120
        .size:           8
        .value_kind:     by_value
      - .offset:         128
        .size:           8
        .value_kind:     by_value
      - .offset:         136
        .size:           4
        .value_kind:     by_value
    .group_segment_fixed_size: 4096
    .kernarg_segment_align: 8
    .kernarg_segment_size: 140
    .language:       OpenCL C
    .language_version:
      - 2
      - 0
    .max_flat_workgroup_size: 256
    .name:           _ZN12_GLOBAL__N_127rocblas_gemm_batched_kernelI19rocblas_complex_numIfELi16ELi16ELi32ELi32ELi8ELi32ELi8ELi8ELi32ELc84ELc78EKPKS2_S5_KPS2_EEvlllT_PT11_llSA_llS8_PT12_llPT13_lli
    .private_segment_fixed_size: 0
    .sgpr_count:     41
    .sgpr_spill_count: 0
    .symbol:         _ZN12_GLOBAL__N_127rocblas_gemm_batched_kernelI19rocblas_complex_numIfELi16ELi16ELi32ELi32ELi8ELi32ELi8ELi8ELi32ELc84ELc78EKPKS2_S5_KPS2_EEvlllT_PT11_llSA_llS8_PT12_llPT13_lli.kd
    .uniform_work_group_size: 1
    .uses_dynamic_stack: false
    .vgpr_count:     123
    .vgpr_spill_count: 0
    .wavefront_size: 32
    .workgroup_processor_mode: 1
  - .args:
      - .offset:         0
        .size:           8
        .value_kind:     by_value
      - .offset:         8
        .size:           8
        .value_kind:     by_value
      - .offset:         16
        .size:           8
        .value_kind:     by_value
      - .offset:         24
        .size:           8
        .value_kind:     by_value
      - .address_space:  global
        .offset:         32
        .size:           8
        .value_kind:     global_buffer
      - .offset:         40
        .size:           8
        .value_kind:     by_value
      - .offset:         48
        .size:           8
        .value_kind:     by_value
      - .address_space:  global
        .offset:         56
        .size:           8
        .value_kind:     global_buffer
      - .offset:         64
        .size:           8
        .value_kind:     by_value
      - .offset:         72
        .size:           8
        .value_kind:     by_value
      - .offset:         80
        .size:           8
        .value_kind:     by_value
      - .address_space:  global
        .offset:         88
        .size:           8
        .value_kind:     global_buffer
      - .offset:         96
        .size:           8
        .value_kind:     by_value
      - .offset:         104
        .size:           8
        .value_kind:     by_value
      - .address_space:  global
        .offset:         112
        .size:           8
        .value_kind:     global_buffer
      - .offset:         120
        .size:           8
        .value_kind:     by_value
      - .offset:         128
        .size:           8
        .value_kind:     by_value
      - .offset:         136
        .size:           4
        .value_kind:     by_value
    .group_segment_fixed_size: 4096
    .kernarg_segment_align: 8
    .kernarg_segment_size: 140
    .language:       OpenCL C
    .language_version:
      - 2
      - 0
    .max_flat_workgroup_size: 256
    .name:           _ZN12_GLOBAL__N_127rocblas_gemm_batched_kernelI19rocblas_complex_numIfELi16ELi16ELi32ELi32ELi8ELi32ELi8ELi8ELi32ELc78ELc84EKPKS2_S5_KPS2_EEvlllT_PT11_llSA_llS8_PT12_llPT13_lli
    .private_segment_fixed_size: 0
    .sgpr_count:     41
    .sgpr_spill_count: 0
    .symbol:         _ZN12_GLOBAL__N_127rocblas_gemm_batched_kernelI19rocblas_complex_numIfELi16ELi16ELi32ELi32ELi8ELi32ELi8ELi8ELi32ELc78ELc84EKPKS2_S5_KPS2_EEvlllT_PT11_llSA_llS8_PT12_llPT13_lli.kd
    .uniform_work_group_size: 1
    .uses_dynamic_stack: false
    .vgpr_count:     123
    .vgpr_spill_count: 0
    .wavefront_size: 32
    .workgroup_processor_mode: 1
  - .args:
      - .offset:         0
        .size:           8
        .value_kind:     by_value
      - .offset:         8
        .size:           8
        .value_kind:     by_value
      - .offset:         16
        .size:           8
        .value_kind:     by_value
      - .offset:         24
        .size:           8
        .value_kind:     by_value
      - .address_space:  global
        .offset:         32
        .size:           8
        .value_kind:     global_buffer
      - .offset:         40
        .size:           8
        .value_kind:     by_value
      - .offset:         48
        .size:           8
        .value_kind:     by_value
      - .address_space:  global
        .offset:         56
        .size:           8
        .value_kind:     global_buffer
      - .offset:         64
        .size:           8
        .value_kind:     by_value
      - .offset:         72
        .size:           8
        .value_kind:     by_value
      - .offset:         80
        .size:           8
        .value_kind:     by_value
      - .address_space:  global
        .offset:         88
        .size:           8
        .value_kind:     global_buffer
      - .offset:         96
        .size:           8
        .value_kind:     by_value
      - .offset:         104
        .size:           8
        .value_kind:     by_value
      - .address_space:  global
        .offset:         112
        .size:           8
        .value_kind:     global_buffer
      - .offset:         120
        .size:           8
        .value_kind:     by_value
      - .offset:         128
        .size:           8
        .value_kind:     by_value
      - .offset:         136
        .size:           4
        .value_kind:     by_value
    .group_segment_fixed_size: 4096
    .kernarg_segment_align: 8
    .kernarg_segment_size: 140
    .language:       OpenCL C
    .language_version:
      - 2
      - 0
    .max_flat_workgroup_size: 256
    .name:           _ZN12_GLOBAL__N_127rocblas_gemm_batched_kernelI19rocblas_complex_numIfELi16ELi16ELi32ELi32ELi8ELi32ELi8ELi8ELi32ELc84ELc84EKPKS2_S5_KPS2_EEvlllT_PT11_llSA_llS8_PT12_llPT13_lli
    .private_segment_fixed_size: 0
    .sgpr_count:     41
    .sgpr_spill_count: 0
    .symbol:         _ZN12_GLOBAL__N_127rocblas_gemm_batched_kernelI19rocblas_complex_numIfELi16ELi16ELi32ELi32ELi8ELi32ELi8ELi8ELi32ELc84ELc84EKPKS2_S5_KPS2_EEvlllT_PT11_llSA_llS8_PT12_llPT13_lli.kd
    .uniform_work_group_size: 1
    .uses_dynamic_stack: false
    .vgpr_count:     123
    .vgpr_spill_count: 0
    .wavefront_size: 32
    .workgroup_processor_mode: 1
  - .args:
      - .offset:         0
        .size:           8
        .value_kind:     by_value
      - .offset:         8
        .size:           8
        .value_kind:     by_value
      - .offset:         16
        .size:           8
        .value_kind:     by_value
      - .offset:         24
        .size:           8
        .value_kind:     by_value
      - .address_space:  global
        .offset:         32
        .size:           8
        .value_kind:     global_buffer
      - .offset:         40
        .size:           8
        .value_kind:     by_value
      - .offset:         48
        .size:           8
        .value_kind:     by_value
      - .address_space:  global
        .offset:         56
        .size:           8
        .value_kind:     global_buffer
      - .offset:         64
        .size:           8
        .value_kind:     by_value
      - .offset:         72
        .size:           8
        .value_kind:     by_value
      - .offset:         80
        .size:           8
        .value_kind:     by_value
      - .address_space:  global
        .offset:         88
        .size:           8
        .value_kind:     global_buffer
      - .offset:         96
        .size:           8
        .value_kind:     by_value
      - .offset:         104
        .size:           8
        .value_kind:     by_value
      - .address_space:  global
        .offset:         112
        .size:           8
        .value_kind:     global_buffer
      - .offset:         120
        .size:           8
        .value_kind:     by_value
      - .offset:         128
        .size:           8
        .value_kind:     by_value
      - .offset:         136
        .size:           4
        .value_kind:     by_value
    .group_segment_fixed_size: 4096
    .kernarg_segment_align: 8
    .kernarg_segment_size: 140
    .language:       OpenCL C
    .language_version:
      - 2
      - 0
    .max_flat_workgroup_size: 256
    .name:           _ZN12_GLOBAL__N_127rocblas_gemm_batched_kernelI19rocblas_complex_numIfELi16ELi16ELi32ELi32ELi8ELi32ELi8ELi8ELi32ELc67ELc67EKPKS2_S5_KPS2_EEvlllT_PT11_llSA_llS8_PT12_llPT13_lli
    .private_segment_fixed_size: 0
    .sgpr_count:     41
    .sgpr_spill_count: 0
    .symbol:         _ZN12_GLOBAL__N_127rocblas_gemm_batched_kernelI19rocblas_complex_numIfELi16ELi16ELi32ELi32ELi8ELi32ELi8ELi8ELi32ELc67ELc67EKPKS2_S5_KPS2_EEvlllT_PT11_llSA_llS8_PT12_llPT13_lli.kd
    .uniform_work_group_size: 1
    .uses_dynamic_stack: false
    .vgpr_count:     123
    .vgpr_spill_count: 0
    .wavefront_size: 32
    .workgroup_processor_mode: 1
  - .args:
      - .offset:         0
        .size:           8
        .value_kind:     by_value
      - .offset:         8
        .size:           8
        .value_kind:     by_value
      - .offset:         16
        .size:           8
        .value_kind:     by_value
      - .offset:         24
        .size:           8
        .value_kind:     by_value
      - .address_space:  global
        .offset:         32
        .size:           8
        .value_kind:     global_buffer
      - .offset:         40
        .size:           8
        .value_kind:     by_value
      - .offset:         48
        .size:           8
        .value_kind:     by_value
      - .address_space:  global
        .offset:         56
        .size:           8
        .value_kind:     global_buffer
      - .offset:         64
        .size:           8
        .value_kind:     by_value
      - .offset:         72
        .size:           8
        .value_kind:     by_value
      - .offset:         80
        .size:           8
        .value_kind:     by_value
      - .address_space:  global
        .offset:         88
        .size:           8
        .value_kind:     global_buffer
      - .offset:         96
        .size:           8
        .value_kind:     by_value
      - .offset:         104
        .size:           8
        .value_kind:     by_value
      - .address_space:  global
        .offset:         112
        .size:           8
        .value_kind:     global_buffer
      - .offset:         120
        .size:           8
        .value_kind:     by_value
      - .offset:         128
        .size:           8
        .value_kind:     by_value
      - .offset:         136
        .size:           4
        .value_kind:     by_value
    .group_segment_fixed_size: 4096
    .kernarg_segment_align: 8
    .kernarg_segment_size: 140
    .language:       OpenCL C
    .language_version:
      - 2
      - 0
    .max_flat_workgroup_size: 256
    .name:           _ZN12_GLOBAL__N_127rocblas_gemm_batched_kernelI19rocblas_complex_numIfELi16ELi16ELi32ELi32ELi8ELi32ELi8ELi8ELi32ELc67ELc78EKPKS2_S5_KPS2_EEvlllT_PT11_llSA_llS8_PT12_llPT13_lli
    .private_segment_fixed_size: 0
    .sgpr_count:     41
    .sgpr_spill_count: 0
    .symbol:         _ZN12_GLOBAL__N_127rocblas_gemm_batched_kernelI19rocblas_complex_numIfELi16ELi16ELi32ELi32ELi8ELi32ELi8ELi8ELi32ELc67ELc78EKPKS2_S5_KPS2_EEvlllT_PT11_llSA_llS8_PT12_llPT13_lli.kd
    .uniform_work_group_size: 1
    .uses_dynamic_stack: false
    .vgpr_count:     123
    .vgpr_spill_count: 0
    .wavefront_size: 32
    .workgroup_processor_mode: 1
  - .args:
      - .offset:         0
        .size:           8
        .value_kind:     by_value
      - .offset:         8
        .size:           8
        .value_kind:     by_value
      - .offset:         16
        .size:           8
        .value_kind:     by_value
      - .offset:         24
        .size:           8
        .value_kind:     by_value
      - .address_space:  global
        .offset:         32
        .size:           8
        .value_kind:     global_buffer
      - .offset:         40
        .size:           8
        .value_kind:     by_value
      - .offset:         48
        .size:           8
        .value_kind:     by_value
      - .address_space:  global
        .offset:         56
        .size:           8
        .value_kind:     global_buffer
      - .offset:         64
        .size:           8
        .value_kind:     by_value
      - .offset:         72
        .size:           8
        .value_kind:     by_value
      - .offset:         80
        .size:           8
        .value_kind:     by_value
      - .address_space:  global
        .offset:         88
        .size:           8
        .value_kind:     global_buffer
      - .offset:         96
        .size:           8
        .value_kind:     by_value
      - .offset:         104
        .size:           8
        .value_kind:     by_value
      - .address_space:  global
        .offset:         112
        .size:           8
        .value_kind:     global_buffer
      - .offset:         120
        .size:           8
        .value_kind:     by_value
      - .offset:         128
        .size:           8
        .value_kind:     by_value
      - .offset:         136
        .size:           4
        .value_kind:     by_value
    .group_segment_fixed_size: 4096
    .kernarg_segment_align: 8
    .kernarg_segment_size: 140
    .language:       OpenCL C
    .language_version:
      - 2
      - 0
    .max_flat_workgroup_size: 256
    .name:           _ZN12_GLOBAL__N_127rocblas_gemm_batched_kernelI19rocblas_complex_numIfELi16ELi16ELi32ELi32ELi8ELi32ELi8ELi8ELi32ELc67ELc84EKPKS2_S5_KPS2_EEvlllT_PT11_llSA_llS8_PT12_llPT13_lli
    .private_segment_fixed_size: 0
    .sgpr_count:     41
    .sgpr_spill_count: 0
    .symbol:         _ZN12_GLOBAL__N_127rocblas_gemm_batched_kernelI19rocblas_complex_numIfELi16ELi16ELi32ELi32ELi8ELi32ELi8ELi8ELi32ELc67ELc84EKPKS2_S5_KPS2_EEvlllT_PT11_llSA_llS8_PT12_llPT13_lli.kd
    .uniform_work_group_size: 1
    .uses_dynamic_stack: false
    .vgpr_count:     123
    .vgpr_spill_count: 0
    .wavefront_size: 32
    .workgroup_processor_mode: 1
  - .args:
      - .offset:         0
        .size:           8
        .value_kind:     by_value
      - .offset:         8
        .size:           8
        .value_kind:     by_value
      - .offset:         16
        .size:           8
        .value_kind:     by_value
      - .offset:         24
        .size:           8
        .value_kind:     by_value
      - .address_space:  global
        .offset:         32
        .size:           8
        .value_kind:     global_buffer
      - .offset:         40
        .size:           8
        .value_kind:     by_value
      - .offset:         48
        .size:           8
        .value_kind:     by_value
      - .address_space:  global
        .offset:         56
        .size:           8
        .value_kind:     global_buffer
      - .offset:         64
        .size:           8
        .value_kind:     by_value
      - .offset:         72
        .size:           8
        .value_kind:     by_value
      - .offset:         80
        .size:           8
        .value_kind:     by_value
      - .address_space:  global
        .offset:         88
        .size:           8
        .value_kind:     global_buffer
      - .offset:         96
        .size:           8
        .value_kind:     by_value
      - .offset:         104
        .size:           8
        .value_kind:     by_value
      - .address_space:  global
        .offset:         112
        .size:           8
        .value_kind:     global_buffer
      - .offset:         120
        .size:           8
        .value_kind:     by_value
      - .offset:         128
        .size:           8
        .value_kind:     by_value
      - .offset:         136
        .size:           4
        .value_kind:     by_value
    .group_segment_fixed_size: 4096
    .kernarg_segment_align: 8
    .kernarg_segment_size: 140
    .language:       OpenCL C
    .language_version:
      - 2
      - 0
    .max_flat_workgroup_size: 256
    .name:           _ZN12_GLOBAL__N_127rocblas_gemm_batched_kernelI19rocblas_complex_numIfELi16ELi16ELi32ELi32ELi8ELi32ELi8ELi8ELi32ELc78ELc67EKPKS2_S5_KPS2_EEvlllT_PT11_llSA_llS8_PT12_llPT13_lli
    .private_segment_fixed_size: 0
    .sgpr_count:     41
    .sgpr_spill_count: 0
    .symbol:         _ZN12_GLOBAL__N_127rocblas_gemm_batched_kernelI19rocblas_complex_numIfELi16ELi16ELi32ELi32ELi8ELi32ELi8ELi8ELi32ELc78ELc67EKPKS2_S5_KPS2_EEvlllT_PT11_llSA_llS8_PT12_llPT13_lli.kd
    .uniform_work_group_size: 1
    .uses_dynamic_stack: false
    .vgpr_count:     123
    .vgpr_spill_count: 0
    .wavefront_size: 32
    .workgroup_processor_mode: 1
  - .args:
      - .offset:         0
        .size:           8
        .value_kind:     by_value
      - .offset:         8
        .size:           8
        .value_kind:     by_value
      - .offset:         16
        .size:           8
        .value_kind:     by_value
      - .offset:         24
        .size:           8
        .value_kind:     by_value
      - .address_space:  global
        .offset:         32
        .size:           8
        .value_kind:     global_buffer
      - .offset:         40
        .size:           8
        .value_kind:     by_value
      - .offset:         48
        .size:           8
        .value_kind:     by_value
      - .address_space:  global
        .offset:         56
        .size:           8
        .value_kind:     global_buffer
      - .offset:         64
        .size:           8
        .value_kind:     by_value
      - .offset:         72
        .size:           8
        .value_kind:     by_value
      - .offset:         80
        .size:           8
        .value_kind:     by_value
      - .address_space:  global
        .offset:         88
        .size:           8
        .value_kind:     global_buffer
      - .offset:         96
        .size:           8
        .value_kind:     by_value
      - .offset:         104
        .size:           8
        .value_kind:     by_value
      - .address_space:  global
        .offset:         112
        .size:           8
        .value_kind:     global_buffer
      - .offset:         120
        .size:           8
        .value_kind:     by_value
      - .offset:         128
        .size:           8
        .value_kind:     by_value
      - .offset:         136
        .size:           4
        .value_kind:     by_value
    .group_segment_fixed_size: 4096
    .kernarg_segment_align: 8
    .kernarg_segment_size: 140
    .language:       OpenCL C
    .language_version:
      - 2
      - 0
    .max_flat_workgroup_size: 256
    .name:           _ZN12_GLOBAL__N_127rocblas_gemm_batched_kernelI19rocblas_complex_numIfELi16ELi16ELi32ELi32ELi8ELi32ELi8ELi8ELi32ELc84ELc67EKPKS2_S5_KPS2_EEvlllT_PT11_llSA_llS8_PT12_llPT13_lli
    .private_segment_fixed_size: 0
    .sgpr_count:     41
    .sgpr_spill_count: 0
    .symbol:         _ZN12_GLOBAL__N_127rocblas_gemm_batched_kernelI19rocblas_complex_numIfELi16ELi16ELi32ELi32ELi8ELi32ELi8ELi8ELi32ELc84ELc67EKPKS2_S5_KPS2_EEvlllT_PT11_llSA_llS8_PT12_llPT13_lli.kd
    .uniform_work_group_size: 1
    .uses_dynamic_stack: false
    .vgpr_count:     123
    .vgpr_spill_count: 0
    .wavefront_size: 32
    .workgroup_processor_mode: 1
  - .args:
      - .offset:         0
        .size:           8
        .value_kind:     by_value
      - .offset:         8
        .size:           8
        .value_kind:     by_value
      - .offset:         16
        .size:           8
        .value_kind:     by_value
      - .offset:         24
        .size:           8
        .value_kind:     by_value
      - .address_space:  global
        .offset:         32
        .size:           8
        .value_kind:     global_buffer
      - .offset:         40
        .size:           8
        .value_kind:     by_value
      - .offset:         48
        .size:           8
        .value_kind:     by_value
      - .address_space:  global
        .offset:         56
        .size:           8
        .value_kind:     global_buffer
      - .offset:         64
        .size:           8
        .value_kind:     by_value
      - .offset:         72
        .size:           8
        .value_kind:     by_value
      - .offset:         80
        .size:           8
        .value_kind:     by_value
      - .address_space:  global
        .offset:         88
        .size:           8
        .value_kind:     global_buffer
      - .offset:         96
        .size:           8
        .value_kind:     by_value
      - .offset:         104
        .size:           8
        .value_kind:     by_value
      - .address_space:  global
        .offset:         112
        .size:           8
        .value_kind:     global_buffer
      - .offset:         120
        .size:           8
        .value_kind:     by_value
      - .offset:         128
        .size:           8
        .value_kind:     by_value
      - .offset:         136
        .size:           4
        .value_kind:     by_value
    .group_segment_fixed_size: 4096
    .kernarg_segment_align: 8
    .kernarg_segment_size: 140
    .language:       OpenCL C
    .language_version:
      - 2
      - 0
    .max_flat_workgroup_size: 256
    .name:           _ZN12_GLOBAL__N_135rocblas_gemm_batched_general_kernelI19rocblas_complex_numIfELi16ELi16ELi32ELi32ELi8ELi32ELi8ELi8ELi32ELc78ELc78EKPKS2_S5_KPS2_EEvlllT_PT11_llSA_llS8_PT12_llPT13_lli
    .private_segment_fixed_size: 0
    .sgpr_count:     49
    .sgpr_spill_count: 0
    .symbol:         _ZN12_GLOBAL__N_135rocblas_gemm_batched_general_kernelI19rocblas_complex_numIfELi16ELi16ELi32ELi32ELi8ELi32ELi8ELi8ELi32ELc78ELc78EKPKS2_S5_KPS2_EEvlllT_PT11_llSA_llS8_PT12_llPT13_lli.kd
    .uniform_work_group_size: 1
    .uses_dynamic_stack: false
    .vgpr_count:     71
    .vgpr_spill_count: 0
    .wavefront_size: 32
    .workgroup_processor_mode: 1
  - .args:
      - .offset:         0
        .size:           8
        .value_kind:     by_value
      - .offset:         8
        .size:           8
        .value_kind:     by_value
      - .offset:         16
        .size:           8
        .value_kind:     by_value
      - .offset:         24
        .size:           8
        .value_kind:     by_value
      - .address_space:  global
        .offset:         32
        .size:           8
        .value_kind:     global_buffer
      - .offset:         40
        .size:           8
        .value_kind:     by_value
      - .offset:         48
        .size:           8
        .value_kind:     by_value
      - .address_space:  global
        .offset:         56
        .size:           8
        .value_kind:     global_buffer
      - .offset:         64
        .size:           8
        .value_kind:     by_value
      - .offset:         72
        .size:           8
        .value_kind:     by_value
      - .offset:         80
        .size:           8
        .value_kind:     by_value
      - .address_space:  global
        .offset:         88
        .size:           8
        .value_kind:     global_buffer
      - .offset:         96
        .size:           8
        .value_kind:     by_value
      - .offset:         104
        .size:           8
        .value_kind:     by_value
      - .address_space:  global
        .offset:         112
        .size:           8
        .value_kind:     global_buffer
      - .offset:         120
        .size:           8
        .value_kind:     by_value
      - .offset:         128
        .size:           8
        .value_kind:     by_value
      - .offset:         136
        .size:           4
        .value_kind:     by_value
    .group_segment_fixed_size: 4096
    .kernarg_segment_align: 8
    .kernarg_segment_size: 140
    .language:       OpenCL C
    .language_version:
      - 2
      - 0
    .max_flat_workgroup_size: 256
    .name:           _ZN12_GLOBAL__N_135rocblas_gemm_batched_general_kernelI19rocblas_complex_numIfELi16ELi16ELi32ELi32ELi8ELi32ELi8ELi8ELi32ELc84ELc78EKPKS2_S5_KPS2_EEvlllT_PT11_llSA_llS8_PT12_llPT13_lli
    .private_segment_fixed_size: 0
    .sgpr_count:     48
    .sgpr_spill_count: 0
    .symbol:         _ZN12_GLOBAL__N_135rocblas_gemm_batched_general_kernelI19rocblas_complex_numIfELi16ELi16ELi32ELi32ELi8ELi32ELi8ELi8ELi32ELc84ELc78EKPKS2_S5_KPS2_EEvlllT_PT11_llSA_llS8_PT12_llPT13_lli.kd
    .uniform_work_group_size: 1
    .uses_dynamic_stack: false
    .vgpr_count:     71
    .vgpr_spill_count: 0
    .wavefront_size: 32
    .workgroup_processor_mode: 1
  - .args:
      - .offset:         0
        .size:           8
        .value_kind:     by_value
      - .offset:         8
        .size:           8
        .value_kind:     by_value
      - .offset:         16
        .size:           8
        .value_kind:     by_value
      - .offset:         24
        .size:           8
        .value_kind:     by_value
      - .address_space:  global
        .offset:         32
        .size:           8
        .value_kind:     global_buffer
      - .offset:         40
        .size:           8
        .value_kind:     by_value
      - .offset:         48
        .size:           8
        .value_kind:     by_value
      - .address_space:  global
        .offset:         56
        .size:           8
        .value_kind:     global_buffer
      - .offset:         64
        .size:           8
        .value_kind:     by_value
      - .offset:         72
        .size:           8
        .value_kind:     by_value
      - .offset:         80
        .size:           8
        .value_kind:     by_value
      - .address_space:  global
        .offset:         88
        .size:           8
        .value_kind:     global_buffer
      - .offset:         96
        .size:           8
        .value_kind:     by_value
      - .offset:         104
        .size:           8
        .value_kind:     by_value
      - .address_space:  global
        .offset:         112
        .size:           8
        .value_kind:     global_buffer
      - .offset:         120
        .size:           8
        .value_kind:     by_value
      - .offset:         128
        .size:           8
        .value_kind:     by_value
      - .offset:         136
        .size:           4
        .value_kind:     by_value
    .group_segment_fixed_size: 4096
    .kernarg_segment_align: 8
    .kernarg_segment_size: 140
    .language:       OpenCL C
    .language_version:
      - 2
      - 0
    .max_flat_workgroup_size: 256
    .name:           _ZN12_GLOBAL__N_135rocblas_gemm_batched_general_kernelI19rocblas_complex_numIfELi16ELi16ELi32ELi32ELi8ELi32ELi8ELi8ELi32ELc78ELc84EKPKS2_S5_KPS2_EEvlllT_PT11_llSA_llS8_PT12_llPT13_lli
    .private_segment_fixed_size: 0
    .sgpr_count:     49
    .sgpr_spill_count: 0
    .symbol:         _ZN12_GLOBAL__N_135rocblas_gemm_batched_general_kernelI19rocblas_complex_numIfELi16ELi16ELi32ELi32ELi8ELi32ELi8ELi8ELi32ELc78ELc84EKPKS2_S5_KPS2_EEvlllT_PT11_llSA_llS8_PT12_llPT13_lli.kd
    .uniform_work_group_size: 1
    .uses_dynamic_stack: false
    .vgpr_count:     71
    .vgpr_spill_count: 0
    .wavefront_size: 32
    .workgroup_processor_mode: 1
  - .args:
      - .offset:         0
        .size:           8
        .value_kind:     by_value
      - .offset:         8
        .size:           8
        .value_kind:     by_value
      - .offset:         16
        .size:           8
        .value_kind:     by_value
      - .offset:         24
        .size:           8
        .value_kind:     by_value
      - .address_space:  global
        .offset:         32
        .size:           8
        .value_kind:     global_buffer
      - .offset:         40
        .size:           8
        .value_kind:     by_value
      - .offset:         48
        .size:           8
        .value_kind:     by_value
      - .address_space:  global
        .offset:         56
        .size:           8
        .value_kind:     global_buffer
      - .offset:         64
        .size:           8
        .value_kind:     by_value
      - .offset:         72
        .size:           8
        .value_kind:     by_value
      - .offset:         80
        .size:           8
        .value_kind:     by_value
      - .address_space:  global
        .offset:         88
        .size:           8
        .value_kind:     global_buffer
      - .offset:         96
        .size:           8
        .value_kind:     by_value
      - .offset:         104
        .size:           8
        .value_kind:     by_value
      - .address_space:  global
        .offset:         112
        .size:           8
        .value_kind:     global_buffer
      - .offset:         120
        .size:           8
        .value_kind:     by_value
      - .offset:         128
        .size:           8
        .value_kind:     by_value
      - .offset:         136
        .size:           4
        .value_kind:     by_value
    .group_segment_fixed_size: 4096
    .kernarg_segment_align: 8
    .kernarg_segment_size: 140
    .language:       OpenCL C
    .language_version:
      - 2
      - 0
    .max_flat_workgroup_size: 256
    .name:           _ZN12_GLOBAL__N_135rocblas_gemm_batched_general_kernelI19rocblas_complex_numIfELi16ELi16ELi32ELi32ELi8ELi32ELi8ELi8ELi32ELc84ELc84EKPKS2_S5_KPS2_EEvlllT_PT11_llSA_llS8_PT12_llPT13_lli
    .private_segment_fixed_size: 0
    .sgpr_count:     49
    .sgpr_spill_count: 0
    .symbol:         _ZN12_GLOBAL__N_135rocblas_gemm_batched_general_kernelI19rocblas_complex_numIfELi16ELi16ELi32ELi32ELi8ELi32ELi8ELi8ELi32ELc84ELc84EKPKS2_S5_KPS2_EEvlllT_PT11_llSA_llS8_PT12_llPT13_lli.kd
    .uniform_work_group_size: 1
    .uses_dynamic_stack: false
    .vgpr_count:     71
    .vgpr_spill_count: 0
    .wavefront_size: 32
    .workgroup_processor_mode: 1
  - .args:
      - .offset:         0
        .size:           8
        .value_kind:     by_value
      - .offset:         8
        .size:           8
        .value_kind:     by_value
      - .offset:         16
        .size:           8
        .value_kind:     by_value
      - .offset:         24
        .size:           8
        .value_kind:     by_value
      - .address_space:  global
        .offset:         32
        .size:           8
        .value_kind:     global_buffer
      - .offset:         40
        .size:           8
        .value_kind:     by_value
      - .offset:         48
        .size:           8
        .value_kind:     by_value
      - .address_space:  global
        .offset:         56
        .size:           8
        .value_kind:     global_buffer
      - .offset:         64
        .size:           8
        .value_kind:     by_value
      - .offset:         72
        .size:           8
        .value_kind:     by_value
      - .offset:         80
        .size:           8
        .value_kind:     by_value
      - .address_space:  global
        .offset:         88
        .size:           8
        .value_kind:     global_buffer
      - .offset:         96
        .size:           8
        .value_kind:     by_value
      - .offset:         104
        .size:           8
        .value_kind:     by_value
      - .address_space:  global
        .offset:         112
        .size:           8
        .value_kind:     global_buffer
      - .offset:         120
        .size:           8
        .value_kind:     by_value
      - .offset:         128
        .size:           8
        .value_kind:     by_value
      - .offset:         136
        .size:           4
        .value_kind:     by_value
    .group_segment_fixed_size: 4096
    .kernarg_segment_align: 8
    .kernarg_segment_size: 140
    .language:       OpenCL C
    .language_version:
      - 2
      - 0
    .max_flat_workgroup_size: 256
    .name:           _ZN12_GLOBAL__N_135rocblas_gemm_batched_general_kernelI19rocblas_complex_numIfELi16ELi16ELi32ELi32ELi8ELi32ELi8ELi8ELi32ELc67ELc67EKPKS2_S5_KPS2_EEvlllT_PT11_llSA_llS8_PT12_llPT13_lli
    .private_segment_fixed_size: 0
    .sgpr_count:     49
    .sgpr_spill_count: 0
    .symbol:         _ZN12_GLOBAL__N_135rocblas_gemm_batched_general_kernelI19rocblas_complex_numIfELi16ELi16ELi32ELi32ELi8ELi32ELi8ELi8ELi32ELc67ELc67EKPKS2_S5_KPS2_EEvlllT_PT11_llSA_llS8_PT12_llPT13_lli.kd
    .uniform_work_group_size: 1
    .uses_dynamic_stack: false
    .vgpr_count:     71
    .vgpr_spill_count: 0
    .wavefront_size: 32
    .workgroup_processor_mode: 1
  - .args:
      - .offset:         0
        .size:           8
        .value_kind:     by_value
      - .offset:         8
        .size:           8
        .value_kind:     by_value
      - .offset:         16
        .size:           8
        .value_kind:     by_value
      - .offset:         24
        .size:           8
        .value_kind:     by_value
      - .address_space:  global
        .offset:         32
        .size:           8
        .value_kind:     global_buffer
      - .offset:         40
        .size:           8
        .value_kind:     by_value
      - .offset:         48
        .size:           8
        .value_kind:     by_value
      - .address_space:  global
        .offset:         56
        .size:           8
        .value_kind:     global_buffer
      - .offset:         64
        .size:           8
        .value_kind:     by_value
      - .offset:         72
        .size:           8
        .value_kind:     by_value
      - .offset:         80
        .size:           8
        .value_kind:     by_value
      - .address_space:  global
        .offset:         88
        .size:           8
        .value_kind:     global_buffer
      - .offset:         96
        .size:           8
        .value_kind:     by_value
      - .offset:         104
        .size:           8
        .value_kind:     by_value
      - .address_space:  global
        .offset:         112
        .size:           8
        .value_kind:     global_buffer
      - .offset:         120
        .size:           8
        .value_kind:     by_value
      - .offset:         128
        .size:           8
        .value_kind:     by_value
      - .offset:         136
        .size:           4
        .value_kind:     by_value
    .group_segment_fixed_size: 4096
    .kernarg_segment_align: 8
    .kernarg_segment_size: 140
    .language:       OpenCL C
    .language_version:
      - 2
      - 0
    .max_flat_workgroup_size: 256
    .name:           _ZN12_GLOBAL__N_135rocblas_gemm_batched_general_kernelI19rocblas_complex_numIfELi16ELi16ELi32ELi32ELi8ELi32ELi8ELi8ELi32ELc67ELc78EKPKS2_S5_KPS2_EEvlllT_PT11_llSA_llS8_PT12_llPT13_lli
    .private_segment_fixed_size: 0
    .sgpr_count:     49
    .sgpr_spill_count: 0
    .symbol:         _ZN12_GLOBAL__N_135rocblas_gemm_batched_general_kernelI19rocblas_complex_numIfELi16ELi16ELi32ELi32ELi8ELi32ELi8ELi8ELi32ELc67ELc78EKPKS2_S5_KPS2_EEvlllT_PT11_llSA_llS8_PT12_llPT13_lli.kd
    .uniform_work_group_size: 1
    .uses_dynamic_stack: false
    .vgpr_count:     71
    .vgpr_spill_count: 0
    .wavefront_size: 32
    .workgroup_processor_mode: 1
  - .args:
      - .offset:         0
        .size:           8
        .value_kind:     by_value
      - .offset:         8
        .size:           8
        .value_kind:     by_value
      - .offset:         16
        .size:           8
        .value_kind:     by_value
      - .offset:         24
        .size:           8
        .value_kind:     by_value
      - .address_space:  global
        .offset:         32
        .size:           8
        .value_kind:     global_buffer
      - .offset:         40
        .size:           8
        .value_kind:     by_value
      - .offset:         48
        .size:           8
        .value_kind:     by_value
      - .address_space:  global
        .offset:         56
        .size:           8
        .value_kind:     global_buffer
      - .offset:         64
        .size:           8
        .value_kind:     by_value
      - .offset:         72
        .size:           8
        .value_kind:     by_value
      - .offset:         80
        .size:           8
        .value_kind:     by_value
      - .address_space:  global
        .offset:         88
        .size:           8
        .value_kind:     global_buffer
      - .offset:         96
        .size:           8
        .value_kind:     by_value
      - .offset:         104
        .size:           8
        .value_kind:     by_value
      - .address_space:  global
        .offset:         112
        .size:           8
        .value_kind:     global_buffer
      - .offset:         120
        .size:           8
        .value_kind:     by_value
      - .offset:         128
        .size:           8
        .value_kind:     by_value
      - .offset:         136
        .size:           4
        .value_kind:     by_value
    .group_segment_fixed_size: 4096
    .kernarg_segment_align: 8
    .kernarg_segment_size: 140
    .language:       OpenCL C
    .language_version:
      - 2
      - 0
    .max_flat_workgroup_size: 256
    .name:           _ZN12_GLOBAL__N_135rocblas_gemm_batched_general_kernelI19rocblas_complex_numIfELi16ELi16ELi32ELi32ELi8ELi32ELi8ELi8ELi32ELc67ELc84EKPKS2_S5_KPS2_EEvlllT_PT11_llSA_llS8_PT12_llPT13_lli
    .private_segment_fixed_size: 0
    .sgpr_count:     49
    .sgpr_spill_count: 0
    .symbol:         _ZN12_GLOBAL__N_135rocblas_gemm_batched_general_kernelI19rocblas_complex_numIfELi16ELi16ELi32ELi32ELi8ELi32ELi8ELi8ELi32ELc67ELc84EKPKS2_S5_KPS2_EEvlllT_PT11_llSA_llS8_PT12_llPT13_lli.kd
    .uniform_work_group_size: 1
    .uses_dynamic_stack: false
    .vgpr_count:     71
    .vgpr_spill_count: 0
    .wavefront_size: 32
    .workgroup_processor_mode: 1
  - .args:
      - .offset:         0
        .size:           8
        .value_kind:     by_value
      - .offset:         8
        .size:           8
        .value_kind:     by_value
      - .offset:         16
        .size:           8
        .value_kind:     by_value
      - .offset:         24
        .size:           8
        .value_kind:     by_value
      - .address_space:  global
        .offset:         32
        .size:           8
        .value_kind:     global_buffer
      - .offset:         40
        .size:           8
        .value_kind:     by_value
      - .offset:         48
        .size:           8
        .value_kind:     by_value
      - .address_space:  global
        .offset:         56
        .size:           8
        .value_kind:     global_buffer
      - .offset:         64
        .size:           8
        .value_kind:     by_value
      - .offset:         72
        .size:           8
        .value_kind:     by_value
      - .offset:         80
        .size:           8
        .value_kind:     by_value
      - .address_space:  global
        .offset:         88
        .size:           8
        .value_kind:     global_buffer
      - .offset:         96
        .size:           8
        .value_kind:     by_value
      - .offset:         104
        .size:           8
        .value_kind:     by_value
      - .address_space:  global
        .offset:         112
        .size:           8
        .value_kind:     global_buffer
      - .offset:         120
        .size:           8
        .value_kind:     by_value
      - .offset:         128
        .size:           8
        .value_kind:     by_value
      - .offset:         136
        .size:           4
        .value_kind:     by_value
    .group_segment_fixed_size: 4096
    .kernarg_segment_align: 8
    .kernarg_segment_size: 140
    .language:       OpenCL C
    .language_version:
      - 2
      - 0
    .max_flat_workgroup_size: 256
    .name:           _ZN12_GLOBAL__N_135rocblas_gemm_batched_general_kernelI19rocblas_complex_numIfELi16ELi16ELi32ELi32ELi8ELi32ELi8ELi8ELi32ELc78ELc67EKPKS2_S5_KPS2_EEvlllT_PT11_llSA_llS8_PT12_llPT13_lli
    .private_segment_fixed_size: 0
    .sgpr_count:     49
    .sgpr_spill_count: 0
    .symbol:         _ZN12_GLOBAL__N_135rocblas_gemm_batched_general_kernelI19rocblas_complex_numIfELi16ELi16ELi32ELi32ELi8ELi32ELi8ELi8ELi32ELc78ELc67EKPKS2_S5_KPS2_EEvlllT_PT11_llSA_llS8_PT12_llPT13_lli.kd
    .uniform_work_group_size: 1
    .uses_dynamic_stack: false
    .vgpr_count:     71
    .vgpr_spill_count: 0
    .wavefront_size: 32
    .workgroup_processor_mode: 1
  - .args:
      - .offset:         0
        .size:           8
        .value_kind:     by_value
      - .offset:         8
        .size:           8
        .value_kind:     by_value
      - .offset:         16
        .size:           8
        .value_kind:     by_value
      - .offset:         24
        .size:           8
        .value_kind:     by_value
      - .address_space:  global
        .offset:         32
        .size:           8
        .value_kind:     global_buffer
      - .offset:         40
        .size:           8
        .value_kind:     by_value
      - .offset:         48
        .size:           8
        .value_kind:     by_value
      - .address_space:  global
        .offset:         56
        .size:           8
        .value_kind:     global_buffer
      - .offset:         64
        .size:           8
        .value_kind:     by_value
      - .offset:         72
        .size:           8
        .value_kind:     by_value
      - .offset:         80
        .size:           8
        .value_kind:     by_value
      - .address_space:  global
        .offset:         88
        .size:           8
        .value_kind:     global_buffer
      - .offset:         96
        .size:           8
        .value_kind:     by_value
      - .offset:         104
        .size:           8
        .value_kind:     by_value
      - .address_space:  global
        .offset:         112
        .size:           8
        .value_kind:     global_buffer
      - .offset:         120
        .size:           8
        .value_kind:     by_value
      - .offset:         128
        .size:           8
        .value_kind:     by_value
      - .offset:         136
        .size:           4
        .value_kind:     by_value
    .group_segment_fixed_size: 4096
    .kernarg_segment_align: 8
    .kernarg_segment_size: 140
    .language:       OpenCL C
    .language_version:
      - 2
      - 0
    .max_flat_workgroup_size: 256
    .name:           _ZN12_GLOBAL__N_135rocblas_gemm_batched_general_kernelI19rocblas_complex_numIfELi16ELi16ELi32ELi32ELi8ELi32ELi8ELi8ELi32ELc84ELc67EKPKS2_S5_KPS2_EEvlllT_PT11_llSA_llS8_PT12_llPT13_lli
    .private_segment_fixed_size: 0
    .sgpr_count:     48
    .sgpr_spill_count: 0
    .symbol:         _ZN12_GLOBAL__N_135rocblas_gemm_batched_general_kernelI19rocblas_complex_numIfELi16ELi16ELi32ELi32ELi8ELi32ELi8ELi8ELi32ELc84ELc67EKPKS2_S5_KPS2_EEvlllT_PT11_llSA_llS8_PT12_llPT13_lli.kd
    .uniform_work_group_size: 1
    .uses_dynamic_stack: false
    .vgpr_count:     71
    .vgpr_spill_count: 0
    .wavefront_size: 32
    .workgroup_processor_mode: 1
  - .args:
      - .offset:         0
        .size:           4
        .value_kind:     by_value
      - .offset:         4
        .size:           4
        .value_kind:     by_value
      - .offset:         8
        .size:           16
        .value_kind:     by_value
      - .address_space:  global
        .offset:         24
        .size:           8
        .value_kind:     global_buffer
      - .offset:         32
        .size:           8
        .value_kind:     by_value
      - .offset:         40
        .size:           8
        .value_kind:     by_value
      - .offset:         48
        .size:           8
        .value_kind:     by_value
      - .offset:         56
        .size:           4
        .value_kind:     by_value
    .group_segment_fixed_size: 0
    .kernarg_segment_align: 8
    .kernarg_segment_size: 60
    .language:       OpenCL C
    .language_version:
      - 2
      - 0
    .max_flat_workgroup_size: 1024
    .name:           _ZN12_GLOBAL__N_125rocblas_gemm_scale_kernelILi32ELi32E19rocblas_complex_numIdEPKPS2_EEviiT1_T2_llli
    .private_segment_fixed_size: 0
    .sgpr_count:     19
    .sgpr_spill_count: 0
    .symbol:         _ZN12_GLOBAL__N_125rocblas_gemm_scale_kernelILi32ELi32E19rocblas_complex_numIdEPKPS2_EEviiT1_T2_llli.kd
    .uniform_work_group_size: 1
    .uses_dynamic_stack: false
    .vgpr_count:     12
    .vgpr_spill_count: 0
    .wavefront_size: 32
    .workgroup_processor_mode: 1
  - .args:
      - .offset:         0
        .size:           4
        .value_kind:     by_value
      - .offset:         4
        .size:           4
        .value_kind:     by_value
      - .offset:         8
        .size:           16
        .value_kind:     by_value
      - .address_space:  global
        .offset:         24
        .size:           8
        .value_kind:     global_buffer
      - .offset:         32
        .size:           8
        .value_kind:     by_value
      - .offset:         40
        .size:           8
        .value_kind:     by_value
      - .offset:         48
        .size:           8
        .value_kind:     by_value
      - .address_space:  global
        .offset:         56
        .size:           8
        .value_kind:     global_buffer
      - .offset:         64
        .size:           8
        .value_kind:     by_value
      - .offset:         72
        .size:           8
        .value_kind:     by_value
      - .offset:         80
        .size:           8
        .value_kind:     by_value
      - .offset:         88
        .size:           4
        .value_kind:     by_value
    .group_segment_fixed_size: 0
    .kernarg_segment_align: 8
    .kernarg_segment_size: 92
    .language:       OpenCL C
    .language_version:
      - 2
      - 0
    .max_flat_workgroup_size: 1024
    .name:           _ZN12_GLOBAL__N_120gemm_ex_scale_kernelILi32ELi32E19rocblas_complex_numIdEPKPKS2_PKPS2_EEviiT1_T2_lllT3_llli
    .private_segment_fixed_size: 0
    .sgpr_count:     27
    .sgpr_spill_count: 0
    .symbol:         _ZN12_GLOBAL__N_120gemm_ex_scale_kernelILi32ELi32E19rocblas_complex_numIdEPKPKS2_PKPS2_EEviiT1_T2_lllT3_llli.kd
    .uniform_work_group_size: 1
    .uses_dynamic_stack: false
    .vgpr_count:     14
    .vgpr_spill_count: 0
    .wavefront_size: 32
    .workgroup_processor_mode: 1
  - .args:
      - .offset:         0
        .size:           8
        .value_kind:     by_value
      - .offset:         8
        .size:           8
        .value_kind:     by_value
      - .offset:         16
        .size:           8
        .value_kind:     by_value
      - .offset:         24
        .size:           16
        .value_kind:     by_value
      - .address_space:  global
        .offset:         40
        .size:           8
        .value_kind:     global_buffer
      - .offset:         48
        .size:           8
        .value_kind:     by_value
      - .offset:         56
        .size:           8
        .value_kind:     by_value
      - .address_space:  global
        .offset:         64
        .size:           8
        .value_kind:     global_buffer
      - .offset:         72
        .size:           8
        .value_kind:     by_value
      - .offset:         80
        .size:           8
        .value_kind:     by_value
      - .offset:         88
        .size:           16
        .value_kind:     by_value
      - .address_space:  global
        .offset:         104
        .size:           8
        .value_kind:     global_buffer
      - .offset:         112
        .size:           8
        .value_kind:     by_value
      - .offset:         120
        .size:           8
        .value_kind:     by_value
      - .address_space:  global
        .offset:         128
        .size:           8
        .value_kind:     global_buffer
      - .offset:         136
        .size:           8
        .value_kind:     by_value
      - .offset:         144
        .size:           8
        .value_kind:     by_value
      - .offset:         152
        .size:           4
        .value_kind:     by_value
    .group_segment_fixed_size: 8192
    .kernarg_segment_align: 8
    .kernarg_segment_size: 156
    .language:       OpenCL C
    .language_version:
      - 2
      - 0
    .max_flat_workgroup_size: 256
    .name:           _ZN12_GLOBAL__N_127rocblas_gemm_batched_kernelI19rocblas_complex_numIdELi16ELi16ELi64ELi64ELi4ELi64ELi4ELi4ELi64ELc78ELc78EKPKS2_S5_KPS2_EEvlllT_PT11_llSA_llS8_PT12_llPT13_lli
    .private_segment_fixed_size: 388
    .sgpr_count:     54
    .sgpr_spill_count: 0
    .symbol:         _ZN12_GLOBAL__N_127rocblas_gemm_batched_kernelI19rocblas_complex_numIdELi16ELi16ELi64ELi64ELi4ELi64ELi4ELi4ELi64ELc78ELc78EKPKS2_S5_KPS2_EEvlllT_PT11_llSA_llS8_PT12_llPT13_lli.kd
    .uniform_work_group_size: 1
    .uses_dynamic_stack: false
    .vgpr_count:     256
    .vgpr_spill_count: 108
    .wavefront_size: 32
    .workgroup_processor_mode: 1
  - .args:
      - .offset:         0
        .size:           8
        .value_kind:     by_value
      - .offset:         8
        .size:           8
        .value_kind:     by_value
      - .offset:         16
        .size:           8
        .value_kind:     by_value
      - .offset:         24
        .size:           16
        .value_kind:     by_value
      - .address_space:  global
        .offset:         40
        .size:           8
        .value_kind:     global_buffer
      - .offset:         48
        .size:           8
        .value_kind:     by_value
      - .offset:         56
        .size:           8
        .value_kind:     by_value
      - .address_space:  global
        .offset:         64
        .size:           8
        .value_kind:     global_buffer
      - .offset:         72
        .size:           8
        .value_kind:     by_value
      - .offset:         80
        .size:           8
        .value_kind:     by_value
      - .offset:         88
        .size:           16
        .value_kind:     by_value
      - .address_space:  global
        .offset:         104
        .size:           8
        .value_kind:     global_buffer
      - .offset:         112
        .size:           8
        .value_kind:     by_value
      - .offset:         120
        .size:           8
        .value_kind:     by_value
      - .address_space:  global
        .offset:         128
        .size:           8
        .value_kind:     global_buffer
      - .offset:         136
        .size:           8
        .value_kind:     by_value
      - .offset:         144
        .size:           8
        .value_kind:     by_value
      - .offset:         152
        .size:           4
        .value_kind:     by_value
    .group_segment_fixed_size: 8192
    .kernarg_segment_align: 8
    .kernarg_segment_size: 156
    .language:       OpenCL C
    .language_version:
      - 2
      - 0
    .max_flat_workgroup_size: 256
    .name:           _ZN12_GLOBAL__N_127rocblas_gemm_batched_kernelI19rocblas_complex_numIdELi16ELi16ELi64ELi64ELi4ELi64ELi4ELi4ELi64ELc84ELc78EKPKS2_S5_KPS2_EEvlllT_PT11_llSA_llS8_PT12_llPT13_lli
    .private_segment_fixed_size: 388
    .sgpr_count:     54
    .sgpr_spill_count: 0
    .symbol:         _ZN12_GLOBAL__N_127rocblas_gemm_batched_kernelI19rocblas_complex_numIdELi16ELi16ELi64ELi64ELi4ELi64ELi4ELi4ELi64ELc84ELc78EKPKS2_S5_KPS2_EEvlllT_PT11_llSA_llS8_PT12_llPT13_lli.kd
    .uniform_work_group_size: 1
    .uses_dynamic_stack: false
    .vgpr_count:     256
    .vgpr_spill_count: 108
    .wavefront_size: 32
    .workgroup_processor_mode: 1
  - .args:
      - .offset:         0
        .size:           8
        .value_kind:     by_value
      - .offset:         8
        .size:           8
        .value_kind:     by_value
      - .offset:         16
        .size:           8
        .value_kind:     by_value
      - .offset:         24
        .size:           16
        .value_kind:     by_value
      - .address_space:  global
        .offset:         40
        .size:           8
        .value_kind:     global_buffer
      - .offset:         48
        .size:           8
        .value_kind:     by_value
      - .offset:         56
        .size:           8
        .value_kind:     by_value
      - .address_space:  global
        .offset:         64
        .size:           8
        .value_kind:     global_buffer
      - .offset:         72
        .size:           8
        .value_kind:     by_value
      - .offset:         80
        .size:           8
        .value_kind:     by_value
      - .offset:         88
        .size:           16
        .value_kind:     by_value
      - .address_space:  global
        .offset:         104
        .size:           8
        .value_kind:     global_buffer
      - .offset:         112
        .size:           8
        .value_kind:     by_value
      - .offset:         120
        .size:           8
        .value_kind:     by_value
      - .address_space:  global
        .offset:         128
        .size:           8
        .value_kind:     global_buffer
      - .offset:         136
        .size:           8
        .value_kind:     by_value
      - .offset:         144
        .size:           8
        .value_kind:     by_value
      - .offset:         152
        .size:           4
        .value_kind:     by_value
    .group_segment_fixed_size: 8192
    .kernarg_segment_align: 8
    .kernarg_segment_size: 156
    .language:       OpenCL C
    .language_version:
      - 2
      - 0
    .max_flat_workgroup_size: 256
    .name:           _ZN12_GLOBAL__N_127rocblas_gemm_batched_kernelI19rocblas_complex_numIdELi16ELi16ELi64ELi64ELi4ELi64ELi4ELi4ELi64ELc78ELc84EKPKS2_S5_KPS2_EEvlllT_PT11_llSA_llS8_PT12_llPT13_lli
    .private_segment_fixed_size: 388
    .sgpr_count:     54
    .sgpr_spill_count: 0
    .symbol:         _ZN12_GLOBAL__N_127rocblas_gemm_batched_kernelI19rocblas_complex_numIdELi16ELi16ELi64ELi64ELi4ELi64ELi4ELi4ELi64ELc78ELc84EKPKS2_S5_KPS2_EEvlllT_PT11_llSA_llS8_PT12_llPT13_lli.kd
    .uniform_work_group_size: 1
    .uses_dynamic_stack: false
    .vgpr_count:     256
    .vgpr_spill_count: 108
    .wavefront_size: 32
    .workgroup_processor_mode: 1
  - .args:
      - .offset:         0
        .size:           8
        .value_kind:     by_value
      - .offset:         8
        .size:           8
        .value_kind:     by_value
      - .offset:         16
        .size:           8
        .value_kind:     by_value
      - .offset:         24
        .size:           16
        .value_kind:     by_value
      - .address_space:  global
        .offset:         40
        .size:           8
        .value_kind:     global_buffer
      - .offset:         48
        .size:           8
        .value_kind:     by_value
      - .offset:         56
        .size:           8
        .value_kind:     by_value
      - .address_space:  global
        .offset:         64
        .size:           8
        .value_kind:     global_buffer
      - .offset:         72
        .size:           8
        .value_kind:     by_value
      - .offset:         80
        .size:           8
        .value_kind:     by_value
      - .offset:         88
        .size:           16
        .value_kind:     by_value
      - .address_space:  global
        .offset:         104
        .size:           8
        .value_kind:     global_buffer
      - .offset:         112
        .size:           8
        .value_kind:     by_value
      - .offset:         120
        .size:           8
        .value_kind:     by_value
      - .address_space:  global
        .offset:         128
        .size:           8
        .value_kind:     global_buffer
      - .offset:         136
        .size:           8
        .value_kind:     by_value
      - .offset:         144
        .size:           8
        .value_kind:     by_value
      - .offset:         152
        .size:           4
        .value_kind:     by_value
    .group_segment_fixed_size: 8192
    .kernarg_segment_align: 8
    .kernarg_segment_size: 156
    .language:       OpenCL C
    .language_version:
      - 2
      - 0
    .max_flat_workgroup_size: 256
    .name:           _ZN12_GLOBAL__N_127rocblas_gemm_batched_kernelI19rocblas_complex_numIdELi16ELi16ELi64ELi64ELi4ELi64ELi4ELi4ELi64ELc84ELc84EKPKS2_S5_KPS2_EEvlllT_PT11_llSA_llS8_PT12_llPT13_lli
    .private_segment_fixed_size: 388
    .sgpr_count:     54
    .sgpr_spill_count: 0
    .symbol:         _ZN12_GLOBAL__N_127rocblas_gemm_batched_kernelI19rocblas_complex_numIdELi16ELi16ELi64ELi64ELi4ELi64ELi4ELi4ELi64ELc84ELc84EKPKS2_S5_KPS2_EEvlllT_PT11_llSA_llS8_PT12_llPT13_lli.kd
    .uniform_work_group_size: 1
    .uses_dynamic_stack: false
    .vgpr_count:     256
    .vgpr_spill_count: 108
    .wavefront_size: 32
    .workgroup_processor_mode: 1
  - .args:
      - .offset:         0
        .size:           8
        .value_kind:     by_value
      - .offset:         8
        .size:           8
        .value_kind:     by_value
      - .offset:         16
        .size:           8
        .value_kind:     by_value
      - .offset:         24
        .size:           16
        .value_kind:     by_value
      - .address_space:  global
        .offset:         40
        .size:           8
        .value_kind:     global_buffer
      - .offset:         48
        .size:           8
        .value_kind:     by_value
      - .offset:         56
        .size:           8
        .value_kind:     by_value
      - .address_space:  global
        .offset:         64
        .size:           8
        .value_kind:     global_buffer
      - .offset:         72
        .size:           8
        .value_kind:     by_value
      - .offset:         80
        .size:           8
        .value_kind:     by_value
      - .offset:         88
        .size:           16
        .value_kind:     by_value
      - .address_space:  global
        .offset:         104
        .size:           8
        .value_kind:     global_buffer
      - .offset:         112
        .size:           8
        .value_kind:     by_value
      - .offset:         120
        .size:           8
        .value_kind:     by_value
      - .address_space:  global
        .offset:         128
        .size:           8
        .value_kind:     global_buffer
      - .offset:         136
        .size:           8
        .value_kind:     by_value
      - .offset:         144
        .size:           8
        .value_kind:     by_value
      - .offset:         152
        .size:           4
        .value_kind:     by_value
    .group_segment_fixed_size: 8192
    .kernarg_segment_align: 8
    .kernarg_segment_size: 156
    .language:       OpenCL C
    .language_version:
      - 2
      - 0
    .max_flat_workgroup_size: 256
    .name:           _ZN12_GLOBAL__N_127rocblas_gemm_batched_kernelI19rocblas_complex_numIdELi16ELi16ELi64ELi64ELi4ELi64ELi4ELi4ELi64ELc67ELc67EKPKS2_S5_KPS2_EEvlllT_PT11_llSA_llS8_PT12_llPT13_lli
    .private_segment_fixed_size: 388
    .sgpr_count:     54
    .sgpr_spill_count: 0
    .symbol:         _ZN12_GLOBAL__N_127rocblas_gemm_batched_kernelI19rocblas_complex_numIdELi16ELi16ELi64ELi64ELi4ELi64ELi4ELi4ELi64ELc67ELc67EKPKS2_S5_KPS2_EEvlllT_PT11_llSA_llS8_PT12_llPT13_lli.kd
    .uniform_work_group_size: 1
    .uses_dynamic_stack: false
    .vgpr_count:     256
    .vgpr_spill_count: 108
    .wavefront_size: 32
    .workgroup_processor_mode: 1
  - .args:
      - .offset:         0
        .size:           8
        .value_kind:     by_value
      - .offset:         8
        .size:           8
        .value_kind:     by_value
      - .offset:         16
        .size:           8
        .value_kind:     by_value
      - .offset:         24
        .size:           16
        .value_kind:     by_value
      - .address_space:  global
        .offset:         40
        .size:           8
        .value_kind:     global_buffer
      - .offset:         48
        .size:           8
        .value_kind:     by_value
      - .offset:         56
        .size:           8
        .value_kind:     by_value
      - .address_space:  global
        .offset:         64
        .size:           8
        .value_kind:     global_buffer
      - .offset:         72
        .size:           8
        .value_kind:     by_value
      - .offset:         80
        .size:           8
        .value_kind:     by_value
      - .offset:         88
        .size:           16
        .value_kind:     by_value
      - .address_space:  global
        .offset:         104
        .size:           8
        .value_kind:     global_buffer
      - .offset:         112
        .size:           8
        .value_kind:     by_value
      - .offset:         120
        .size:           8
        .value_kind:     by_value
      - .address_space:  global
        .offset:         128
        .size:           8
        .value_kind:     global_buffer
      - .offset:         136
        .size:           8
        .value_kind:     by_value
      - .offset:         144
        .size:           8
        .value_kind:     by_value
      - .offset:         152
        .size:           4
        .value_kind:     by_value
    .group_segment_fixed_size: 8192
    .kernarg_segment_align: 8
    .kernarg_segment_size: 156
    .language:       OpenCL C
    .language_version:
      - 2
      - 0
    .max_flat_workgroup_size: 256
    .name:           _ZN12_GLOBAL__N_127rocblas_gemm_batched_kernelI19rocblas_complex_numIdELi16ELi16ELi64ELi64ELi4ELi64ELi4ELi4ELi64ELc67ELc78EKPKS2_S5_KPS2_EEvlllT_PT11_llSA_llS8_PT12_llPT13_lli
    .private_segment_fixed_size: 388
    .sgpr_count:     54
    .sgpr_spill_count: 0
    .symbol:         _ZN12_GLOBAL__N_127rocblas_gemm_batched_kernelI19rocblas_complex_numIdELi16ELi16ELi64ELi64ELi4ELi64ELi4ELi4ELi64ELc67ELc78EKPKS2_S5_KPS2_EEvlllT_PT11_llSA_llS8_PT12_llPT13_lli.kd
    .uniform_work_group_size: 1
    .uses_dynamic_stack: false
    .vgpr_count:     256
    .vgpr_spill_count: 108
    .wavefront_size: 32
    .workgroup_processor_mode: 1
  - .args:
      - .offset:         0
        .size:           8
        .value_kind:     by_value
      - .offset:         8
        .size:           8
        .value_kind:     by_value
      - .offset:         16
        .size:           8
        .value_kind:     by_value
      - .offset:         24
        .size:           16
        .value_kind:     by_value
      - .address_space:  global
        .offset:         40
        .size:           8
        .value_kind:     global_buffer
      - .offset:         48
        .size:           8
        .value_kind:     by_value
      - .offset:         56
        .size:           8
        .value_kind:     by_value
      - .address_space:  global
        .offset:         64
        .size:           8
        .value_kind:     global_buffer
      - .offset:         72
        .size:           8
        .value_kind:     by_value
      - .offset:         80
        .size:           8
        .value_kind:     by_value
      - .offset:         88
        .size:           16
        .value_kind:     by_value
      - .address_space:  global
        .offset:         104
        .size:           8
        .value_kind:     global_buffer
      - .offset:         112
        .size:           8
        .value_kind:     by_value
      - .offset:         120
        .size:           8
        .value_kind:     by_value
      - .address_space:  global
        .offset:         128
        .size:           8
        .value_kind:     global_buffer
      - .offset:         136
        .size:           8
        .value_kind:     by_value
      - .offset:         144
        .size:           8
        .value_kind:     by_value
      - .offset:         152
        .size:           4
        .value_kind:     by_value
    .group_segment_fixed_size: 8192
    .kernarg_segment_align: 8
    .kernarg_segment_size: 156
    .language:       OpenCL C
    .language_version:
      - 2
      - 0
    .max_flat_workgroup_size: 256
    .name:           _ZN12_GLOBAL__N_127rocblas_gemm_batched_kernelI19rocblas_complex_numIdELi16ELi16ELi64ELi64ELi4ELi64ELi4ELi4ELi64ELc67ELc84EKPKS2_S5_KPS2_EEvlllT_PT11_llSA_llS8_PT12_llPT13_lli
    .private_segment_fixed_size: 388
    .sgpr_count:     54
    .sgpr_spill_count: 0
    .symbol:         _ZN12_GLOBAL__N_127rocblas_gemm_batched_kernelI19rocblas_complex_numIdELi16ELi16ELi64ELi64ELi4ELi64ELi4ELi4ELi64ELc67ELc84EKPKS2_S5_KPS2_EEvlllT_PT11_llSA_llS8_PT12_llPT13_lli.kd
    .uniform_work_group_size: 1
    .uses_dynamic_stack: false
    .vgpr_count:     256
    .vgpr_spill_count: 108
    .wavefront_size: 32
    .workgroup_processor_mode: 1
  - .args:
      - .offset:         0
        .size:           8
        .value_kind:     by_value
      - .offset:         8
        .size:           8
        .value_kind:     by_value
      - .offset:         16
        .size:           8
        .value_kind:     by_value
      - .offset:         24
        .size:           16
        .value_kind:     by_value
      - .address_space:  global
        .offset:         40
        .size:           8
        .value_kind:     global_buffer
      - .offset:         48
        .size:           8
        .value_kind:     by_value
      - .offset:         56
        .size:           8
        .value_kind:     by_value
      - .address_space:  global
        .offset:         64
        .size:           8
        .value_kind:     global_buffer
      - .offset:         72
        .size:           8
        .value_kind:     by_value
      - .offset:         80
        .size:           8
        .value_kind:     by_value
      - .offset:         88
        .size:           16
        .value_kind:     by_value
      - .address_space:  global
        .offset:         104
        .size:           8
        .value_kind:     global_buffer
      - .offset:         112
        .size:           8
        .value_kind:     by_value
      - .offset:         120
        .size:           8
        .value_kind:     by_value
      - .address_space:  global
        .offset:         128
        .size:           8
        .value_kind:     global_buffer
      - .offset:         136
        .size:           8
        .value_kind:     by_value
      - .offset:         144
        .size:           8
        .value_kind:     by_value
      - .offset:         152
        .size:           4
        .value_kind:     by_value
    .group_segment_fixed_size: 8192
    .kernarg_segment_align: 8
    .kernarg_segment_size: 156
    .language:       OpenCL C
    .language_version:
      - 2
      - 0
    .max_flat_workgroup_size: 256
    .name:           _ZN12_GLOBAL__N_127rocblas_gemm_batched_kernelI19rocblas_complex_numIdELi16ELi16ELi64ELi64ELi4ELi64ELi4ELi4ELi64ELc78ELc67EKPKS2_S5_KPS2_EEvlllT_PT11_llSA_llS8_PT12_llPT13_lli
    .private_segment_fixed_size: 388
    .sgpr_count:     54
    .sgpr_spill_count: 0
    .symbol:         _ZN12_GLOBAL__N_127rocblas_gemm_batched_kernelI19rocblas_complex_numIdELi16ELi16ELi64ELi64ELi4ELi64ELi4ELi4ELi64ELc78ELc67EKPKS2_S5_KPS2_EEvlllT_PT11_llSA_llS8_PT12_llPT13_lli.kd
    .uniform_work_group_size: 1
    .uses_dynamic_stack: false
    .vgpr_count:     256
    .vgpr_spill_count: 108
    .wavefront_size: 32
    .workgroup_processor_mode: 1
  - .args:
      - .offset:         0
        .size:           8
        .value_kind:     by_value
      - .offset:         8
        .size:           8
        .value_kind:     by_value
      - .offset:         16
        .size:           8
        .value_kind:     by_value
      - .offset:         24
        .size:           16
        .value_kind:     by_value
      - .address_space:  global
        .offset:         40
        .size:           8
        .value_kind:     global_buffer
      - .offset:         48
        .size:           8
        .value_kind:     by_value
      - .offset:         56
        .size:           8
        .value_kind:     by_value
      - .address_space:  global
        .offset:         64
        .size:           8
        .value_kind:     global_buffer
      - .offset:         72
        .size:           8
        .value_kind:     by_value
      - .offset:         80
        .size:           8
        .value_kind:     by_value
      - .offset:         88
        .size:           16
        .value_kind:     by_value
      - .address_space:  global
        .offset:         104
        .size:           8
        .value_kind:     global_buffer
      - .offset:         112
        .size:           8
        .value_kind:     by_value
      - .offset:         120
        .size:           8
        .value_kind:     by_value
      - .address_space:  global
        .offset:         128
        .size:           8
        .value_kind:     global_buffer
      - .offset:         136
        .size:           8
        .value_kind:     by_value
      - .offset:         144
        .size:           8
        .value_kind:     by_value
      - .offset:         152
        .size:           4
        .value_kind:     by_value
    .group_segment_fixed_size: 8192
    .kernarg_segment_align: 8
    .kernarg_segment_size: 156
    .language:       OpenCL C
    .language_version:
      - 2
      - 0
    .max_flat_workgroup_size: 256
    .name:           _ZN12_GLOBAL__N_127rocblas_gemm_batched_kernelI19rocblas_complex_numIdELi16ELi16ELi64ELi64ELi4ELi64ELi4ELi4ELi64ELc84ELc67EKPKS2_S5_KPS2_EEvlllT_PT11_llSA_llS8_PT12_llPT13_lli
    .private_segment_fixed_size: 388
    .sgpr_count:     54
    .sgpr_spill_count: 0
    .symbol:         _ZN12_GLOBAL__N_127rocblas_gemm_batched_kernelI19rocblas_complex_numIdELi16ELi16ELi64ELi64ELi4ELi64ELi4ELi4ELi64ELc84ELc67EKPKS2_S5_KPS2_EEvlllT_PT11_llSA_llS8_PT12_llPT13_lli.kd
    .uniform_work_group_size: 1
    .uses_dynamic_stack: false
    .vgpr_count:     256
    .vgpr_spill_count: 108
    .wavefront_size: 32
    .workgroup_processor_mode: 1
  - .args:
      - .offset:         0
        .size:           8
        .value_kind:     by_value
      - .offset:         8
        .size:           8
        .value_kind:     by_value
      - .offset:         16
        .size:           8
        .value_kind:     by_value
      - .offset:         24
        .size:           16
        .value_kind:     by_value
      - .address_space:  global
        .offset:         40
        .size:           8
        .value_kind:     global_buffer
      - .offset:         48
        .size:           8
        .value_kind:     by_value
      - .offset:         56
        .size:           8
        .value_kind:     by_value
      - .address_space:  global
        .offset:         64
        .size:           8
        .value_kind:     global_buffer
      - .offset:         72
        .size:           8
        .value_kind:     by_value
      - .offset:         80
        .size:           8
        .value_kind:     by_value
      - .offset:         88
        .size:           16
        .value_kind:     by_value
      - .address_space:  global
        .offset:         104
        .size:           8
        .value_kind:     global_buffer
      - .offset:         112
        .size:           8
        .value_kind:     by_value
      - .offset:         120
        .size:           8
        .value_kind:     by_value
      - .address_space:  global
        .offset:         128
        .size:           8
        .value_kind:     global_buffer
      - .offset:         136
        .size:           8
        .value_kind:     by_value
      - .offset:         144
        .size:           8
        .value_kind:     by_value
      - .offset:         152
        .size:           4
        .value_kind:     by_value
    .group_segment_fixed_size: 8192
    .kernarg_segment_align: 8
    .kernarg_segment_size: 156
    .language:       OpenCL C
    .language_version:
      - 2
      - 0
    .max_flat_workgroup_size: 256
    .name:           _ZN12_GLOBAL__N_127rocblas_gemm_batched_kernelI19rocblas_complex_numIdELi16ELi16ELi32ELi32ELi8ELi32ELi8ELi8ELi32ELc78ELc78EKPKS2_S5_KPS2_EEvlllT_PT11_llSA_llS8_PT12_llPT13_lli
    .private_segment_fixed_size: 0
    .sgpr_count:     54
    .sgpr_spill_count: 0
    .symbol:         _ZN12_GLOBAL__N_127rocblas_gemm_batched_kernelI19rocblas_complex_numIdELi16ELi16ELi32ELi32ELi8ELi32ELi8ELi8ELi32ELc78ELc78EKPKS2_S5_KPS2_EEvlllT_PT11_llSA_llS8_PT12_llPT13_lli.kd
    .uniform_work_group_size: 1
    .uses_dynamic_stack: false
    .vgpr_count:     131
    .vgpr_spill_count: 0
    .wavefront_size: 32
    .workgroup_processor_mode: 1
  - .args:
      - .offset:         0
        .size:           8
        .value_kind:     by_value
      - .offset:         8
        .size:           8
        .value_kind:     by_value
      - .offset:         16
        .size:           8
        .value_kind:     by_value
      - .offset:         24
        .size:           16
        .value_kind:     by_value
      - .address_space:  global
        .offset:         40
        .size:           8
        .value_kind:     global_buffer
      - .offset:         48
        .size:           8
        .value_kind:     by_value
      - .offset:         56
        .size:           8
        .value_kind:     by_value
      - .address_space:  global
        .offset:         64
        .size:           8
        .value_kind:     global_buffer
      - .offset:         72
        .size:           8
        .value_kind:     by_value
      - .offset:         80
        .size:           8
        .value_kind:     by_value
      - .offset:         88
        .size:           16
        .value_kind:     by_value
      - .address_space:  global
        .offset:         104
        .size:           8
        .value_kind:     global_buffer
      - .offset:         112
        .size:           8
        .value_kind:     by_value
      - .offset:         120
        .size:           8
        .value_kind:     by_value
      - .address_space:  global
        .offset:         128
        .size:           8
        .value_kind:     global_buffer
      - .offset:         136
        .size:           8
        .value_kind:     by_value
      - .offset:         144
        .size:           8
        .value_kind:     by_value
      - .offset:         152
        .size:           4
        .value_kind:     by_value
    .group_segment_fixed_size: 8192
    .kernarg_segment_align: 8
    .kernarg_segment_size: 156
    .language:       OpenCL C
    .language_version:
      - 2
      - 0
    .max_flat_workgroup_size: 256
    .name:           _ZN12_GLOBAL__N_127rocblas_gemm_batched_kernelI19rocblas_complex_numIdELi16ELi16ELi32ELi32ELi8ELi32ELi8ELi8ELi32ELc84ELc78EKPKS2_S5_KPS2_EEvlllT_PT11_llSA_llS8_PT12_llPT13_lli
    .private_segment_fixed_size: 0
    .sgpr_count:     54
    .sgpr_spill_count: 0
    .symbol:         _ZN12_GLOBAL__N_127rocblas_gemm_batched_kernelI19rocblas_complex_numIdELi16ELi16ELi32ELi32ELi8ELi32ELi8ELi8ELi32ELc84ELc78EKPKS2_S5_KPS2_EEvlllT_PT11_llSA_llS8_PT12_llPT13_lli.kd
    .uniform_work_group_size: 1
    .uses_dynamic_stack: false
    .vgpr_count:     131
    .vgpr_spill_count: 0
    .wavefront_size: 32
    .workgroup_processor_mode: 1
  - .args:
      - .offset:         0
        .size:           8
        .value_kind:     by_value
      - .offset:         8
        .size:           8
        .value_kind:     by_value
      - .offset:         16
        .size:           8
        .value_kind:     by_value
      - .offset:         24
        .size:           16
        .value_kind:     by_value
      - .address_space:  global
        .offset:         40
        .size:           8
        .value_kind:     global_buffer
      - .offset:         48
        .size:           8
        .value_kind:     by_value
      - .offset:         56
        .size:           8
        .value_kind:     by_value
      - .address_space:  global
        .offset:         64
        .size:           8
        .value_kind:     global_buffer
      - .offset:         72
        .size:           8
        .value_kind:     by_value
      - .offset:         80
        .size:           8
        .value_kind:     by_value
      - .offset:         88
        .size:           16
        .value_kind:     by_value
      - .address_space:  global
        .offset:         104
        .size:           8
        .value_kind:     global_buffer
      - .offset:         112
        .size:           8
        .value_kind:     by_value
      - .offset:         120
        .size:           8
        .value_kind:     by_value
      - .address_space:  global
        .offset:         128
        .size:           8
        .value_kind:     global_buffer
      - .offset:         136
        .size:           8
        .value_kind:     by_value
      - .offset:         144
        .size:           8
        .value_kind:     by_value
      - .offset:         152
        .size:           4
        .value_kind:     by_value
    .group_segment_fixed_size: 8192
    .kernarg_segment_align: 8
    .kernarg_segment_size: 156
    .language:       OpenCL C
    .language_version:
      - 2
      - 0
    .max_flat_workgroup_size: 256
    .name:           _ZN12_GLOBAL__N_127rocblas_gemm_batched_kernelI19rocblas_complex_numIdELi16ELi16ELi32ELi32ELi8ELi32ELi8ELi8ELi32ELc78ELc84EKPKS2_S5_KPS2_EEvlllT_PT11_llSA_llS8_PT12_llPT13_lli
    .private_segment_fixed_size: 0
    .sgpr_count:     54
    .sgpr_spill_count: 0
    .symbol:         _ZN12_GLOBAL__N_127rocblas_gemm_batched_kernelI19rocblas_complex_numIdELi16ELi16ELi32ELi32ELi8ELi32ELi8ELi8ELi32ELc78ELc84EKPKS2_S5_KPS2_EEvlllT_PT11_llSA_llS8_PT12_llPT13_lli.kd
    .uniform_work_group_size: 1
    .uses_dynamic_stack: false
    .vgpr_count:     131
    .vgpr_spill_count: 0
    .wavefront_size: 32
    .workgroup_processor_mode: 1
  - .args:
      - .offset:         0
        .size:           8
        .value_kind:     by_value
      - .offset:         8
        .size:           8
        .value_kind:     by_value
      - .offset:         16
        .size:           8
        .value_kind:     by_value
      - .offset:         24
        .size:           16
        .value_kind:     by_value
      - .address_space:  global
        .offset:         40
        .size:           8
        .value_kind:     global_buffer
      - .offset:         48
        .size:           8
        .value_kind:     by_value
      - .offset:         56
        .size:           8
        .value_kind:     by_value
      - .address_space:  global
        .offset:         64
        .size:           8
        .value_kind:     global_buffer
      - .offset:         72
        .size:           8
        .value_kind:     by_value
      - .offset:         80
        .size:           8
        .value_kind:     by_value
      - .offset:         88
        .size:           16
        .value_kind:     by_value
      - .address_space:  global
        .offset:         104
        .size:           8
        .value_kind:     global_buffer
      - .offset:         112
        .size:           8
        .value_kind:     by_value
      - .offset:         120
        .size:           8
        .value_kind:     by_value
      - .address_space:  global
        .offset:         128
        .size:           8
        .value_kind:     global_buffer
      - .offset:         136
        .size:           8
        .value_kind:     by_value
      - .offset:         144
        .size:           8
        .value_kind:     by_value
      - .offset:         152
        .size:           4
        .value_kind:     by_value
    .group_segment_fixed_size: 8192
    .kernarg_segment_align: 8
    .kernarg_segment_size: 156
    .language:       OpenCL C
    .language_version:
      - 2
      - 0
    .max_flat_workgroup_size: 256
    .name:           _ZN12_GLOBAL__N_127rocblas_gemm_batched_kernelI19rocblas_complex_numIdELi16ELi16ELi32ELi32ELi8ELi32ELi8ELi8ELi32ELc84ELc84EKPKS2_S5_KPS2_EEvlllT_PT11_llSA_llS8_PT12_llPT13_lli
    .private_segment_fixed_size: 0
    .sgpr_count:     54
    .sgpr_spill_count: 0
    .symbol:         _ZN12_GLOBAL__N_127rocblas_gemm_batched_kernelI19rocblas_complex_numIdELi16ELi16ELi32ELi32ELi8ELi32ELi8ELi8ELi32ELc84ELc84EKPKS2_S5_KPS2_EEvlllT_PT11_llSA_llS8_PT12_llPT13_lli.kd
    .uniform_work_group_size: 1
    .uses_dynamic_stack: false
    .vgpr_count:     131
    .vgpr_spill_count: 0
    .wavefront_size: 32
    .workgroup_processor_mode: 1
  - .args:
      - .offset:         0
        .size:           8
        .value_kind:     by_value
      - .offset:         8
        .size:           8
        .value_kind:     by_value
      - .offset:         16
        .size:           8
        .value_kind:     by_value
      - .offset:         24
        .size:           16
        .value_kind:     by_value
      - .address_space:  global
        .offset:         40
        .size:           8
        .value_kind:     global_buffer
      - .offset:         48
        .size:           8
        .value_kind:     by_value
      - .offset:         56
        .size:           8
        .value_kind:     by_value
      - .address_space:  global
        .offset:         64
        .size:           8
        .value_kind:     global_buffer
      - .offset:         72
        .size:           8
        .value_kind:     by_value
      - .offset:         80
        .size:           8
        .value_kind:     by_value
      - .offset:         88
        .size:           16
        .value_kind:     by_value
      - .address_space:  global
        .offset:         104
        .size:           8
        .value_kind:     global_buffer
      - .offset:         112
        .size:           8
        .value_kind:     by_value
      - .offset:         120
        .size:           8
        .value_kind:     by_value
      - .address_space:  global
        .offset:         128
        .size:           8
        .value_kind:     global_buffer
      - .offset:         136
        .size:           8
        .value_kind:     by_value
      - .offset:         144
        .size:           8
        .value_kind:     by_value
      - .offset:         152
        .size:           4
        .value_kind:     by_value
    .group_segment_fixed_size: 8192
    .kernarg_segment_align: 8
    .kernarg_segment_size: 156
    .language:       OpenCL C
    .language_version:
      - 2
      - 0
    .max_flat_workgroup_size: 256
    .name:           _ZN12_GLOBAL__N_127rocblas_gemm_batched_kernelI19rocblas_complex_numIdELi16ELi16ELi32ELi32ELi8ELi32ELi8ELi8ELi32ELc67ELc67EKPKS2_S5_KPS2_EEvlllT_PT11_llSA_llS8_PT12_llPT13_lli
    .private_segment_fixed_size: 0
    .sgpr_count:     54
    .sgpr_spill_count: 0
    .symbol:         _ZN12_GLOBAL__N_127rocblas_gemm_batched_kernelI19rocblas_complex_numIdELi16ELi16ELi32ELi32ELi8ELi32ELi8ELi8ELi32ELc67ELc67EKPKS2_S5_KPS2_EEvlllT_PT11_llSA_llS8_PT12_llPT13_lli.kd
    .uniform_work_group_size: 1
    .uses_dynamic_stack: false
    .vgpr_count:     131
    .vgpr_spill_count: 0
    .wavefront_size: 32
    .workgroup_processor_mode: 1
  - .args:
      - .offset:         0
        .size:           8
        .value_kind:     by_value
      - .offset:         8
        .size:           8
        .value_kind:     by_value
      - .offset:         16
        .size:           8
        .value_kind:     by_value
      - .offset:         24
        .size:           16
        .value_kind:     by_value
      - .address_space:  global
        .offset:         40
        .size:           8
        .value_kind:     global_buffer
      - .offset:         48
        .size:           8
        .value_kind:     by_value
      - .offset:         56
        .size:           8
        .value_kind:     by_value
      - .address_space:  global
        .offset:         64
        .size:           8
        .value_kind:     global_buffer
      - .offset:         72
        .size:           8
        .value_kind:     by_value
      - .offset:         80
        .size:           8
        .value_kind:     by_value
      - .offset:         88
        .size:           16
        .value_kind:     by_value
      - .address_space:  global
        .offset:         104
        .size:           8
        .value_kind:     global_buffer
      - .offset:         112
        .size:           8
        .value_kind:     by_value
      - .offset:         120
        .size:           8
        .value_kind:     by_value
      - .address_space:  global
        .offset:         128
        .size:           8
        .value_kind:     global_buffer
      - .offset:         136
        .size:           8
        .value_kind:     by_value
      - .offset:         144
        .size:           8
        .value_kind:     by_value
      - .offset:         152
        .size:           4
        .value_kind:     by_value
    .group_segment_fixed_size: 8192
    .kernarg_segment_align: 8
    .kernarg_segment_size: 156
    .language:       OpenCL C
    .language_version:
      - 2
      - 0
    .max_flat_workgroup_size: 256
    .name:           _ZN12_GLOBAL__N_127rocblas_gemm_batched_kernelI19rocblas_complex_numIdELi16ELi16ELi32ELi32ELi8ELi32ELi8ELi8ELi32ELc67ELc78EKPKS2_S5_KPS2_EEvlllT_PT11_llSA_llS8_PT12_llPT13_lli
    .private_segment_fixed_size: 0
    .sgpr_count:     54
    .sgpr_spill_count: 0
    .symbol:         _ZN12_GLOBAL__N_127rocblas_gemm_batched_kernelI19rocblas_complex_numIdELi16ELi16ELi32ELi32ELi8ELi32ELi8ELi8ELi32ELc67ELc78EKPKS2_S5_KPS2_EEvlllT_PT11_llSA_llS8_PT12_llPT13_lli.kd
    .uniform_work_group_size: 1
    .uses_dynamic_stack: false
    .vgpr_count:     131
    .vgpr_spill_count: 0
    .wavefront_size: 32
    .workgroup_processor_mode: 1
  - .args:
      - .offset:         0
        .size:           8
        .value_kind:     by_value
      - .offset:         8
        .size:           8
        .value_kind:     by_value
      - .offset:         16
        .size:           8
        .value_kind:     by_value
      - .offset:         24
        .size:           16
        .value_kind:     by_value
      - .address_space:  global
        .offset:         40
        .size:           8
        .value_kind:     global_buffer
      - .offset:         48
        .size:           8
        .value_kind:     by_value
      - .offset:         56
        .size:           8
        .value_kind:     by_value
      - .address_space:  global
        .offset:         64
        .size:           8
        .value_kind:     global_buffer
      - .offset:         72
        .size:           8
        .value_kind:     by_value
      - .offset:         80
        .size:           8
        .value_kind:     by_value
      - .offset:         88
        .size:           16
        .value_kind:     by_value
      - .address_space:  global
        .offset:         104
        .size:           8
        .value_kind:     global_buffer
      - .offset:         112
        .size:           8
        .value_kind:     by_value
      - .offset:         120
        .size:           8
        .value_kind:     by_value
      - .address_space:  global
        .offset:         128
        .size:           8
        .value_kind:     global_buffer
      - .offset:         136
        .size:           8
        .value_kind:     by_value
      - .offset:         144
        .size:           8
        .value_kind:     by_value
      - .offset:         152
        .size:           4
        .value_kind:     by_value
    .group_segment_fixed_size: 8192
    .kernarg_segment_align: 8
    .kernarg_segment_size: 156
    .language:       OpenCL C
    .language_version:
      - 2
      - 0
    .max_flat_workgroup_size: 256
    .name:           _ZN12_GLOBAL__N_127rocblas_gemm_batched_kernelI19rocblas_complex_numIdELi16ELi16ELi32ELi32ELi8ELi32ELi8ELi8ELi32ELc67ELc84EKPKS2_S5_KPS2_EEvlllT_PT11_llSA_llS8_PT12_llPT13_lli
    .private_segment_fixed_size: 0
    .sgpr_count:     54
    .sgpr_spill_count: 0
    .symbol:         _ZN12_GLOBAL__N_127rocblas_gemm_batched_kernelI19rocblas_complex_numIdELi16ELi16ELi32ELi32ELi8ELi32ELi8ELi8ELi32ELc67ELc84EKPKS2_S5_KPS2_EEvlllT_PT11_llSA_llS8_PT12_llPT13_lli.kd
    .uniform_work_group_size: 1
    .uses_dynamic_stack: false
    .vgpr_count:     131
    .vgpr_spill_count: 0
    .wavefront_size: 32
    .workgroup_processor_mode: 1
  - .args:
      - .offset:         0
        .size:           8
        .value_kind:     by_value
      - .offset:         8
        .size:           8
        .value_kind:     by_value
      - .offset:         16
        .size:           8
        .value_kind:     by_value
      - .offset:         24
        .size:           16
        .value_kind:     by_value
      - .address_space:  global
        .offset:         40
        .size:           8
        .value_kind:     global_buffer
      - .offset:         48
        .size:           8
        .value_kind:     by_value
      - .offset:         56
        .size:           8
        .value_kind:     by_value
      - .address_space:  global
        .offset:         64
        .size:           8
        .value_kind:     global_buffer
      - .offset:         72
        .size:           8
        .value_kind:     by_value
      - .offset:         80
        .size:           8
        .value_kind:     by_value
      - .offset:         88
        .size:           16
        .value_kind:     by_value
      - .address_space:  global
        .offset:         104
        .size:           8
        .value_kind:     global_buffer
      - .offset:         112
        .size:           8
        .value_kind:     by_value
      - .offset:         120
        .size:           8
        .value_kind:     by_value
      - .address_space:  global
        .offset:         128
        .size:           8
        .value_kind:     global_buffer
      - .offset:         136
        .size:           8
        .value_kind:     by_value
      - .offset:         144
        .size:           8
        .value_kind:     by_value
      - .offset:         152
        .size:           4
        .value_kind:     by_value
    .group_segment_fixed_size: 8192
    .kernarg_segment_align: 8
    .kernarg_segment_size: 156
    .language:       OpenCL C
    .language_version:
      - 2
      - 0
    .max_flat_workgroup_size: 256
    .name:           _ZN12_GLOBAL__N_127rocblas_gemm_batched_kernelI19rocblas_complex_numIdELi16ELi16ELi32ELi32ELi8ELi32ELi8ELi8ELi32ELc78ELc67EKPKS2_S5_KPS2_EEvlllT_PT11_llSA_llS8_PT12_llPT13_lli
    .private_segment_fixed_size: 0
    .sgpr_count:     54
    .sgpr_spill_count: 0
    .symbol:         _ZN12_GLOBAL__N_127rocblas_gemm_batched_kernelI19rocblas_complex_numIdELi16ELi16ELi32ELi32ELi8ELi32ELi8ELi8ELi32ELc78ELc67EKPKS2_S5_KPS2_EEvlllT_PT11_llSA_llS8_PT12_llPT13_lli.kd
    .uniform_work_group_size: 1
    .uses_dynamic_stack: false
    .vgpr_count:     131
    .vgpr_spill_count: 0
    .wavefront_size: 32
    .workgroup_processor_mode: 1
  - .args:
      - .offset:         0
        .size:           8
        .value_kind:     by_value
      - .offset:         8
        .size:           8
        .value_kind:     by_value
      - .offset:         16
        .size:           8
        .value_kind:     by_value
      - .offset:         24
        .size:           16
        .value_kind:     by_value
      - .address_space:  global
        .offset:         40
        .size:           8
        .value_kind:     global_buffer
      - .offset:         48
        .size:           8
        .value_kind:     by_value
      - .offset:         56
        .size:           8
        .value_kind:     by_value
      - .address_space:  global
        .offset:         64
        .size:           8
        .value_kind:     global_buffer
      - .offset:         72
        .size:           8
        .value_kind:     by_value
      - .offset:         80
        .size:           8
        .value_kind:     by_value
      - .offset:         88
        .size:           16
        .value_kind:     by_value
      - .address_space:  global
        .offset:         104
        .size:           8
        .value_kind:     global_buffer
      - .offset:         112
        .size:           8
        .value_kind:     by_value
      - .offset:         120
        .size:           8
        .value_kind:     by_value
      - .address_space:  global
        .offset:         128
        .size:           8
        .value_kind:     global_buffer
      - .offset:         136
        .size:           8
        .value_kind:     by_value
      - .offset:         144
        .size:           8
        .value_kind:     by_value
      - .offset:         152
        .size:           4
        .value_kind:     by_value
    .group_segment_fixed_size: 8192
    .kernarg_segment_align: 8
    .kernarg_segment_size: 156
    .language:       OpenCL C
    .language_version:
      - 2
      - 0
    .max_flat_workgroup_size: 256
    .name:           _ZN12_GLOBAL__N_127rocblas_gemm_batched_kernelI19rocblas_complex_numIdELi16ELi16ELi32ELi32ELi8ELi32ELi8ELi8ELi32ELc84ELc67EKPKS2_S5_KPS2_EEvlllT_PT11_llSA_llS8_PT12_llPT13_lli
    .private_segment_fixed_size: 0
    .sgpr_count:     54
    .sgpr_spill_count: 0
    .symbol:         _ZN12_GLOBAL__N_127rocblas_gemm_batched_kernelI19rocblas_complex_numIdELi16ELi16ELi32ELi32ELi8ELi32ELi8ELi8ELi32ELc84ELc67EKPKS2_S5_KPS2_EEvlllT_PT11_llSA_llS8_PT12_llPT13_lli.kd
    .uniform_work_group_size: 1
    .uses_dynamic_stack: false
    .vgpr_count:     131
    .vgpr_spill_count: 0
    .wavefront_size: 32
    .workgroup_processor_mode: 1
  - .args:
      - .offset:         0
        .size:           8
        .value_kind:     by_value
      - .offset:         8
        .size:           8
        .value_kind:     by_value
      - .offset:         16
        .size:           8
        .value_kind:     by_value
      - .offset:         24
        .size:           16
        .value_kind:     by_value
      - .address_space:  global
        .offset:         40
        .size:           8
        .value_kind:     global_buffer
      - .offset:         48
        .size:           8
        .value_kind:     by_value
      - .offset:         56
        .size:           8
        .value_kind:     by_value
      - .address_space:  global
        .offset:         64
        .size:           8
        .value_kind:     global_buffer
      - .offset:         72
        .size:           8
        .value_kind:     by_value
      - .offset:         80
        .size:           8
        .value_kind:     by_value
      - .offset:         88
        .size:           16
        .value_kind:     by_value
      - .address_space:  global
        .offset:         104
        .size:           8
        .value_kind:     global_buffer
      - .offset:         112
        .size:           8
        .value_kind:     by_value
      - .offset:         120
        .size:           8
        .value_kind:     by_value
      - .address_space:  global
        .offset:         128
        .size:           8
        .value_kind:     global_buffer
      - .offset:         136
        .size:           8
        .value_kind:     by_value
      - .offset:         144
        .size:           8
        .value_kind:     by_value
      - .offset:         152
        .size:           4
        .value_kind:     by_value
    .group_segment_fixed_size: 8192
    .kernarg_segment_align: 8
    .kernarg_segment_size: 156
    .language:       OpenCL C
    .language_version:
      - 2
      - 0
    .max_flat_workgroup_size: 256
    .name:           _ZN12_GLOBAL__N_135rocblas_gemm_batched_general_kernelI19rocblas_complex_numIdELi16ELi16ELi32ELi32ELi8ELi32ELi8ELi8ELi32ELc78ELc78EKPKS2_S5_KPS2_EEvlllT_PT11_llSA_llS8_PT12_llPT13_lli
    .private_segment_fixed_size: 0
    .sgpr_count:     54
    .sgpr_spill_count: 0
    .symbol:         _ZN12_GLOBAL__N_135rocblas_gemm_batched_general_kernelI19rocblas_complex_numIdELi16ELi16ELi32ELi32ELi8ELi32ELi8ELi8ELi32ELc78ELc78EKPKS2_S5_KPS2_EEvlllT_PT11_llSA_llS8_PT12_llPT13_lli.kd
    .uniform_work_group_size: 1
    .uses_dynamic_stack: false
    .vgpr_count:     134
    .vgpr_spill_count: 0
    .wavefront_size: 32
    .workgroup_processor_mode: 1
  - .args:
      - .offset:         0
        .size:           8
        .value_kind:     by_value
      - .offset:         8
        .size:           8
        .value_kind:     by_value
      - .offset:         16
        .size:           8
        .value_kind:     by_value
      - .offset:         24
        .size:           16
        .value_kind:     by_value
      - .address_space:  global
        .offset:         40
        .size:           8
        .value_kind:     global_buffer
      - .offset:         48
        .size:           8
        .value_kind:     by_value
      - .offset:         56
        .size:           8
        .value_kind:     by_value
      - .address_space:  global
        .offset:         64
        .size:           8
        .value_kind:     global_buffer
      - .offset:         72
        .size:           8
        .value_kind:     by_value
      - .offset:         80
        .size:           8
        .value_kind:     by_value
      - .offset:         88
        .size:           16
        .value_kind:     by_value
      - .address_space:  global
        .offset:         104
        .size:           8
        .value_kind:     global_buffer
      - .offset:         112
        .size:           8
        .value_kind:     by_value
      - .offset:         120
        .size:           8
        .value_kind:     by_value
      - .address_space:  global
        .offset:         128
        .size:           8
        .value_kind:     global_buffer
      - .offset:         136
        .size:           8
        .value_kind:     by_value
      - .offset:         144
        .size:           8
        .value_kind:     by_value
      - .offset:         152
        .size:           4
        .value_kind:     by_value
    .group_segment_fixed_size: 8192
    .kernarg_segment_align: 8
    .kernarg_segment_size: 156
    .language:       OpenCL C
    .language_version:
      - 2
      - 0
    .max_flat_workgroup_size: 256
    .name:           _ZN12_GLOBAL__N_135rocblas_gemm_batched_general_kernelI19rocblas_complex_numIdELi16ELi16ELi32ELi32ELi8ELi32ELi8ELi8ELi32ELc84ELc78EKPKS2_S5_KPS2_EEvlllT_PT11_llSA_llS8_PT12_llPT13_lli
    .private_segment_fixed_size: 0
    .sgpr_count:     54
    .sgpr_spill_count: 0
    .symbol:         _ZN12_GLOBAL__N_135rocblas_gemm_batched_general_kernelI19rocblas_complex_numIdELi16ELi16ELi32ELi32ELi8ELi32ELi8ELi8ELi32ELc84ELc78EKPKS2_S5_KPS2_EEvlllT_PT11_llSA_llS8_PT12_llPT13_lli.kd
    .uniform_work_group_size: 1
    .uses_dynamic_stack: false
    .vgpr_count:     134
    .vgpr_spill_count: 0
    .wavefront_size: 32
    .workgroup_processor_mode: 1
  - .args:
      - .offset:         0
        .size:           8
        .value_kind:     by_value
      - .offset:         8
        .size:           8
        .value_kind:     by_value
      - .offset:         16
        .size:           8
        .value_kind:     by_value
      - .offset:         24
        .size:           16
        .value_kind:     by_value
      - .address_space:  global
        .offset:         40
        .size:           8
        .value_kind:     global_buffer
      - .offset:         48
        .size:           8
        .value_kind:     by_value
      - .offset:         56
        .size:           8
        .value_kind:     by_value
      - .address_space:  global
        .offset:         64
        .size:           8
        .value_kind:     global_buffer
      - .offset:         72
        .size:           8
        .value_kind:     by_value
      - .offset:         80
        .size:           8
        .value_kind:     by_value
      - .offset:         88
        .size:           16
        .value_kind:     by_value
      - .address_space:  global
        .offset:         104
        .size:           8
        .value_kind:     global_buffer
      - .offset:         112
        .size:           8
        .value_kind:     by_value
      - .offset:         120
        .size:           8
        .value_kind:     by_value
      - .address_space:  global
        .offset:         128
        .size:           8
        .value_kind:     global_buffer
      - .offset:         136
        .size:           8
        .value_kind:     by_value
      - .offset:         144
        .size:           8
        .value_kind:     by_value
      - .offset:         152
        .size:           4
        .value_kind:     by_value
    .group_segment_fixed_size: 8192
    .kernarg_segment_align: 8
    .kernarg_segment_size: 156
    .language:       OpenCL C
    .language_version:
      - 2
      - 0
    .max_flat_workgroup_size: 256
    .name:           _ZN12_GLOBAL__N_135rocblas_gemm_batched_general_kernelI19rocblas_complex_numIdELi16ELi16ELi32ELi32ELi8ELi32ELi8ELi8ELi32ELc78ELc84EKPKS2_S5_KPS2_EEvlllT_PT11_llSA_llS8_PT12_llPT13_lli
    .private_segment_fixed_size: 0
    .sgpr_count:     54
    .sgpr_spill_count: 0
    .symbol:         _ZN12_GLOBAL__N_135rocblas_gemm_batched_general_kernelI19rocblas_complex_numIdELi16ELi16ELi32ELi32ELi8ELi32ELi8ELi8ELi32ELc78ELc84EKPKS2_S5_KPS2_EEvlllT_PT11_llSA_llS8_PT12_llPT13_lli.kd
    .uniform_work_group_size: 1
    .uses_dynamic_stack: false
    .vgpr_count:     134
    .vgpr_spill_count: 0
    .wavefront_size: 32
    .workgroup_processor_mode: 1
  - .args:
      - .offset:         0
        .size:           8
        .value_kind:     by_value
      - .offset:         8
        .size:           8
        .value_kind:     by_value
      - .offset:         16
        .size:           8
        .value_kind:     by_value
      - .offset:         24
        .size:           16
        .value_kind:     by_value
      - .address_space:  global
        .offset:         40
        .size:           8
        .value_kind:     global_buffer
      - .offset:         48
        .size:           8
        .value_kind:     by_value
      - .offset:         56
        .size:           8
        .value_kind:     by_value
      - .address_space:  global
        .offset:         64
        .size:           8
        .value_kind:     global_buffer
      - .offset:         72
        .size:           8
        .value_kind:     by_value
      - .offset:         80
        .size:           8
        .value_kind:     by_value
      - .offset:         88
        .size:           16
        .value_kind:     by_value
      - .address_space:  global
        .offset:         104
        .size:           8
        .value_kind:     global_buffer
      - .offset:         112
        .size:           8
        .value_kind:     by_value
      - .offset:         120
        .size:           8
        .value_kind:     by_value
      - .address_space:  global
        .offset:         128
        .size:           8
        .value_kind:     global_buffer
      - .offset:         136
        .size:           8
        .value_kind:     by_value
      - .offset:         144
        .size:           8
        .value_kind:     by_value
      - .offset:         152
        .size:           4
        .value_kind:     by_value
    .group_segment_fixed_size: 8192
    .kernarg_segment_align: 8
    .kernarg_segment_size: 156
    .language:       OpenCL C
    .language_version:
      - 2
      - 0
    .max_flat_workgroup_size: 256
    .name:           _ZN12_GLOBAL__N_135rocblas_gemm_batched_general_kernelI19rocblas_complex_numIdELi16ELi16ELi32ELi32ELi8ELi32ELi8ELi8ELi32ELc84ELc84EKPKS2_S5_KPS2_EEvlllT_PT11_llSA_llS8_PT12_llPT13_lli
    .private_segment_fixed_size: 0
    .sgpr_count:     54
    .sgpr_spill_count: 0
    .symbol:         _ZN12_GLOBAL__N_135rocblas_gemm_batched_general_kernelI19rocblas_complex_numIdELi16ELi16ELi32ELi32ELi8ELi32ELi8ELi8ELi32ELc84ELc84EKPKS2_S5_KPS2_EEvlllT_PT11_llSA_llS8_PT12_llPT13_lli.kd
    .uniform_work_group_size: 1
    .uses_dynamic_stack: false
    .vgpr_count:     134
    .vgpr_spill_count: 0
    .wavefront_size: 32
    .workgroup_processor_mode: 1
  - .args:
      - .offset:         0
        .size:           8
        .value_kind:     by_value
      - .offset:         8
        .size:           8
        .value_kind:     by_value
      - .offset:         16
        .size:           8
        .value_kind:     by_value
      - .offset:         24
        .size:           16
        .value_kind:     by_value
      - .address_space:  global
        .offset:         40
        .size:           8
        .value_kind:     global_buffer
      - .offset:         48
        .size:           8
        .value_kind:     by_value
      - .offset:         56
        .size:           8
        .value_kind:     by_value
      - .address_space:  global
        .offset:         64
        .size:           8
        .value_kind:     global_buffer
      - .offset:         72
        .size:           8
        .value_kind:     by_value
      - .offset:         80
        .size:           8
        .value_kind:     by_value
      - .offset:         88
        .size:           16
        .value_kind:     by_value
      - .address_space:  global
        .offset:         104
        .size:           8
        .value_kind:     global_buffer
      - .offset:         112
        .size:           8
        .value_kind:     by_value
      - .offset:         120
        .size:           8
        .value_kind:     by_value
      - .address_space:  global
        .offset:         128
        .size:           8
        .value_kind:     global_buffer
      - .offset:         136
        .size:           8
        .value_kind:     by_value
      - .offset:         144
        .size:           8
        .value_kind:     by_value
      - .offset:         152
        .size:           4
        .value_kind:     by_value
    .group_segment_fixed_size: 8192
    .kernarg_segment_align: 8
    .kernarg_segment_size: 156
    .language:       OpenCL C
    .language_version:
      - 2
      - 0
    .max_flat_workgroup_size: 256
    .name:           _ZN12_GLOBAL__N_135rocblas_gemm_batched_general_kernelI19rocblas_complex_numIdELi16ELi16ELi32ELi32ELi8ELi32ELi8ELi8ELi32ELc67ELc67EKPKS2_S5_KPS2_EEvlllT_PT11_llSA_llS8_PT12_llPT13_lli
    .private_segment_fixed_size: 0
    .sgpr_count:     54
    .sgpr_spill_count: 0
    .symbol:         _ZN12_GLOBAL__N_135rocblas_gemm_batched_general_kernelI19rocblas_complex_numIdELi16ELi16ELi32ELi32ELi8ELi32ELi8ELi8ELi32ELc67ELc67EKPKS2_S5_KPS2_EEvlllT_PT11_llSA_llS8_PT12_llPT13_lli.kd
    .uniform_work_group_size: 1
    .uses_dynamic_stack: false
    .vgpr_count:     133
    .vgpr_spill_count: 0
    .wavefront_size: 32
    .workgroup_processor_mode: 1
  - .args:
      - .offset:         0
        .size:           8
        .value_kind:     by_value
      - .offset:         8
        .size:           8
        .value_kind:     by_value
      - .offset:         16
        .size:           8
        .value_kind:     by_value
      - .offset:         24
        .size:           16
        .value_kind:     by_value
      - .address_space:  global
        .offset:         40
        .size:           8
        .value_kind:     global_buffer
      - .offset:         48
        .size:           8
        .value_kind:     by_value
      - .offset:         56
        .size:           8
        .value_kind:     by_value
      - .address_space:  global
        .offset:         64
        .size:           8
        .value_kind:     global_buffer
      - .offset:         72
        .size:           8
        .value_kind:     by_value
      - .offset:         80
        .size:           8
        .value_kind:     by_value
      - .offset:         88
        .size:           16
        .value_kind:     by_value
      - .address_space:  global
        .offset:         104
        .size:           8
        .value_kind:     global_buffer
      - .offset:         112
        .size:           8
        .value_kind:     by_value
      - .offset:         120
        .size:           8
        .value_kind:     by_value
      - .address_space:  global
        .offset:         128
        .size:           8
        .value_kind:     global_buffer
      - .offset:         136
        .size:           8
        .value_kind:     by_value
      - .offset:         144
        .size:           8
        .value_kind:     by_value
      - .offset:         152
        .size:           4
        .value_kind:     by_value
    .group_segment_fixed_size: 8192
    .kernarg_segment_align: 8
    .kernarg_segment_size: 156
    .language:       OpenCL C
    .language_version:
      - 2
      - 0
    .max_flat_workgroup_size: 256
    .name:           _ZN12_GLOBAL__N_135rocblas_gemm_batched_general_kernelI19rocblas_complex_numIdELi16ELi16ELi32ELi32ELi8ELi32ELi8ELi8ELi32ELc67ELc78EKPKS2_S5_KPS2_EEvlllT_PT11_llSA_llS8_PT12_llPT13_lli
    .private_segment_fixed_size: 0
    .sgpr_count:     54
    .sgpr_spill_count: 0
    .symbol:         _ZN12_GLOBAL__N_135rocblas_gemm_batched_general_kernelI19rocblas_complex_numIdELi16ELi16ELi32ELi32ELi8ELi32ELi8ELi8ELi32ELc67ELc78EKPKS2_S5_KPS2_EEvlllT_PT11_llSA_llS8_PT12_llPT13_lli.kd
    .uniform_work_group_size: 1
    .uses_dynamic_stack: false
    .vgpr_count:     133
    .vgpr_spill_count: 0
    .wavefront_size: 32
    .workgroup_processor_mode: 1
  - .args:
      - .offset:         0
        .size:           8
        .value_kind:     by_value
      - .offset:         8
        .size:           8
        .value_kind:     by_value
      - .offset:         16
        .size:           8
        .value_kind:     by_value
      - .offset:         24
        .size:           16
        .value_kind:     by_value
      - .address_space:  global
        .offset:         40
        .size:           8
        .value_kind:     global_buffer
      - .offset:         48
        .size:           8
        .value_kind:     by_value
      - .offset:         56
        .size:           8
        .value_kind:     by_value
      - .address_space:  global
        .offset:         64
        .size:           8
        .value_kind:     global_buffer
      - .offset:         72
        .size:           8
        .value_kind:     by_value
      - .offset:         80
        .size:           8
        .value_kind:     by_value
      - .offset:         88
        .size:           16
        .value_kind:     by_value
      - .address_space:  global
        .offset:         104
        .size:           8
        .value_kind:     global_buffer
      - .offset:         112
        .size:           8
        .value_kind:     by_value
      - .offset:         120
        .size:           8
        .value_kind:     by_value
      - .address_space:  global
        .offset:         128
        .size:           8
        .value_kind:     global_buffer
      - .offset:         136
        .size:           8
        .value_kind:     by_value
      - .offset:         144
        .size:           8
        .value_kind:     by_value
      - .offset:         152
        .size:           4
        .value_kind:     by_value
    .group_segment_fixed_size: 8192
    .kernarg_segment_align: 8
    .kernarg_segment_size: 156
    .language:       OpenCL C
    .language_version:
      - 2
      - 0
    .max_flat_workgroup_size: 256
    .name:           _ZN12_GLOBAL__N_135rocblas_gemm_batched_general_kernelI19rocblas_complex_numIdELi16ELi16ELi32ELi32ELi8ELi32ELi8ELi8ELi32ELc67ELc84EKPKS2_S5_KPS2_EEvlllT_PT11_llSA_llS8_PT12_llPT13_lli
    .private_segment_fixed_size: 0
    .sgpr_count:     54
    .sgpr_spill_count: 0
    .symbol:         _ZN12_GLOBAL__N_135rocblas_gemm_batched_general_kernelI19rocblas_complex_numIdELi16ELi16ELi32ELi32ELi8ELi32ELi8ELi8ELi32ELc67ELc84EKPKS2_S5_KPS2_EEvlllT_PT11_llSA_llS8_PT12_llPT13_lli.kd
    .uniform_work_group_size: 1
    .uses_dynamic_stack: false
    .vgpr_count:     133
    .vgpr_spill_count: 0
    .wavefront_size: 32
    .workgroup_processor_mode: 1
  - .args:
      - .offset:         0
        .size:           8
        .value_kind:     by_value
      - .offset:         8
        .size:           8
        .value_kind:     by_value
      - .offset:         16
        .size:           8
        .value_kind:     by_value
      - .offset:         24
        .size:           16
        .value_kind:     by_value
      - .address_space:  global
        .offset:         40
        .size:           8
        .value_kind:     global_buffer
      - .offset:         48
        .size:           8
        .value_kind:     by_value
      - .offset:         56
        .size:           8
        .value_kind:     by_value
      - .address_space:  global
        .offset:         64
        .size:           8
        .value_kind:     global_buffer
      - .offset:         72
        .size:           8
        .value_kind:     by_value
      - .offset:         80
        .size:           8
        .value_kind:     by_value
      - .offset:         88
        .size:           16
        .value_kind:     by_value
      - .address_space:  global
        .offset:         104
        .size:           8
        .value_kind:     global_buffer
      - .offset:         112
        .size:           8
        .value_kind:     by_value
      - .offset:         120
        .size:           8
        .value_kind:     by_value
      - .address_space:  global
        .offset:         128
        .size:           8
        .value_kind:     global_buffer
      - .offset:         136
        .size:           8
        .value_kind:     by_value
      - .offset:         144
        .size:           8
        .value_kind:     by_value
      - .offset:         152
        .size:           4
        .value_kind:     by_value
    .group_segment_fixed_size: 8192
    .kernarg_segment_align: 8
    .kernarg_segment_size: 156
    .language:       OpenCL C
    .language_version:
      - 2
      - 0
    .max_flat_workgroup_size: 256
    .name:           _ZN12_GLOBAL__N_135rocblas_gemm_batched_general_kernelI19rocblas_complex_numIdELi16ELi16ELi32ELi32ELi8ELi32ELi8ELi8ELi32ELc78ELc67EKPKS2_S5_KPS2_EEvlllT_PT11_llSA_llS8_PT12_llPT13_lli
    .private_segment_fixed_size: 0
    .sgpr_count:     54
    .sgpr_spill_count: 0
    .symbol:         _ZN12_GLOBAL__N_135rocblas_gemm_batched_general_kernelI19rocblas_complex_numIdELi16ELi16ELi32ELi32ELi8ELi32ELi8ELi8ELi32ELc78ELc67EKPKS2_S5_KPS2_EEvlllT_PT11_llSA_llS8_PT12_llPT13_lli.kd
    .uniform_work_group_size: 1
    .uses_dynamic_stack: false
    .vgpr_count:     133
    .vgpr_spill_count: 0
    .wavefront_size: 32
    .workgroup_processor_mode: 1
  - .args:
      - .offset:         0
        .size:           8
        .value_kind:     by_value
      - .offset:         8
        .size:           8
        .value_kind:     by_value
      - .offset:         16
        .size:           8
        .value_kind:     by_value
      - .offset:         24
        .size:           16
        .value_kind:     by_value
      - .address_space:  global
        .offset:         40
        .size:           8
        .value_kind:     global_buffer
      - .offset:         48
        .size:           8
        .value_kind:     by_value
      - .offset:         56
        .size:           8
        .value_kind:     by_value
      - .address_space:  global
        .offset:         64
        .size:           8
        .value_kind:     global_buffer
      - .offset:         72
        .size:           8
        .value_kind:     by_value
      - .offset:         80
        .size:           8
        .value_kind:     by_value
      - .offset:         88
        .size:           16
        .value_kind:     by_value
      - .address_space:  global
        .offset:         104
        .size:           8
        .value_kind:     global_buffer
      - .offset:         112
        .size:           8
        .value_kind:     by_value
      - .offset:         120
        .size:           8
        .value_kind:     by_value
      - .address_space:  global
        .offset:         128
        .size:           8
        .value_kind:     global_buffer
      - .offset:         136
        .size:           8
        .value_kind:     by_value
      - .offset:         144
        .size:           8
        .value_kind:     by_value
      - .offset:         152
        .size:           4
        .value_kind:     by_value
    .group_segment_fixed_size: 8192
    .kernarg_segment_align: 8
    .kernarg_segment_size: 156
    .language:       OpenCL C
    .language_version:
      - 2
      - 0
    .max_flat_workgroup_size: 256
    .name:           _ZN12_GLOBAL__N_135rocblas_gemm_batched_general_kernelI19rocblas_complex_numIdELi16ELi16ELi32ELi32ELi8ELi32ELi8ELi8ELi32ELc84ELc67EKPKS2_S5_KPS2_EEvlllT_PT11_llSA_llS8_PT12_llPT13_lli
    .private_segment_fixed_size: 0
    .sgpr_count:     54
    .sgpr_spill_count: 0
    .symbol:         _ZN12_GLOBAL__N_135rocblas_gemm_batched_general_kernelI19rocblas_complex_numIdELi16ELi16ELi32ELi32ELi8ELi32ELi8ELi8ELi32ELc84ELc67EKPKS2_S5_KPS2_EEvlllT_PT11_llSA_llS8_PT12_llPT13_lli.kd
    .uniform_work_group_size: 1
    .uses_dynamic_stack: false
    .vgpr_count:     133
    .vgpr_spill_count: 0
    .wavefront_size: 32
    .workgroup_processor_mode: 1
amdhsa.target:   amdgcn-amd-amdhsa--gfx1201
amdhsa.version:
  - 1
  - 2
...

	.end_amdgpu_metadata
